;; amdgpu-corpus repo=ROCm/rocSOLVER kind=compiled arch=gfx1250 opt=O3
	.amdgcn_target "amdgcn-amd-amdhsa--gfx1250"
	.amdhsa_code_object_version 6
	.section	.text._ZN9rocsolver6v33100L6iota_nIfEEvPT_jS2_,"axG",@progbits,_ZN9rocsolver6v33100L6iota_nIfEEvPT_jS2_,comdat
	.globl	_ZN9rocsolver6v33100L6iota_nIfEEvPT_jS2_ ; -- Begin function _ZN9rocsolver6v33100L6iota_nIfEEvPT_jS2_
	.p2align	8
	.type	_ZN9rocsolver6v33100L6iota_nIfEEvPT_jS2_,@function
_ZN9rocsolver6v33100L6iota_nIfEEvPT_jS2_: ; @_ZN9rocsolver6v33100L6iota_nIfEEvPT_jS2_
; %bb.0:
	s_load_b64 s[2:3], s[0:1], 0x8
	s_wait_kmcnt 0x0
	v_cmp_gt_u32_e32 vcc_lo, s2, v0
	s_and_saveexec_b32 s2, vcc_lo
	s_cbranch_execz .LBB0_2
; %bb.1:
	s_load_b64 s[0:1], s[0:1], 0x0
	v_cvt_f32_ubyte0_e32 v1, v0
	s_delay_alu instid0(VALU_DEP_1)
	v_add_f32_e32 v1, s3, v1
	s_wait_kmcnt 0x0
	global_store_b32 v0, v1, s[0:1] scale_offset
.LBB0_2:
	s_endpgm
	.section	.rodata,"a",@progbits
	.p2align	6, 0x0
	.amdhsa_kernel _ZN9rocsolver6v33100L6iota_nIfEEvPT_jS2_
		.amdhsa_group_segment_fixed_size 0
		.amdhsa_private_segment_fixed_size 0
		.amdhsa_kernarg_size 16
		.amdhsa_user_sgpr_count 2
		.amdhsa_user_sgpr_dispatch_ptr 0
		.amdhsa_user_sgpr_queue_ptr 0
		.amdhsa_user_sgpr_kernarg_segment_ptr 1
		.amdhsa_user_sgpr_dispatch_id 0
		.amdhsa_user_sgpr_kernarg_preload_length 0
		.amdhsa_user_sgpr_kernarg_preload_offset 0
		.amdhsa_user_sgpr_private_segment_size 0
		.amdhsa_wavefront_size32 1
		.amdhsa_uses_dynamic_stack 0
		.amdhsa_enable_private_segment 0
		.amdhsa_system_sgpr_workgroup_id_x 1
		.amdhsa_system_sgpr_workgroup_id_y 0
		.amdhsa_system_sgpr_workgroup_id_z 0
		.amdhsa_system_sgpr_workgroup_info 0
		.amdhsa_system_vgpr_workitem_id 0
		.amdhsa_next_free_vgpr 2
		.amdhsa_next_free_sgpr 4
		.amdhsa_named_barrier_count 0
		.amdhsa_reserve_vcc 1
		.amdhsa_float_round_mode_32 0
		.amdhsa_float_round_mode_16_64 0
		.amdhsa_float_denorm_mode_32 3
		.amdhsa_float_denorm_mode_16_64 3
		.amdhsa_fp16_overflow 0
		.amdhsa_memory_ordered 1
		.amdhsa_forward_progress 1
		.amdhsa_inst_pref_size 1
		.amdhsa_round_robin_scheduling 0
		.amdhsa_exception_fp_ieee_invalid_op 0
		.amdhsa_exception_fp_denorm_src 0
		.amdhsa_exception_fp_ieee_div_zero 0
		.amdhsa_exception_fp_ieee_overflow 0
		.amdhsa_exception_fp_ieee_underflow 0
		.amdhsa_exception_fp_ieee_inexact 0
		.amdhsa_exception_int_div_zero 0
	.end_amdhsa_kernel
	.section	.text._ZN9rocsolver6v33100L6iota_nIfEEvPT_jS2_,"axG",@progbits,_ZN9rocsolver6v33100L6iota_nIfEEvPT_jS2_,comdat
.Lfunc_end0:
	.size	_ZN9rocsolver6v33100L6iota_nIfEEvPT_jS2_, .Lfunc_end0-_ZN9rocsolver6v33100L6iota_nIfEEvPT_jS2_
                                        ; -- End function
	.set _ZN9rocsolver6v33100L6iota_nIfEEvPT_jS2_.num_vgpr, 2
	.set _ZN9rocsolver6v33100L6iota_nIfEEvPT_jS2_.num_agpr, 0
	.set _ZN9rocsolver6v33100L6iota_nIfEEvPT_jS2_.numbered_sgpr, 4
	.set _ZN9rocsolver6v33100L6iota_nIfEEvPT_jS2_.num_named_barrier, 0
	.set _ZN9rocsolver6v33100L6iota_nIfEEvPT_jS2_.private_seg_size, 0
	.set _ZN9rocsolver6v33100L6iota_nIfEEvPT_jS2_.uses_vcc, 1
	.set _ZN9rocsolver6v33100L6iota_nIfEEvPT_jS2_.uses_flat_scratch, 0
	.set _ZN9rocsolver6v33100L6iota_nIfEEvPT_jS2_.has_dyn_sized_stack, 0
	.set _ZN9rocsolver6v33100L6iota_nIfEEvPT_jS2_.has_recursion, 0
	.set _ZN9rocsolver6v33100L6iota_nIfEEvPT_jS2_.has_indirect_call, 0
	.section	.AMDGPU.csdata,"",@progbits
; Kernel info:
; codeLenInByte = 64
; TotalNumSgprs: 6
; NumVgprs: 2
; ScratchSize: 0
; MemoryBound: 0
; FloatMode: 240
; IeeeMode: 1
; LDSByteSize: 0 bytes/workgroup (compile time only)
; SGPRBlocks: 0
; VGPRBlocks: 0
; NumSGPRsForWavesPerEU: 6
; NumVGPRsForWavesPerEU: 2
; NamedBarCnt: 0
; Occupancy: 16
; WaveLimiterHint : 0
; COMPUTE_PGM_RSRC2:SCRATCH_EN: 0
; COMPUTE_PGM_RSRC2:USER_SGPR: 2
; COMPUTE_PGM_RSRC2:TRAP_HANDLER: 0
; COMPUTE_PGM_RSRC2:TGID_X_EN: 1
; COMPUTE_PGM_RSRC2:TGID_Y_EN: 0
; COMPUTE_PGM_RSRC2:TGID_Z_EN: 0
; COMPUTE_PGM_RSRC2:TIDIG_COMP_CNT: 0
	.section	.text._ZN9rocsolver6v33100L18geqr2_kernel_smallILi256EfifPfEEvT1_S3_T3_lS3_lPT2_lPT0_l,"axG",@progbits,_ZN9rocsolver6v33100L18geqr2_kernel_smallILi256EfifPfEEvT1_S3_T3_lS3_lPT2_lPT0_l,comdat
	.globl	_ZN9rocsolver6v33100L18geqr2_kernel_smallILi256EfifPfEEvT1_S3_T3_lS3_lPT2_lPT0_l ; -- Begin function _ZN9rocsolver6v33100L18geqr2_kernel_smallILi256EfifPfEEvT1_S3_T3_lS3_lPT2_lPT0_l
	.p2align	8
	.type	_ZN9rocsolver6v33100L18geqr2_kernel_smallILi256EfifPfEEvT1_S3_T3_lS3_lPT2_lPT0_l,@function
_ZN9rocsolver6v33100L18geqr2_kernel_smallILi256EfifPfEEvT1_S3_T3_lS3_lPT2_lPT0_l: ; @_ZN9rocsolver6v33100L18geqr2_kernel_smallILi256EfifPfEEvT1_S3_T3_lS3_lPT2_lPT0_l
; %bb.0:
	s_clause 0x4
	s_load_b256 s[4:11], s[0:1], 0x20
	s_load_b64 s[16:17], s[0:1], 0x0
	s_load_b128 s[12:15], s[0:1], 0x8
	s_load_b32 s22, s[0:1], 0x18
	s_load_b64 s[18:19], s[0:1], 0x40
	s_bfe_u32 s3, ttmp6, 0x40014
	s_lshr_b32 s2, ttmp7, 16
	s_add_co_i32 s3, s3, 1
	s_wait_xcnt 0x0
	s_bfe_u32 s0, ttmp6, 0x40008
	s_mul_i32 s3, s2, s3
	s_getreg_b32 s1, hwreg(HW_REG_IB_STS2, 6, 4)
	s_add_co_i32 s0, s0, s3
	s_cmp_eq_u32 s1, 0
	v_and_b32_e32 v2, 0x7f, v0
	s_mov_b32 s21, 0
	s_cselect_b32 s20, s2, s0
	v_lshrrev_b32_e32 v4, 7, v0
	s_delay_alu instid0(VALU_DEP_2) | instskip(SKIP_2) | instid1(SALU_CYCLE_1)
	v_lshl_add_u32 v3, v2, 2, 0
	s_wait_kmcnt 0x0
	s_mul_u64 s[0:1], s[4:5], s[20:21]
	s_lshl_b64 s[2:3], s[0:1], 2
	v_cmp_gt_i32_e64 s0, s16, v2
	s_add_nc_u64 s[2:3], s[12:13], s[2:3]
	s_lshl_b64 s[4:5], s[14:15], 2
	s_delay_alu instid0(SALU_CYCLE_1)
	s_add_nc_u64 s[12:13], s[2:3], s[4:5]
	s_and_saveexec_b32 s14, s0
	s_cbranch_execz .LBB1_15
; %bb.1:
	v_lshrrev_b32_e32 v6, 7, v0
	s_lshl_b32 s15, s22, 1
	v_lshl_add_u32 v16, v2, 2, 0
	s_sub_co_i32 s1, 0, s15
	s_cmp_lt_i32 s15, 0
	v_xad_u32 v1, v6, -1, s17
	s_cselect_b32 vcc_lo, -1, 0
	s_mov_b32 s24, s22
	s_and_b32 s2, vcc_lo, exec_lo
	s_cselect_b32 s3, s1, s15
	v_lshrrev_b32_e32 v7, 1, v1
	v_mul_lo_u32 v5, s22, v6
	v_cmp_gt_i32_e64 s1, s17, v6
	v_cmp_gt_u32_e64 s23, 30, v1
	v_cmp_lt_u32_e64 s2, 29, v1
	v_add_nc_u32_e32 v8, 1, v7
	v_mul_hi_u32 v10, s3, v7
	v_mul_lo_u32 v14, s3, v7
	v_or_b32_e32 v7, 2, v6
	s_mov_b32 s25, s16
	s_mov_b32 s26, s16
	s_lshl_b32 s27, s16, 2
	v_dual_add_nc_u32 v12, v5, v2 :: v_dual_bitop2_b32 v9, -2, v8 bitop3:0x40
	s_lshl_b32 s28, s16, 3
	s_mov_b32 s29, s21
	s_mov_b32 s30, s21
	s_delay_alu instid0(VALU_DEP_4) | instskip(SKIP_3) | instid1(VALU_DEP_1)
	v_cmp_ne_u32_e64 s3, 0, v10
	v_cmp_ne_u32_e64 s4, v8, v9
	v_mov_b32_e32 v8, v2
	v_lshl_or_b32 v13, v9, 1, v6
	v_mul_lo_u32 v15, s22, v13
	s_branch .LBB1_3
.LBB1_2:                                ;   in Loop: Header=BB1_3 Depth=1
	s_or_b32 exec_lo, exec_lo, s31
	v_add_nc_u32_e32 v8, 0x80, v8
	v_add_nc_u32_e32 v16, 0x200, v16
	s_add_co_i32 s30, s30, 1
	s_delay_alu instid0(VALU_DEP_2) | instskip(SKIP_1) | instid1(SALU_CYCLE_1)
	v_cmp_le_i32_e64 s5, s16, v8
	s_or_b32 s29, s5, s29
	s_and_not1_b32 exec_lo, exec_lo, s29
	s_cbranch_execz .LBB1_15
.LBB1_3:                                ; =>This Loop Header: Depth=1
                                        ;     Child Loop BB1_7 Depth 2
                                        ;     Child Loop BB1_14 Depth 2
	s_and_saveexec_b32 s31, s1
	s_cbranch_execz .LBB1_2
; %bb.4:                                ;   in Loop: Header=BB1_3 Depth=1
	v_dual_mov_b32 v1, v6 :: v_dual_mov_b32 v10, v5
	s_mov_b32 s5, s23
	s_and_saveexec_b32 s33, s2
	s_cbranch_execz .LBB1_12
; %bb.5:                                ;   in Loop: Header=BB1_3 Depth=1
	v_lshl_add_u32 v1, s30, 7, v12
	s_delay_alu instid0(VALU_DEP_1) | instskip(NEXT) | instid1(VALU_DEP_1)
	v_dual_sub_nc_u32 v10, v1, v14 :: v_dual_add_nc_u32 v11, v1, v14
	v_cmp_gt_i32_e64 s5, v10, v1
	s_delay_alu instid0(VALU_DEP_1) | instskip(NEXT) | instid1(VALU_DEP_3)
	v_cndmask_b32_e64 v10, 0, 1, s5
	v_cmp_lt_i32_e64 s5, v11, v1
	s_delay_alu instid0(VALU_DEP_1) | instskip(NEXT) | instid1(VALU_DEP_1)
	v_cndmask_b32_e64 v1, 0, 1, s5
	v_cndmask_b32_e32 v1, v1, v10, vcc_lo
	s_delay_alu instid0(VALU_DEP_1) | instskip(NEXT) | instid1(VALU_DEP_1)
	v_dual_mov_b32 v10, v5 :: v_dual_bitop2_b32 v1, 1, v1 bitop3:0x40
	v_cmp_eq_u32_e64 s5, 1, v1
	v_mov_b32_e32 v1, v6
	s_nor_b32 s35, s5, s3
	s_mov_b32 s5, -1
	s_and_saveexec_b32 s34, s35
	s_cbranch_execz .LBB1_11
; %bb.6:                                ;   in Loop: Header=BB1_3 Depth=1
	v_mov_b64_e32 v[10:11], v[6:7]
	v_lshl_add_u32 v17, v8, 2, 0
	v_dual_mov_b32 v1, v8 :: v_dual_mov_b32 v18, v9
	s_mov_b32 s35, 0
.LBB1_7:                                ;   Parent Loop BB1_3 Depth=1
                                        ; =>  This Inner Loop Header: Depth=2
	s_delay_alu instid0(VALU_DEP_3) | instskip(NEXT) | instid1(VALU_DEP_2)
	v_mad_u32 v19, v10, s22, v8
	v_mad_u32 v20, v11, s24, v1
	s_delay_alu instid0(VALU_DEP_3)
	v_add_nc_u32_e32 v18, -2, v18
	s_clause 0x1
	global_load_b32 v21, v19, s[12:13] scale_offset
	global_load_b32 v22, v20, s[12:13] scale_offset
	s_wait_xcnt 0x1
	v_mul_lo_u32 v19, v10, s25
	s_wait_xcnt 0x0
	v_mul_lo_u32 v20, v11, s26
	v_add_nc_u32_e32 v11, 4, v11
	v_cmp_eq_u32_e64 s5, 0, v18
	v_add_nc_u32_e32 v10, 4, v10
	s_or_b32 s35, s5, s35
	v_lshl_add_u32 v19, v19, 2, v17
	v_lshl_add_u32 v20, v20, 2, v17
	s_wait_loadcnt 0x1
	ds_store_b32 v19, v21
	s_wait_loadcnt 0x0
	ds_store_b32 v20, v22
	s_and_not1_b32 exec_lo, exec_lo, s35
	s_cbranch_execnz .LBB1_7
; %bb.8:                                ;   in Loop: Header=BB1_3 Depth=1
	s_or_b32 exec_lo, exec_lo, s35
	s_mov_b32 s5, 0
	s_and_saveexec_b32 s35, s4
; %bb.9:                                ;   in Loop: Header=BB1_3 Depth=1
	s_mov_b32 s5, exec_lo
; %bb.10:                               ;   in Loop: Header=BB1_3 Depth=1
	s_or_b32 exec_lo, exec_lo, s35
	v_dual_mov_b32 v1, v13 :: v_dual_mov_b32 v10, v15
	s_or_not1_b32 s5, s5, exec_lo
.LBB1_11:                               ;   in Loop: Header=BB1_3 Depth=1
	s_or_b32 exec_lo, exec_lo, s34
	s_delay_alu instid0(SALU_CYCLE_1) | instskip(SKIP_1) | instid1(SALU_CYCLE_1)
	s_and_not1_b32 s34, s23, exec_lo
	s_and_b32 s5, s5, exec_lo
	s_or_b32 s5, s34, s5
.LBB1_12:                               ;   in Loop: Header=BB1_3 Depth=1
	s_or_b32 exec_lo, exec_lo, s33
	s_delay_alu instid0(SALU_CYCLE_1)
	s_and_b32 exec_lo, exec_lo, s5
	s_cbranch_execz .LBB1_2
; %bb.13:                               ;   in Loop: Header=BB1_3 Depth=1
	v_mad_u32 v11, s27, v1, v16
	v_add_nc_u32_e32 v10, v8, v10
	s_mov_b32 s33, 0
.LBB1_14:                               ;   Parent Loop BB1_3 Depth=1
                                        ; =>  This Inner Loop Header: Depth=2
	global_load_b32 v17, v10, s[12:13] scale_offset
	s_wait_xcnt 0x0
	v_dual_add_nc_u32 v1, 2, v1 :: v_dual_add_nc_u32 v10, s15, v10
	s_delay_alu instid0(VALU_DEP_1)
	v_cmp_le_i32_e64 s5, s17, v1
	s_or_b32 s33, s5, s33
	s_wait_loadcnt 0x0
	ds_store_b32 v11, v17
	v_add_nc_u32_e32 v11, s28, v11
	s_and_not1_b32 exec_lo, exec_lo, s33
	s_cbranch_execnz .LBB1_14
	s_branch .LBB1_2
.LBB1_15:
	s_or_b32 exec_lo, exec_lo, s14
	s_min_i32 s5, s17, s16
	s_wait_dscnt 0x0
	s_cmp_lt_i32 s5, 1
	s_barrier_signal -1
	s_barrier_wait -1
	s_cbranch_scc1 .LBB1_52
; %bb.16:
	v_mbcnt_lo_u32_b32 v8, -1, 0
	s_mul_i32 s1, s17, s16
	v_mad_u32 v10, s16, v0, s16
	s_lshl_b32 s1, s1, 2
	s_mul_u64 s[2:3], s[8:9], s[20:21]
	v_cmp_ne_u32_e32 vcc_lo, 31, v8
	s_mul_u64 s[8:9], s[18:19], s[20:21]
	s_add_co_i32 s18, s1, 0
	s_lshl_b32 s1, s17, 2
	s_lshl_b64 s[2:3], s[2:3], 2
	v_add_co_ci_u32_e64 v1, null, 0, v8, vcc_lo
	v_cmp_gt_u32_e32 vcc_lo, 30, v8
	s_lshl_b64 s[14:15], s[8:9], 2
	s_add_co_i32 s19, s18, s1
	s_cmp_eq_u64 s[6:7], 0
	v_dual_lshlrev_b32 v1, 2, v1 :: v_dual_bitop2_b32 v9, 31, v0 bitop3:0x40
	v_cndmask_b32_e64 v5, 0, 2, vcc_lo
	v_cmp_gt_u32_e32 vcc_lo, 28, v8
	v_dual_lshrrev_b32 v12, 3, v0 :: v_dual_lshlrev_b32 v11, 2, v0
	s_cselect_b32 s20, -1, 0
	s_cmp_lg_u64 s[6:7], 0
	v_cndmask_b32_e64 v6, 0, 4, vcc_lo
	v_cmp_gt_u32_e32 vcc_lo, 24, v8
	s_add_nc_u64 s[8:9], s[6:7], s[2:3]
	s_cselect_b32 s6, -1, 0
	s_lshl_b32 s7, s16, 2
	v_add_lshl_u32 v5, v5, v8, 2
	v_cndmask_b32_e64 v7, 0, 8, vcc_lo
	v_add_lshl_u32 v6, v6, v8, 2
	v_cmp_eq_u32_e64 s1, 0, v9
	v_cmp_eq_u32_e64 s2, 0, v0
	v_add3_u32 v9, v11, 0, 4
	v_add_lshl_u32 v7, v7, v8, 2
	v_lshl_or_b32 v8, v8, 2, 64
	v_lshl_add_u32 v10, v10, 2, 0
	v_add3_u32 v11, 0, s7, v11
	v_dual_mov_b32 v13, 0 :: v_dual_add_nc_u32 v12, s19, v12
	s_add_nc_u64 s[10:11], s[10:11], s[14:15]
	s_mov_b32 s15, 0
	s_add_co_i32 s21, s7, 4
	s_lshl_b32 s23, s16, 10
	s_mov_b32 s24, 0
	s_mov_b32 s25, s17
	;; [unrolled: 1-line block ×4, first 2 shown]
	s_branch .LBB1_18
.LBB1_17:                               ;   in Loop: Header=BB1_18 Depth=1
	s_or_b32 exec_lo, exec_lo, s4
	v_dual_add_nc_u32 v9, s21, v9 :: v_dual_add_nc_u32 v10, s21, v10
	v_add_nc_u32_e32 v11, s21, v11
	s_add_co_i32 s14, s14, 1
	s_add_co_i32 s25, s25, -1
	s_add_co_i32 s26, s26, -1
	s_add_co_i32 s24, s24, s21
	s_cmp_eq_u32 s14, s5
	s_wait_dscnt 0x0
	s_barrier_signal -1
	s_barrier_wait -1
	s_cbranch_scc1 .LBB1_52
.LBB1_18:                               ; =>This Loop Header: Depth=1
                                        ;     Child Loop BB1_20 Depth 2
                                        ;     Child Loop BB1_33 Depth 2
	;; [unrolled: 1-line block ×3, first 2 shown]
                                        ;       Child Loop BB1_39 Depth 3
                                        ;     Child Loop BB1_43 Depth 2
                                        ;       Child Loop BB1_45 Depth 3
	s_sub_co_i32 s27, s16, s14
	v_mov_b32_e32 v14, 0
	s_add_co_i32 s29, s27, -1
	s_delay_alu instid0(SALU_CYCLE_1)
	v_cmp_gt_i32_e64 s3, s29, v0
	s_and_saveexec_b32 s4, s3
	s_cbranch_execz .LBB1_22
; %bb.19:                               ;   in Loop: Header=BB1_18 Depth=1
	v_dual_mov_b32 v14, 0 :: v_dual_mov_b32 v15, v9
	v_mov_b32_e32 v16, v0
	s_mov_b32 s28, 0
.LBB1_20:                               ;   Parent Loop BB1_18 Depth=1
                                        ; =>  This Inner Loop Header: Depth=2
	ds_load_b32 v17, v15
	v_add_nc_u32_e32 v16, 0x100, v16
	v_add_nc_u32_e32 v15, 0x400, v15
	s_delay_alu instid0(VALU_DEP_2)
	v_cmp_le_i32_e32 vcc_lo, s29, v16
	s_or_b32 s28, vcc_lo, s28
	s_wait_dscnt 0x0
	v_fmac_f32_e32 v14, v17, v17
	s_and_not1_b32 exec_lo, exec_lo, s28
	s_cbranch_execnz .LBB1_20
; %bb.21:                               ;   in Loop: Header=BB1_18 Depth=1
	s_or_b32 exec_lo, exec_lo, s28
.LBB1_22:                               ;   in Loop: Header=BB1_18 Depth=1
	s_delay_alu instid0(SALU_CYCLE_1)
	s_or_b32 exec_lo, exec_lo, s4
	ds_bpermute_b32 v15, v1, v14
	s_wait_dscnt 0x0
	v_add_f32_e32 v14, v14, v15
	ds_bpermute_b32 v15, v5, v14
	s_wait_dscnt 0x0
	v_add_f32_e32 v14, v14, v15
	;; [unrolled: 3-line block ×5, first 2 shown]
	s_and_saveexec_b32 s4, s1
; %bb.23:                               ;   in Loop: Header=BB1_18 Depth=1
	ds_store_b32 v12, v14 offset:4
; %bb.24:                               ;   in Loop: Header=BB1_18 Depth=1
	s_or_b32 exec_lo, exec_lo, s4
	s_lshl_b32 s4, s14, 2
	s_mul_i32 s28, s14, s16
	s_add_co_i32 s4, s4, 0
	s_lshl_b32 s28, s28, 2
	s_wait_dscnt 0x0
	s_add_co_i32 s28, s4, s28
	s_barrier_signal -1
	s_barrier_wait -1
	s_and_saveexec_b32 s30, s2
	s_cbranch_execz .LBB1_31
; %bb.25:                               ;   in Loop: Header=BB1_18 Depth=1
	v_mov_b32_e32 v15, s19
	s_mov_b32 s4, 0
	s_mov_b32 s31, 0
	s_mov_b32 s33, exec_lo
	ds_load_2addr_b32 v[16:17], v15 offset0:2 offset1:3
	ds_load_2addr_b32 v[18:19], v15 offset0:4 offset1:5
	;; [unrolled: 1-line block ×3, first 2 shown]
	ds_load_b32 v15, v15 offset:32
	s_wait_dscnt 0x3
	v_add_f32_e32 v14, v14, v16
	s_delay_alu instid0(VALU_DEP_1) | instskip(SKIP_1) | instid1(VALU_DEP_1)
	v_add_f32_e32 v14, v14, v17
	s_wait_dscnt 0x2
	v_add_f32_e32 v14, v14, v18
	s_delay_alu instid0(VALU_DEP_1) | instskip(SKIP_1) | instid1(VALU_DEP_1)
	v_add_f32_e32 v14, v14, v19
	;; [unrolled: 4-line block ×3, first 2 shown]
	s_wait_dscnt 0x0
	v_add_f32_e32 v16, v14, v15
                                        ; implicit-def: $vgpr14
	s_delay_alu instid0(VALU_DEP_1)
	v_cmpx_nlt_f32_e32 0, v16
	s_xor_b32 s33, exec_lo, s33
	s_cbranch_execnz .LBB1_46
; %bb.26:                               ;   in Loop: Header=BB1_18 Depth=1
	s_or_saveexec_b32 s33, s33
	v_mov_b32_e32 v15, 1.0
	s_xor_b32 exec_lo, exec_lo, s33
	s_cbranch_execnz .LBB1_50
.LBB1_27:                               ;   in Loop: Header=BB1_18 Depth=1
	s_or_b32 exec_lo, exec_lo, s33
	s_and_saveexec_b32 s33, s31
	s_cbranch_execnz .LBB1_51
.LBB1_28:                               ;   in Loop: Header=BB1_18 Depth=1
	s_or_b32 exec_lo, exec_lo, s33
	v_mov_b32_e32 v16, 0
	s_and_saveexec_b32 s31, s4
	s_cbranch_execz .LBB1_30
.LBB1_29:                               ;   in Loop: Header=BB1_18 Depth=1
	v_dual_mov_b32 v16, s28 :: v_dual_mov_b32 v17, s19
	s_wait_dscnt 0x0
	ds_store_b32 v16, v14
	ds_load_b32 v16, v17
.LBB1_30:                               ;   in Loop: Header=BB1_18 Depth=1
	s_or_b32 exec_lo, exec_lo, s31
	s_wait_dscnt 0x0
	v_mov_b32_e32 v14, s19
	s_lshl_b64 s[34:35], s[14:15], 2
	s_delay_alu instid0(SALU_CYCLE_1)
	s_add_nc_u64 s[34:35], s[10:11], s[34:35]
	global_store_b32 v13, v16, s[34:35]
	ds_store_b32 v14, v15 offset:4
.LBB1_31:                               ;   in Loop: Header=BB1_18 Depth=1
	s_wait_xcnt 0x0
	s_or_b32 exec_lo, exec_lo, s30
	s_wait_storecnt_dscnt 0x0
	s_barrier_signal -1
	s_barrier_wait -1
	s_and_saveexec_b32 s4, s3
	s_cbranch_execz .LBB1_34
; %bb.32:                               ;   in Loop: Header=BB1_18 Depth=1
	v_mov_b32_e32 v14, v0
	s_mov_b32 s3, 0
	s_mov_b32 s30, 0
.LBB1_33:                               ;   Parent Loop BB1_18 Depth=1
                                        ; =>  This Inner Loop Header: Depth=2
	s_delay_alu instid0(SALU_CYCLE_1)
	v_dual_mov_b32 v15, s19 :: v_dual_add_nc_u32 v16, s30, v9
	s_addk_co_i32 s30, 0x400
	ds_load_b32 v15, v15 offset:4
	ds_load_b32 v17, v16
	s_wait_dscnt 0x0
	v_dual_mul_f32 v15, v15, v17 :: v_dual_add_nc_u32 v14, 0x100, v14
	s_delay_alu instid0(VALU_DEP_1) | instskip(SKIP_2) | instid1(SALU_CYCLE_1)
	v_cmp_le_i32_e32 vcc_lo, s29, v14
	ds_store_b32 v16, v15
	s_or_b32 s3, vcc_lo, s3
	s_and_not1_b32 exec_lo, exec_lo, s3
	s_cbranch_execnz .LBB1_33
.LBB1_34:                               ;   in Loop: Header=BB1_18 Depth=1
	s_or_b32 exec_lo, exec_lo, s4
	s_not_b32 s3, s14
	s_mov_b32 s4, exec_lo
	s_add_co_i32 s3, s17, s3
	s_wait_dscnt 0x0
	s_barrier_signal -1
	s_barrier_wait -1
	v_cmpx_gt_i32_e64 s3, v0
	s_cbranch_execz .LBB1_40
; %bb.35:                               ;   in Loop: Header=BB1_18 Depth=1
	v_dual_mov_b32 v14, v10 :: v_dual_mov_b32 v15, v0
	s_cmp_gt_i32 s27, 0
	s_mov_b32 s29, 0
	s_cselect_b32 s30, -1, 0
	s_branch .LBB1_37
.LBB1_36:                               ;   in Loop: Header=BB1_37 Depth=2
	v_dual_mov_b32 v17, s19 :: v_dual_add_nc_u32 v14, s23, v14
	v_lshl_add_u32 v18, v15, 2, s18
	ds_load_b32 v17, v17
	s_wait_dscnt 0x0
	v_dual_mul_f32 v16, v16, v17 :: v_dual_add_nc_u32 v15, 0x100, v15
	s_delay_alu instid0(VALU_DEP_1) | instskip(SKIP_2) | instid1(SALU_CYCLE_1)
	v_cmp_le_i32_e32 vcc_lo, s3, v15
	ds_store_b32 v18, v16
	s_or_b32 s29, vcc_lo, s29
	s_and_not1_b32 exec_lo, exec_lo, s29
	s_cbranch_execz .LBB1_40
.LBB1_37:                               ;   Parent Loop BB1_18 Depth=1
                                        ; =>  This Loop Header: Depth=2
                                        ;       Child Loop BB1_39 Depth 3
	v_mov_b32_e32 v16, 0
	s_and_not1_b32 vcc_lo, exec_lo, s30
	s_cbranch_vccnz .LBB1_36
; %bb.38:                               ;   in Loop: Header=BB1_37 Depth=2
	v_mov_b32_e32 v17, v14
	s_mov_b32 s31, s24
	s_mov_b32 s33, s26
.LBB1_39:                               ;   Parent Loop BB1_18 Depth=1
                                        ;     Parent Loop BB1_37 Depth=2
                                        ; =>    This Inner Loop Header: Depth=3
	v_mov_b32_e32 v18, s31
	s_add_co_i32 s33, s33, -1
	s_add_co_i32 s31, s31, 4
	s_cmp_eq_u32 s33, 0
	ds_load_b32 v19, v17
	ds_load_b32 v18, v18
	s_wait_dscnt 0x0
	v_dual_fmac_f32 v16, v19, v18 :: v_dual_add_nc_u32 v17, 4, v17
	s_cbranch_scc0 .LBB1_39
	s_branch .LBB1_36
.LBB1_40:                               ;   in Loop: Header=BB1_18 Depth=1
	s_or_b32 exec_lo, exec_lo, s4
	s_delay_alu instid0(SALU_CYCLE_1)
	s_mov_b32 s4, exec_lo
	s_wait_dscnt 0x0
	s_barrier_signal -1
	s_barrier_wait -1
	v_cmpx_gt_i32_e64 s27, v0
	s_cbranch_execz .LBB1_17
; %bb.41:                               ;   in Loop: Header=BB1_18 Depth=1
	v_dual_mov_b32 v14, v11 :: v_dual_mov_b32 v15, v0
	s_cmp_gt_i32 s3, 0
	s_mov_b32 s3, 0
	s_cselect_b32 s29, -1, 0
	s_branch .LBB1_43
.LBB1_42:                               ;   in Loop: Header=BB1_43 Depth=2
	v_add_nc_u32_e32 v15, 0x100, v15
	v_add_nc_u32_e32 v14, 0x400, v14
	s_delay_alu instid0(VALU_DEP_2) | instskip(SKIP_1) | instid1(SALU_CYCLE_1)
	v_cmp_le_i32_e32 vcc_lo, s27, v15
	s_or_b32 s3, vcc_lo, s3
	s_and_not1_b32 exec_lo, exec_lo, s3
	s_cbranch_execz .LBB1_17
.LBB1_43:                               ;   Parent Loop BB1_18 Depth=1
                                        ; =>  This Loop Header: Depth=2
                                        ;       Child Loop BB1_45 Depth 3
	s_and_not1_b32 vcc_lo, exec_lo, s29
	s_cbranch_vccnz .LBB1_42
; %bb.44:                               ;   in Loop: Header=BB1_43 Depth=2
	v_lshl_add_u32 v16, v15, 2, s28
	v_mov_b32_e32 v17, v14
	s_mov_b32 s30, 1
	s_mov_b32 s31, s18
.LBB1_45:                               ;   Parent Loop BB1_18 Depth=1
                                        ;     Parent Loop BB1_43 Depth=2
                                        ; =>    This Inner Loop Header: Depth=3
	s_delay_alu instid0(SALU_CYCLE_1)
	v_mov_b32_e32 v18, s31
	s_add_co_i32 s30, s30, 1
	s_add_co_i32 s31, s31, 4
	ds_load_b32 v19, v17
	ds_load_b32 v20, v16
	ds_load_b32 v18, v18
	s_cmp_eq_u32 s25, s30
	s_wait_dscnt 0x0
	v_fma_f32 v18, -v20, v18, v19
	ds_store_b32 v17, v18
	v_add_nc_u32_e32 v17, s7, v17
	s_cbranch_scc0 .LBB1_45
	s_branch .LBB1_42
.LBB1_46:                               ;   in Loop: Header=BB1_18 Depth=1
	v_mov_b32_e32 v14, s19
	s_and_b32 vcc_lo, exec_lo, s6
	ds_store_b32 v14, v13
	s_cbranch_vccz .LBB1_48
; %bb.47:                               ;   in Loop: Header=BB1_18 Depth=1
	v_mov_b32_e32 v14, s28
	s_mov_b32 s31, -1
	ds_load_b32 v14, v14
	s_branch .LBB1_49
.LBB1_48:                               ;   in Loop: Header=BB1_18 Depth=1
                                        ; implicit-def: $vgpr14
.LBB1_49:                               ;   in Loop: Header=BB1_18 Depth=1
	s_and_b32 s31, s31, exec_lo
                                        ; implicit-def: $vgpr16
	s_or_saveexec_b32 s33, s33
	v_mov_b32_e32 v15, 1.0
	s_xor_b32 exec_lo, exec_lo, s33
	s_cbranch_execz .LBB1_27
.LBB1_50:                               ;   in Loop: Header=BB1_18 Depth=1
	s_wait_dscnt 0x0
	v_mov_b32_e32 v14, s28
	s_and_not1_b32 s31, s31, exec_lo
	s_and_b32 s34, s6, exec_lo
	s_delay_alu instid0(SALU_CYCLE_1) | instskip(SKIP_3) | instid1(VALU_DEP_1)
	s_or_b32 s31, s31, s34
	ds_load_b32 v15, v14
	s_wait_dscnt 0x0
	v_fmac_f32_e32 v16, v15, v15
	v_mul_f32_e32 v14, 0x4f800000, v16
	v_cmp_gt_f32_e32 vcc_lo, 0xf800000, v16
	s_delay_alu instid0(VALU_DEP_2) | instskip(NEXT) | instid1(VALU_DEP_1)
	v_cndmask_b32_e32 v14, v16, v14, vcc_lo
	v_sqrt_f32_e32 v16, v14
	v_nop
	s_delay_alu instid0(TRANS32_DEP_1) | instskip(NEXT) | instid1(VALU_DEP_1)
	v_dual_add_nc_u32 v17, -1, v16 :: v_dual_add_nc_u32 v18, 1, v16
	v_dual_fma_f32 v19, -v17, v16, v14 :: v_dual_fma_f32 v20, -v18, v16, v14
	s_delay_alu instid0(VALU_DEP_1) | instskip(NEXT) | instid1(VALU_DEP_1)
	v_cmp_ge_f32_e64 s4, 0, v19
	v_cndmask_b32_e64 v16, v16, v17, s4
	s_delay_alu instid0(VALU_DEP_3) | instskip(NEXT) | instid1(VALU_DEP_1)
	v_cmp_lt_f32_e64 s4, 0, v20
	v_cndmask_b32_e64 v16, v16, v18, s4
	s_delay_alu instid0(VALU_DEP_1) | instskip(NEXT) | instid1(VALU_DEP_1)
	v_mul_f32_e32 v17, 0x37800000, v16
	v_cndmask_b32_e32 v16, v16, v17, vcc_lo
	v_cmp_class_f32_e64 vcc_lo, v14, 0x260
	s_delay_alu instid0(VALU_DEP_2) | instskip(SKIP_1) | instid1(VALU_DEP_2)
	v_cndmask_b32_e32 v14, v16, v14, vcc_lo
	v_cmp_le_f32_e32 vcc_lo, 0, v15
	v_cndmask_b32_e64 v14, v14, -v14, vcc_lo
	s_delay_alu instid0(VALU_DEP_1) | instskip(NEXT) | instid1(VALU_DEP_1)
	v_sub_f32_e32 v17, v14, v15
	v_div_scale_f32 v18, null, v14, v14, v17
	s_delay_alu instid0(VALU_DEP_1) | instskip(SKIP_1) | instid1(TRANS32_DEP_1)
	v_rcp_f32_e32 v20, v18
	v_nop
	v_fma_f32 v22, -v18, v20, 1.0
	s_delay_alu instid0(VALU_DEP_1) | instskip(NEXT) | instid1(VALU_DEP_1)
	v_dual_sub_f32 v16, v15, v14 :: v_dual_fmac_f32 v20, v22, v20
	v_div_scale_f32 v15, null, v16, v16, 1.0
	v_div_scale_f32 v23, vcc_lo, 1.0, v16, 1.0
	s_delay_alu instid0(VALU_DEP_2) | instskip(SKIP_1) | instid1(TRANS32_DEP_1)
	v_rcp_f32_e32 v19, v15
	v_nop
	v_fma_f32 v21, -v15, v19, 1.0
	s_delay_alu instid0(VALU_DEP_1) | instskip(SKIP_1) | instid1(VALU_DEP_1)
	v_fmac_f32_e32 v19, v21, v19
	v_div_scale_f32 v21, s4, v17, v14, v17
	v_dual_mul_f32 v22, v23, v19 :: v_dual_mul_f32 v24, v21, v20
	s_delay_alu instid0(VALU_DEP_1) | instskip(NEXT) | instid1(VALU_DEP_1)
	v_dual_fma_f32 v25, -v15, v22, v23 :: v_dual_fma_f32 v26, -v18, v24, v21
	v_dual_fmac_f32 v22, v25, v19 :: v_dual_fmac_f32 v24, v26, v20
	s_delay_alu instid0(VALU_DEP_1) | instskip(NEXT) | instid1(VALU_DEP_1)
	v_dual_fma_f32 v15, -v15, v22, v23 :: v_dual_fma_f32 v18, -v18, v24, v21
	v_div_fmas_f32 v15, v15, v19, v22
	s_mov_b32 vcc_lo, s4
	s_and_b32 s4, s20, exec_lo
	s_delay_alu instid0(VALU_DEP_2) | instskip(NEXT) | instid1(VALU_DEP_2)
	v_div_fmas_f32 v18, v18, v20, v24
	v_div_fixup_f32 v15, v15, v16, 1.0
	s_delay_alu instid0(VALU_DEP_2)
	v_div_fixup_f32 v16, v18, v14, v17
	v_mov_b32_e32 v17, s19
	ds_store_b32 v17, v16
	s_or_b32 exec_lo, exec_lo, s33
	s_and_saveexec_b32 s33, s31
	s_cbranch_execz .LBB1_28
.LBB1_51:                               ;   in Loop: Header=BB1_18 Depth=1
	s_lshl_b64 s[34:35], s[14:15], 2
	s_or_b32 s4, s4, exec_lo
	s_add_nc_u64 s[34:35], s[8:9], s[34:35]
	s_wait_dscnt 0x0
	global_store_b32 v13, v14, s[34:35]
	s_wait_xcnt 0x0
	v_mov_b32_e32 v14, 1.0
	s_or_b32 exec_lo, exec_lo, s33
	v_mov_b32_e32 v16, 0
	s_and_saveexec_b32 s31, s4
	s_cbranch_execnz .LBB1_29
	s_branch .LBB1_30
.LBB1_52:
	s_and_saveexec_b32 s1, s0
	s_cbranch_execz .LBB1_67
; %bb.53:
	v_xad_u32 v1, v4, -1, s17
	v_mul_lo_u32 v0, s22, v4
	s_lshl_b32 s5, s22, 1
	s_mov_b32 s6, 0
	s_sub_co_i32 s0, 0, s5
	v_lshrrev_b32_e32 v5, 1, v1
	s_cmp_lt_i32 s5, 0
	v_cmp_gt_u32_e64 s7, 30, v1
	s_cselect_b32 vcc_lo, -1, 0
	s_mov_b32 s8, s16
	v_add_nc_u32_e32 v6, 1, v5
	s_and_b32 s1, vcc_lo, exec_lo
	v_add_nc_u32_e32 v10, v0, v2
	s_cselect_b32 s2, s0, s5
	v_cmp_gt_i32_e64 s0, s17, v4
	v_and_b32_e32 v8, -2, v6
	v_mul_hi_u32 v7, s2, v5
	v_mul_lo_u32 v11, s2, v5
	v_cmp_lt_u32_e64 s1, 29, v1
	v_or_b32_e32 v5, 2, v4
	v_lshl_or_b32 v9, v8, 1, v4
	v_cmp_ne_u32_e64 s3, v6, v8
	s_mov_b32 s9, s16
	s_mov_b32 s10, s22
	s_lshl_b32 s11, s16, 2
	v_mul_lo_u32 v12, s22, v9
	s_lshl_b32 s14, s16, 3
	v_cmp_ne_u32_e64 s2, 0, v7
	s_mov_b32 s15, 0
	s_branch .LBB1_55
.LBB1_54:                               ;   in Loop: Header=BB1_55 Depth=1
	s_or_b32 exec_lo, exec_lo, s18
	v_add_nc_u32_e32 v2, 0x80, v2
	v_add_nc_u32_e32 v3, 0x200, v3
	s_add_co_i32 s15, s15, 1
	s_delay_alu instid0(VALU_DEP_2) | instskip(SKIP_1) | instid1(SALU_CYCLE_1)
	v_cmp_le_i32_e64 s4, s16, v2
	s_or_b32 s6, s4, s6
	s_and_not1_b32 exec_lo, exec_lo, s6
	s_cbranch_execz .LBB1_67
.LBB1_55:                               ; =>This Loop Header: Depth=1
                                        ;     Child Loop BB1_59 Depth 2
                                        ;     Child Loop BB1_66 Depth 2
	s_and_saveexec_b32 s18, s0
	s_cbranch_execz .LBB1_54
; %bb.56:                               ;   in Loop: Header=BB1_55 Depth=1
	v_dual_mov_b32 v1, v4 :: v_dual_mov_b32 v6, v0
	s_mov_b32 s4, s7
	s_and_saveexec_b32 s19, s1
	s_cbranch_execz .LBB1_64
; %bb.57:                               ;   in Loop: Header=BB1_55 Depth=1
	v_lshl_add_u32 v1, s15, 7, v10
	s_delay_alu instid0(VALU_DEP_1) | instskip(NEXT) | instid1(VALU_DEP_1)
	v_dual_sub_nc_u32 v6, v1, v11 :: v_dual_add_nc_u32 v7, v1, v11
	v_cmp_gt_i32_e64 s4, v6, v1
	s_delay_alu instid0(VALU_DEP_1) | instskip(NEXT) | instid1(VALU_DEP_3)
	v_cndmask_b32_e64 v6, 0, 1, s4
	v_cmp_lt_i32_e64 s4, v7, v1
	s_delay_alu instid0(VALU_DEP_1) | instskip(NEXT) | instid1(VALU_DEP_1)
	v_cndmask_b32_e64 v1, 0, 1, s4
	v_dual_cndmask_b32 v1, v1, v6 :: v_dual_mov_b32 v6, v0
	s_delay_alu instid0(VALU_DEP_1) | instskip(NEXT) | instid1(VALU_DEP_1)
	v_and_b32_e32 v1, 1, v1
	v_cmp_eq_u32_e64 s4, 1, v1
	v_mov_b32_e32 v1, v4
	s_nor_b32 s21, s4, s2
	s_mov_b32 s4, -1
	s_and_saveexec_b32 s20, s21
	s_cbranch_execz .LBB1_63
; %bb.58:                               ;   in Loop: Header=BB1_55 Depth=1
	v_mov_b64_e32 v[6:7], v[4:5]
	v_lshl_add_u32 v13, v2, 2, 0
	v_dual_mov_b32 v1, v2 :: v_dual_mov_b32 v14, v8
	s_mov_b32 s21, 0
.LBB1_59:                               ;   Parent Loop BB1_55 Depth=1
                                        ; =>  This Inner Loop Header: Depth=2
	s_delay_alu instid0(VALU_DEP_3) | instskip(NEXT) | instid1(VALU_DEP_4)
	v_mul_lo_u32 v15, v6, s8
	v_mul_lo_u32 v16, v7, s9
	s_delay_alu instid0(VALU_DEP_3) | instskip(SKIP_3) | instid1(VALU_DEP_4)
	v_add_nc_u32_e32 v14, -2, v14
	v_mad_u32 v17, v6, s22, v2
	v_mad_u32 v18, v7, s10, v1
	v_dual_add_nc_u32 v7, 4, v7 :: v_dual_add_nc_u32 v6, 4, v6
	v_cmp_eq_u32_e64 s4, 0, v14
	v_lshl_add_u32 v15, v15, 2, v13
	v_lshl_add_u32 v16, v16, 2, v13
	s_or_b32 s21, s4, s21
	ds_load_b32 v15, v15
	ds_load_b32 v16, v16
	s_wait_dscnt 0x1
	global_store_b32 v17, v15, s[12:13] scale_offset
	s_wait_dscnt 0x0
	global_store_b32 v18, v16, s[12:13] scale_offset
	s_wait_xcnt 0x0
	s_and_not1_b32 exec_lo, exec_lo, s21
	s_cbranch_execnz .LBB1_59
; %bb.60:                               ;   in Loop: Header=BB1_55 Depth=1
	s_or_b32 exec_lo, exec_lo, s21
	s_mov_b32 s4, 0
	s_and_saveexec_b32 s21, s3
; %bb.61:                               ;   in Loop: Header=BB1_55 Depth=1
	s_mov_b32 s4, exec_lo
; %bb.62:                               ;   in Loop: Header=BB1_55 Depth=1
	s_or_b32 exec_lo, exec_lo, s21
	v_dual_mov_b32 v1, v9 :: v_dual_mov_b32 v6, v12
	s_or_not1_b32 s4, s4, exec_lo
.LBB1_63:                               ;   in Loop: Header=BB1_55 Depth=1
	s_or_b32 exec_lo, exec_lo, s20
	s_delay_alu instid0(SALU_CYCLE_1) | instskip(SKIP_1) | instid1(SALU_CYCLE_1)
	s_and_not1_b32 s20, s7, exec_lo
	s_and_b32 s4, s4, exec_lo
	s_or_b32 s4, s20, s4
.LBB1_64:                               ;   in Loop: Header=BB1_55 Depth=1
	s_or_b32 exec_lo, exec_lo, s19
	s_delay_alu instid0(SALU_CYCLE_1)
	s_and_b32 exec_lo, exec_lo, s4
	s_cbranch_execz .LBB1_54
; %bb.65:                               ;   in Loop: Header=BB1_55 Depth=1
	v_mad_u32 v7, s11, v1, v3
	v_add_nc_u32_e32 v6, v2, v6
	s_mov_b32 s19, 0
.LBB1_66:                               ;   Parent Loop BB1_55 Depth=1
                                        ; =>  This Inner Loop Header: Depth=2
	ds_load_b32 v13, v7
	v_dual_add_nc_u32 v1, 2, v1 :: v_dual_add_nc_u32 v7, s14, v7
	s_delay_alu instid0(VALU_DEP_1)
	v_cmp_le_i32_e64 s4, s17, v1
	s_or_b32 s19, s4, s19
	s_wait_dscnt 0x0
	global_store_b32 v6, v13, s[12:13] scale_offset
	s_wait_xcnt 0x0
	v_add_nc_u32_e32 v6, s5, v6
	s_and_not1_b32 exec_lo, exec_lo, s19
	s_cbranch_execnz .LBB1_66
	s_branch .LBB1_54
.LBB1_67:
	s_endpgm
	.section	.rodata,"a",@progbits
	.p2align	6, 0x0
	.amdhsa_kernel _ZN9rocsolver6v33100L18geqr2_kernel_smallILi256EfifPfEEvT1_S3_T3_lS3_lPT2_lPT0_l
		.amdhsa_group_segment_fixed_size 0
		.amdhsa_private_segment_fixed_size 0
		.amdhsa_kernarg_size 72
		.amdhsa_user_sgpr_count 2
		.amdhsa_user_sgpr_dispatch_ptr 0
		.amdhsa_user_sgpr_queue_ptr 0
		.amdhsa_user_sgpr_kernarg_segment_ptr 1
		.amdhsa_user_sgpr_dispatch_id 0
		.amdhsa_user_sgpr_kernarg_preload_length 0
		.amdhsa_user_sgpr_kernarg_preload_offset 0
		.amdhsa_user_sgpr_private_segment_size 0
		.amdhsa_wavefront_size32 1
		.amdhsa_uses_dynamic_stack 0
		.amdhsa_enable_private_segment 0
		.amdhsa_system_sgpr_workgroup_id_x 1
		.amdhsa_system_sgpr_workgroup_id_y 0
		.amdhsa_system_sgpr_workgroup_id_z 1
		.amdhsa_system_sgpr_workgroup_info 0
		.amdhsa_system_vgpr_workitem_id 0
		.amdhsa_next_free_vgpr 27
		.amdhsa_next_free_sgpr 36
		.amdhsa_named_barrier_count 0
		.amdhsa_reserve_vcc 1
		.amdhsa_float_round_mode_32 0
		.amdhsa_float_round_mode_16_64 0
		.amdhsa_float_denorm_mode_32 3
		.amdhsa_float_denorm_mode_16_64 3
		.amdhsa_fp16_overflow 0
		.amdhsa_memory_ordered 1
		.amdhsa_forward_progress 1
		.amdhsa_inst_pref_size 27
		.amdhsa_round_robin_scheduling 0
		.amdhsa_exception_fp_ieee_invalid_op 0
		.amdhsa_exception_fp_denorm_src 0
		.amdhsa_exception_fp_ieee_div_zero 0
		.amdhsa_exception_fp_ieee_overflow 0
		.amdhsa_exception_fp_ieee_underflow 0
		.amdhsa_exception_fp_ieee_inexact 0
		.amdhsa_exception_int_div_zero 0
	.end_amdhsa_kernel
	.section	.text._ZN9rocsolver6v33100L18geqr2_kernel_smallILi256EfifPfEEvT1_S3_T3_lS3_lPT2_lPT0_l,"axG",@progbits,_ZN9rocsolver6v33100L18geqr2_kernel_smallILi256EfifPfEEvT1_S3_T3_lS3_lPT2_lPT0_l,comdat
.Lfunc_end1:
	.size	_ZN9rocsolver6v33100L18geqr2_kernel_smallILi256EfifPfEEvT1_S3_T3_lS3_lPT2_lPT0_l, .Lfunc_end1-_ZN9rocsolver6v33100L18geqr2_kernel_smallILi256EfifPfEEvT1_S3_T3_lS3_lPT2_lPT0_l
                                        ; -- End function
	.set _ZN9rocsolver6v33100L18geqr2_kernel_smallILi256EfifPfEEvT1_S3_T3_lS3_lPT2_lPT0_l.num_vgpr, 27
	.set _ZN9rocsolver6v33100L18geqr2_kernel_smallILi256EfifPfEEvT1_S3_T3_lS3_lPT2_lPT0_l.num_agpr, 0
	.set _ZN9rocsolver6v33100L18geqr2_kernel_smallILi256EfifPfEEvT1_S3_T3_lS3_lPT2_lPT0_l.numbered_sgpr, 36
	.set _ZN9rocsolver6v33100L18geqr2_kernel_smallILi256EfifPfEEvT1_S3_T3_lS3_lPT2_lPT0_l.num_named_barrier, 0
	.set _ZN9rocsolver6v33100L18geqr2_kernel_smallILi256EfifPfEEvT1_S3_T3_lS3_lPT2_lPT0_l.private_seg_size, 0
	.set _ZN9rocsolver6v33100L18geqr2_kernel_smallILi256EfifPfEEvT1_S3_T3_lS3_lPT2_lPT0_l.uses_vcc, 1
	.set _ZN9rocsolver6v33100L18geqr2_kernel_smallILi256EfifPfEEvT1_S3_T3_lS3_lPT2_lPT0_l.uses_flat_scratch, 0
	.set _ZN9rocsolver6v33100L18geqr2_kernel_smallILi256EfifPfEEvT1_S3_T3_lS3_lPT2_lPT0_l.has_dyn_sized_stack, 0
	.set _ZN9rocsolver6v33100L18geqr2_kernel_smallILi256EfifPfEEvT1_S3_T3_lS3_lPT2_lPT0_l.has_recursion, 0
	.set _ZN9rocsolver6v33100L18geqr2_kernel_smallILi256EfifPfEEvT1_S3_T3_lS3_lPT2_lPT0_l.has_indirect_call, 0
	.section	.AMDGPU.csdata,"",@progbits
; Kernel info:
; codeLenInByte = 3444
; TotalNumSgprs: 38
; NumVgprs: 27
; ScratchSize: 0
; MemoryBound: 0
; FloatMode: 240
; IeeeMode: 1
; LDSByteSize: 0 bytes/workgroup (compile time only)
; SGPRBlocks: 0
; VGPRBlocks: 1
; NumSGPRsForWavesPerEU: 38
; NumVGPRsForWavesPerEU: 27
; NamedBarCnt: 0
; Occupancy: 16
; WaveLimiterHint : 0
; COMPUTE_PGM_RSRC2:SCRATCH_EN: 0
; COMPUTE_PGM_RSRC2:USER_SGPR: 2
; COMPUTE_PGM_RSRC2:TRAP_HANDLER: 0
; COMPUTE_PGM_RSRC2:TGID_X_EN: 1
; COMPUTE_PGM_RSRC2:TGID_Y_EN: 0
; COMPUTE_PGM_RSRC2:TGID_Z_EN: 1
; COMPUTE_PGM_RSRC2:TIDIG_COMP_CNT: 0
	.section	.text._ZN9rocsolver6v33100L16reset_batch_infoIfiiPfEEvT2_lT0_T1_,"axG",@progbits,_ZN9rocsolver6v33100L16reset_batch_infoIfiiPfEEvT2_lT0_T1_,comdat
	.globl	_ZN9rocsolver6v33100L16reset_batch_infoIfiiPfEEvT2_lT0_T1_ ; -- Begin function _ZN9rocsolver6v33100L16reset_batch_infoIfiiPfEEvT2_lT0_T1_
	.p2align	8
	.type	_ZN9rocsolver6v33100L16reset_batch_infoIfiiPfEEvT2_lT0_T1_,@function
_ZN9rocsolver6v33100L16reset_batch_infoIfiiPfEEvT2_lT0_T1_: ; @_ZN9rocsolver6v33100L16reset_batch_infoIfiiPfEEvT2_lT0_T1_
; %bb.0:
	s_clause 0x1
	s_load_b32 s5, s[0:1], 0x24
	s_load_b64 s[2:3], s[0:1], 0x10
	s_bfe_u32 s4, ttmp6, 0x4000c
	s_and_b32 s6, ttmp6, 15
	s_add_co_i32 s7, s4, 1
	s_getreg_b32 s4, hwreg(HW_REG_IB_STS2, 6, 4)
	s_mul_i32 s7, ttmp9, s7
	s_delay_alu instid0(SALU_CYCLE_1) | instskip(SKIP_4) | instid1(SALU_CYCLE_1)
	s_add_co_i32 s6, s6, s7
	s_wait_kmcnt 0x0
	s_and_b32 s5, s5, 0xffff
	s_cmp_eq_u32 s4, 0
	s_cselect_b32 s6, ttmp9, s6
	v_mad_u32 v0, s6, s5, v0
	s_delay_alu instid0(VALU_DEP_1)
	v_cmp_gt_i32_e32 vcc_lo, s2, v0
	s_and_saveexec_b32 s2, vcc_lo
	s_cbranch_execz .LBB2_2
; %bb.1:
	s_load_b128 s[8:11], s[0:1], 0x0
	s_wait_xcnt 0x0
	s_bfe_u32 s0, ttmp6, 0x40010
	s_bfe_u32 s1, ttmp6, 0x40004
	s_add_co_i32 s0, s0, 1
	s_cvt_f32_i32 s2, s3
	s_mul_i32 s0, ttmp7, s0
	s_delay_alu instid0(SALU_CYCLE_1) | instskip(SKIP_3) | instid1(SALU_CYCLE_1)
	s_add_co_i32 s1, s1, s0
	s_cmp_eq_u32 s4, 0
	v_mov_b32_e32 v1, s2
	s_cselect_b32 s0, ttmp7, s1
	s_ashr_i32 s1, s0, 31
	s_wait_kmcnt 0x0
	s_mul_u64 s[0:1], s[10:11], s[0:1]
	s_delay_alu instid0(SALU_CYCLE_1) | instskip(NEXT) | instid1(SALU_CYCLE_1)
	s_lshl_b64 s[0:1], s[0:1], 2
	s_add_nc_u64 s[0:1], s[8:9], s[0:1]
	global_store_b32 v0, v1, s[0:1] scale_offset
.LBB2_2:
	s_endpgm
	.section	.rodata,"a",@progbits
	.p2align	6, 0x0
	.amdhsa_kernel _ZN9rocsolver6v33100L16reset_batch_infoIfiiPfEEvT2_lT0_T1_
		.amdhsa_group_segment_fixed_size 0
		.amdhsa_private_segment_fixed_size 0
		.amdhsa_kernarg_size 280
		.amdhsa_user_sgpr_count 2
		.amdhsa_user_sgpr_dispatch_ptr 0
		.amdhsa_user_sgpr_queue_ptr 0
		.amdhsa_user_sgpr_kernarg_segment_ptr 1
		.amdhsa_user_sgpr_dispatch_id 0
		.amdhsa_user_sgpr_kernarg_preload_length 0
		.amdhsa_user_sgpr_kernarg_preload_offset 0
		.amdhsa_user_sgpr_private_segment_size 0
		.amdhsa_wavefront_size32 1
		.amdhsa_uses_dynamic_stack 0
		.amdhsa_enable_private_segment 0
		.amdhsa_system_sgpr_workgroup_id_x 1
		.amdhsa_system_sgpr_workgroup_id_y 1
		.amdhsa_system_sgpr_workgroup_id_z 0
		.amdhsa_system_sgpr_workgroup_info 0
		.amdhsa_system_vgpr_workitem_id 0
		.amdhsa_next_free_vgpr 2
		.amdhsa_next_free_sgpr 12
		.amdhsa_named_barrier_count 0
		.amdhsa_reserve_vcc 1
		.amdhsa_float_round_mode_32 0
		.amdhsa_float_round_mode_16_64 0
		.amdhsa_float_denorm_mode_32 3
		.amdhsa_float_denorm_mode_16_64 3
		.amdhsa_fp16_overflow 0
		.amdhsa_memory_ordered 1
		.amdhsa_forward_progress 1
		.amdhsa_inst_pref_size 2
		.amdhsa_round_robin_scheduling 0
		.amdhsa_exception_fp_ieee_invalid_op 0
		.amdhsa_exception_fp_denorm_src 0
		.amdhsa_exception_fp_ieee_div_zero 0
		.amdhsa_exception_fp_ieee_overflow 0
		.amdhsa_exception_fp_ieee_underflow 0
		.amdhsa_exception_fp_ieee_inexact 0
		.amdhsa_exception_int_div_zero 0
	.end_amdhsa_kernel
	.section	.text._ZN9rocsolver6v33100L16reset_batch_infoIfiiPfEEvT2_lT0_T1_,"axG",@progbits,_ZN9rocsolver6v33100L16reset_batch_infoIfiiPfEEvT2_lT0_T1_,comdat
.Lfunc_end2:
	.size	_ZN9rocsolver6v33100L16reset_batch_infoIfiiPfEEvT2_lT0_T1_, .Lfunc_end2-_ZN9rocsolver6v33100L16reset_batch_infoIfiiPfEEvT2_lT0_T1_
                                        ; -- End function
	.set _ZN9rocsolver6v33100L16reset_batch_infoIfiiPfEEvT2_lT0_T1_.num_vgpr, 2
	.set _ZN9rocsolver6v33100L16reset_batch_infoIfiiPfEEvT2_lT0_T1_.num_agpr, 0
	.set _ZN9rocsolver6v33100L16reset_batch_infoIfiiPfEEvT2_lT0_T1_.numbered_sgpr, 12
	.set _ZN9rocsolver6v33100L16reset_batch_infoIfiiPfEEvT2_lT0_T1_.num_named_barrier, 0
	.set _ZN9rocsolver6v33100L16reset_batch_infoIfiiPfEEvT2_lT0_T1_.private_seg_size, 0
	.set _ZN9rocsolver6v33100L16reset_batch_infoIfiiPfEEvT2_lT0_T1_.uses_vcc, 1
	.set _ZN9rocsolver6v33100L16reset_batch_infoIfiiPfEEvT2_lT0_T1_.uses_flat_scratch, 0
	.set _ZN9rocsolver6v33100L16reset_batch_infoIfiiPfEEvT2_lT0_T1_.has_dyn_sized_stack, 0
	.set _ZN9rocsolver6v33100L16reset_batch_infoIfiiPfEEvT2_lT0_T1_.has_recursion, 0
	.set _ZN9rocsolver6v33100L16reset_batch_infoIfiiPfEEvT2_lT0_T1_.has_indirect_call, 0
	.section	.AMDGPU.csdata,"",@progbits
; Kernel info:
; codeLenInByte = 196
; TotalNumSgprs: 14
; NumVgprs: 2
; ScratchSize: 0
; MemoryBound: 0
; FloatMode: 240
; IeeeMode: 1
; LDSByteSize: 0 bytes/workgroup (compile time only)
; SGPRBlocks: 0
; VGPRBlocks: 0
; NumSGPRsForWavesPerEU: 14
; NumVGPRsForWavesPerEU: 2
; NamedBarCnt: 0
; Occupancy: 16
; WaveLimiterHint : 0
; COMPUTE_PGM_RSRC2:SCRATCH_EN: 0
; COMPUTE_PGM_RSRC2:USER_SGPR: 2
; COMPUTE_PGM_RSRC2:TRAP_HANDLER: 0
; COMPUTE_PGM_RSRC2:TGID_X_EN: 1
; COMPUTE_PGM_RSRC2:TGID_Y_EN: 1
; COMPUTE_PGM_RSRC2:TGID_Z_EN: 0
; COMPUTE_PGM_RSRC2:TIDIG_COMP_CNT: 0
	.section	.text._ZN9rocsolver6v33100L8set_diagIfifPfTnNSt9enable_ifIXoont18rocblas_is_complexIT_E18rocblas_is_complexIT1_EEiE4typeELi0EEEvPS5_llT2_lT0_lSA_b,"axG",@progbits,_ZN9rocsolver6v33100L8set_diagIfifPfTnNSt9enable_ifIXoont18rocblas_is_complexIT_E18rocblas_is_complexIT1_EEiE4typeELi0EEEvPS5_llT2_lT0_lSA_b,comdat
	.globl	_ZN9rocsolver6v33100L8set_diagIfifPfTnNSt9enable_ifIXoont18rocblas_is_complexIT_E18rocblas_is_complexIT1_EEiE4typeELi0EEEvPS5_llT2_lT0_lSA_b ; -- Begin function _ZN9rocsolver6v33100L8set_diagIfifPfTnNSt9enable_ifIXoont18rocblas_is_complexIT_E18rocblas_is_complexIT1_EEiE4typeELi0EEEvPS5_llT2_lT0_lSA_b
	.p2align	8
	.type	_ZN9rocsolver6v33100L8set_diagIfifPfTnNSt9enable_ifIXoont18rocblas_is_complexIT_E18rocblas_is_complexIT1_EEiE4typeELi0EEEvPS5_llT2_lT0_lSA_b,@function
_ZN9rocsolver6v33100L8set_diagIfifPfTnNSt9enable_ifIXoont18rocblas_is_complexIT_E18rocblas_is_complexIT1_EEiE4typeELi0EEEvPS5_llT2_lT0_lSA_b: ; @_ZN9rocsolver6v33100L8set_diagIfifPfTnNSt9enable_ifIXoont18rocblas_is_complexIT_E18rocblas_is_complexIT1_EEiE4typeELi0EEEvPS5_llT2_lT0_lSA_b
; %bb.0:
	s_load_u16 s5, s[0:1], 0x4e
	s_bfe_u32 s2, ttmp6, 0x40010
	s_bfe_u32 s6, ttmp6, 0x40004
	s_add_co_i32 s4, s2, 1
	s_load_b64 s[2:3], s[0:1], 0x38
	s_mul_i32 s4, ttmp7, s4
	v_bfe_u32 v0, v0, 10, 10
	s_add_co_i32 s6, s6, s4
	s_getreg_b32 s4, hwreg(HW_REG_IB_STS2, 6, 4)
	s_delay_alu instid0(SALU_CYCLE_1) | instskip(SKIP_3) | instid1(VALU_DEP_1)
	s_cmp_eq_u32 s4, 0
	s_cselect_b32 s6, ttmp7, s6
	s_wait_kmcnt 0x0
	v_mad_u32 v0, s6, s5, v0
	v_cmp_gt_i32_e32 vcc_lo, s2, v0
	s_and_saveexec_b32 s2, vcc_lo
	s_cbranch_execz .LBB3_2
; %bb.1:
	s_clause 0x2
	s_load_b96 s[16:18], s[0:1], 0x20
	s_load_b64 s[6:7], s[0:1], 0x30
	s_load_b256 s[8:15], s[0:1], 0x0
	s_bitcmp1_b32 s3, 0
	s_cselect_b32 s19, -1, 0
	s_wait_xcnt 0x0
	s_bfe_u32 s0, ttmp6, 0x4000c
	s_and_b32 s1, ttmp6, 15
	s_add_co_i32 s0, s0, 1
	s_delay_alu instid0(SALU_CYCLE_1) | instskip(NEXT) | instid1(SALU_CYCLE_1)
	s_mul_i32 s0, ttmp9, s0
	s_add_co_i32 s1, s1, s0
	s_cmp_eq_u32 s4, 0
	s_cselect_b32 s0, ttmp9, s1
	s_delay_alu instid0(SALU_CYCLE_1)
	s_ashr_i32 s1, s0, 31
	s_wait_kmcnt 0x0
	v_mad_u32 v1, v0, s18, v0
	s_mul_u64 s[2:3], s[6:7], s[0:1]
	s_lshl_b64 s[4:5], s[16:17], 2
	s_lshl_b64 s[2:3], s[2:3], 2
	s_mul_u64 s[0:1], s[12:13], s[0:1]
	s_add_nc_u64 s[2:3], s[14:15], s[2:3]
	s_lshl_b64 s[0:1], s[0:1], 2
	s_add_nc_u64 s[2:3], s[2:3], s[4:5]
	s_add_nc_u64 s[0:1], s[8:9], s[0:1]
	s_lshl_b64 s[4:5], s[10:11], 2
	s_delay_alu instid0(SALU_CYCLE_1)
	s_add_nc_u64 s[0:1], s[0:1], s[4:5]
	global_load_b32 v2, v1, s[2:3] scale_offset
	s_wait_loadcnt 0x0
	v_cndmask_b32_e64 v3, v2, 1.0, s19
	global_store_b32 v0, v2, s[0:1] scale_offset
	global_store_b32 v1, v3, s[2:3] scale_offset
.LBB3_2:
	s_endpgm
	.section	.rodata,"a",@progbits
	.p2align	6, 0x0
	.amdhsa_kernel _ZN9rocsolver6v33100L8set_diagIfifPfTnNSt9enable_ifIXoont18rocblas_is_complexIT_E18rocblas_is_complexIT1_EEiE4typeELi0EEEvPS5_llT2_lT0_lSA_b
		.amdhsa_group_segment_fixed_size 0
		.amdhsa_private_segment_fixed_size 0
		.amdhsa_kernarg_size 320
		.amdhsa_user_sgpr_count 2
		.amdhsa_user_sgpr_dispatch_ptr 0
		.amdhsa_user_sgpr_queue_ptr 0
		.amdhsa_user_sgpr_kernarg_segment_ptr 1
		.amdhsa_user_sgpr_dispatch_id 0
		.amdhsa_user_sgpr_kernarg_preload_length 0
		.amdhsa_user_sgpr_kernarg_preload_offset 0
		.amdhsa_user_sgpr_private_segment_size 0
		.amdhsa_wavefront_size32 1
		.amdhsa_uses_dynamic_stack 0
		.amdhsa_enable_private_segment 0
		.amdhsa_system_sgpr_workgroup_id_x 1
		.amdhsa_system_sgpr_workgroup_id_y 1
		.amdhsa_system_sgpr_workgroup_id_z 0
		.amdhsa_system_sgpr_workgroup_info 0
		.amdhsa_system_vgpr_workitem_id 1
		.amdhsa_next_free_vgpr 4
		.amdhsa_next_free_sgpr 20
		.amdhsa_named_barrier_count 0
		.amdhsa_reserve_vcc 1
		.amdhsa_float_round_mode_32 0
		.amdhsa_float_round_mode_16_64 0
		.amdhsa_float_denorm_mode_32 3
		.amdhsa_float_denorm_mode_16_64 3
		.amdhsa_fp16_overflow 0
		.amdhsa_memory_ordered 1
		.amdhsa_forward_progress 1
		.amdhsa_inst_pref_size 3
		.amdhsa_round_robin_scheduling 0
		.amdhsa_exception_fp_ieee_invalid_op 0
		.amdhsa_exception_fp_denorm_src 0
		.amdhsa_exception_fp_ieee_div_zero 0
		.amdhsa_exception_fp_ieee_overflow 0
		.amdhsa_exception_fp_ieee_underflow 0
		.amdhsa_exception_fp_ieee_inexact 0
		.amdhsa_exception_int_div_zero 0
	.end_amdhsa_kernel
	.section	.text._ZN9rocsolver6v33100L8set_diagIfifPfTnNSt9enable_ifIXoont18rocblas_is_complexIT_E18rocblas_is_complexIT1_EEiE4typeELi0EEEvPS5_llT2_lT0_lSA_b,"axG",@progbits,_ZN9rocsolver6v33100L8set_diagIfifPfTnNSt9enable_ifIXoont18rocblas_is_complexIT_E18rocblas_is_complexIT1_EEiE4typeELi0EEEvPS5_llT2_lT0_lSA_b,comdat
.Lfunc_end3:
	.size	_ZN9rocsolver6v33100L8set_diagIfifPfTnNSt9enable_ifIXoont18rocblas_is_complexIT_E18rocblas_is_complexIT1_EEiE4typeELi0EEEvPS5_llT2_lT0_lSA_b, .Lfunc_end3-_ZN9rocsolver6v33100L8set_diagIfifPfTnNSt9enable_ifIXoont18rocblas_is_complexIT_E18rocblas_is_complexIT1_EEiE4typeELi0EEEvPS5_llT2_lT0_lSA_b
                                        ; -- End function
	.set _ZN9rocsolver6v33100L8set_diagIfifPfTnNSt9enable_ifIXoont18rocblas_is_complexIT_E18rocblas_is_complexIT1_EEiE4typeELi0EEEvPS5_llT2_lT0_lSA_b.num_vgpr, 4
	.set _ZN9rocsolver6v33100L8set_diagIfifPfTnNSt9enable_ifIXoont18rocblas_is_complexIT_E18rocblas_is_complexIT1_EEiE4typeELi0EEEvPS5_llT2_lT0_lSA_b.num_agpr, 0
	.set _ZN9rocsolver6v33100L8set_diagIfifPfTnNSt9enable_ifIXoont18rocblas_is_complexIT_E18rocblas_is_complexIT1_EEiE4typeELi0EEEvPS5_llT2_lT0_lSA_b.numbered_sgpr, 20
	.set _ZN9rocsolver6v33100L8set_diagIfifPfTnNSt9enable_ifIXoont18rocblas_is_complexIT_E18rocblas_is_complexIT1_EEiE4typeELi0EEEvPS5_llT2_lT0_lSA_b.num_named_barrier, 0
	.set _ZN9rocsolver6v33100L8set_diagIfifPfTnNSt9enable_ifIXoont18rocblas_is_complexIT_E18rocblas_is_complexIT1_EEiE4typeELi0EEEvPS5_llT2_lT0_lSA_b.private_seg_size, 0
	.set _ZN9rocsolver6v33100L8set_diagIfifPfTnNSt9enable_ifIXoont18rocblas_is_complexIT_E18rocblas_is_complexIT1_EEiE4typeELi0EEEvPS5_llT2_lT0_lSA_b.uses_vcc, 1
	.set _ZN9rocsolver6v33100L8set_diagIfifPfTnNSt9enable_ifIXoont18rocblas_is_complexIT_E18rocblas_is_complexIT1_EEiE4typeELi0EEEvPS5_llT2_lT0_lSA_b.uses_flat_scratch, 0
	.set _ZN9rocsolver6v33100L8set_diagIfifPfTnNSt9enable_ifIXoont18rocblas_is_complexIT_E18rocblas_is_complexIT1_EEiE4typeELi0EEEvPS5_llT2_lT0_lSA_b.has_dyn_sized_stack, 0
	.set _ZN9rocsolver6v33100L8set_diagIfifPfTnNSt9enable_ifIXoont18rocblas_is_complexIT_E18rocblas_is_complexIT1_EEiE4typeELi0EEEvPS5_llT2_lT0_lSA_b.has_recursion, 0
	.set _ZN9rocsolver6v33100L8set_diagIfifPfTnNSt9enable_ifIXoont18rocblas_is_complexIT_E18rocblas_is_complexIT1_EEiE4typeELi0EEEvPS5_llT2_lT0_lSA_b.has_indirect_call, 0
	.section	.AMDGPU.csdata,"",@progbits
; Kernel info:
; codeLenInByte = 284
; TotalNumSgprs: 22
; NumVgprs: 4
; ScratchSize: 0
; MemoryBound: 0
; FloatMode: 240
; IeeeMode: 1
; LDSByteSize: 0 bytes/workgroup (compile time only)
; SGPRBlocks: 0
; VGPRBlocks: 0
; NumSGPRsForWavesPerEU: 22
; NumVGPRsForWavesPerEU: 4
; NamedBarCnt: 0
; Occupancy: 16
; WaveLimiterHint : 0
; COMPUTE_PGM_RSRC2:SCRATCH_EN: 0
; COMPUTE_PGM_RSRC2:USER_SGPR: 2
; COMPUTE_PGM_RSRC2:TRAP_HANDLER: 0
; COMPUTE_PGM_RSRC2:TGID_X_EN: 1
; COMPUTE_PGM_RSRC2:TGID_Y_EN: 1
; COMPUTE_PGM_RSRC2:TGID_Z_EN: 0
; COMPUTE_PGM_RSRC2:TIDIG_COMP_CNT: 1
	.section	.text._ZN9rocsolver6v33100L11set_taubetaIfifPfEEvPT_lS4_T2_llPT1_ll,"axG",@progbits,_ZN9rocsolver6v33100L11set_taubetaIfifPfEEvPT_lS4_T2_llPT1_ll,comdat
	.globl	_ZN9rocsolver6v33100L11set_taubetaIfifPfEEvPT_lS4_T2_llPT1_ll ; -- Begin function _ZN9rocsolver6v33100L11set_taubetaIfifPfEEvPT_lS4_T2_llPT1_ll
	.p2align	8
	.type	_ZN9rocsolver6v33100L11set_taubetaIfifPfEEvPT_lS4_T2_llPT1_ll,@function
_ZN9rocsolver6v33100L11set_taubetaIfifPfEEvPT_lS4_T2_llPT1_ll: ; @_ZN9rocsolver6v33100L11set_taubetaIfifPfEEvPT_lS4_T2_llPT1_ll
; %bb.0:
	s_load_b512 s[4:19], s[0:1], 0x0
	s_bfe_u32 s2, ttmp6, 0x4000c
	s_and_b32 s3, ttmp6, 15
	s_add_co_i32 s2, s2, 1
	s_getreg_b32 s20, hwreg(HW_REG_IB_STS2, 6, 4)
	s_mul_i32 s2, ttmp9, s2
	s_mov_b32 s22, 0
	s_add_co_i32 s3, s3, s2
	s_cmp_eq_u32 s20, 0
	s_cselect_b32 s20, ttmp9, s3
	s_mov_b64 s[2:3], 0
	s_ashr_i32 s21, s20, 31
	s_wait_kmcnt 0x0
	s_cmp_eq_u64 s[16:17], 0
	s_cbranch_scc1 .LBB4_2
; %bb.1:
	s_load_b64 s[0:1], s[0:1], 0x40
	s_lshl_b64 s[2:3], s[18:19], 2
	s_wait_kmcnt 0x0
	s_mul_u64 s[0:1], s[0:1], s[20:21]
	s_delay_alu instid0(SALU_CYCLE_1) | instskip(NEXT) | instid1(SALU_CYCLE_1)
	s_lshl_b64 s[0:1], s[0:1], 2
	s_add_nc_u64 s[0:1], s[16:17], s[0:1]
	s_delay_alu instid0(SALU_CYCLE_1)
	s_add_nc_u64 s[2:3], s[0:1], s[2:3]
.LBB4_2:
	s_lshl_b64 s[0:1], s[20:21], 2
	s_mul_u64 s[6:7], s[6:7], s[20:21]
	s_add_nc_u64 s[8:9], s[8:9], s[0:1]
	s_mul_u64 s[0:1], s[14:15], s[20:21]
	s_load_b32 s16, s[8:9], 0x0
	s_lshl_b64 s[0:1], s[0:1], 2
	s_lshl_b64 s[12:13], s[12:13], 2
	;; [unrolled: 1-line block ×3, first 2 shown]
	s_cmp_eq_u64 s[2:3], 0
	s_add_nc_u64 s[0:1], s[10:11], s[0:1]
	s_cselect_b32 s6, -1, 0
	s_cmp_lg_u64 s[2:3], 0
	s_add_nc_u64 s[0:1], s[0:1], s[12:13]
	s_cselect_b32 s7, -1, 0
	s_add_nc_u64 s[4:5], s[4:5], s[14:15]
	s_mov_b32 s10, 0
	s_wait_kmcnt 0x0
	s_cmp_ngt_f32 s16, 0
	s_cbranch_scc0 .LBB4_5
; %bb.3:
	v_dual_mov_b32 v1, 1.0 :: v_dual_mov_b32 v0, 0
	s_mov_b32 s11, 0
	s_and_b32 vcc_lo, exec_lo, s7
	s_clause 0x1
	global_store_b32 v0, v1, s[8:9]
	global_store_b32 v0, v0, s[4:5]
	s_cbranch_vccz .LBB4_6
; %bb.4:
	global_load_b32 v0, v0, s[0:1]
	s_mov_b32 s22, -1
	s_and_b32 vcc_lo, exec_lo, s11
	s_cbranch_vccnz .LBB4_7
	s_branch .LBB4_8
.LBB4_5:
	s_mov_b32 s11, -1
.LBB4_6:
                                        ; implicit-def: $vgpr0
	s_delay_alu instid0(SALU_CYCLE_1)
	s_and_b32 vcc_lo, exec_lo, s11
	s_cbranch_vccz .LBB4_8
.LBB4_7:
	s_wait_xcnt 0x1
	v_mov_b32_e32 v1, 0
	s_mov_b32 s22, s7
	global_load_b32 v2, v1, s[0:1]
	s_wait_loadcnt 0x0
	v_readfirstlane_b32 s10, v2
	v_cmp_le_f32_e32 vcc_lo, 0, v2
	s_fmac_f32 s16, s10, s10
	s_delay_alu instid0(SALU_CYCLE_3) | instskip(SKIP_1) | instid1(SALU_CYCLE_2)
	s_mul_f32 s10, s16, 0x4f800000
	s_cmp_lt_f32 s16, 0xf800000
	s_cselect_b32 s10, s10, s16
	s_delay_alu instid0(SALU_CYCLE_1) | instskip(SKIP_1) | instid1(TRANS32_DEP_1)
	v_s_sqrt_f32 s11, s10
	s_mov_b32 s13, s10
	s_add_co_i32 s12, s11, -1
	s_delay_alu instid0(SALU_CYCLE_1) | instskip(NEXT) | instid1(SALU_CYCLE_1)
	s_xor_b32 s14, s12, 0x80000000
	s_fmac_f32 s13, s14, s11
	s_mov_b32 s14, s10
	s_delay_alu instid0(SALU_CYCLE_2) | instskip(SKIP_2) | instid1(SALU_CYCLE_1)
	s_cmp_le_f32 s13, 0
	s_cselect_b32 s12, s12, s11
	s_add_co_i32 s13, s11, 1
	s_xor_b32 s15, s13, 0x80000000
	s_delay_alu instid0(SALU_CYCLE_1) | instskip(SKIP_1) | instid1(SALU_CYCLE_2)
	s_fmac_f32 s14, s15, s11
	v_cmp_class_f32_e64 s11, s10, 0x260
	s_cmp_gt_f32 s14, 0
	s_cselect_b32 s12, s13, s12
	s_cmp_lt_f32 s16, 0xf800000
	s_mul_f32 s13, s12, 0x37800000
	s_delay_alu instid0(SALU_CYCLE_3) | instskip(SKIP_2) | instid1(SALU_CYCLE_1)
	s_cselect_b32 s12, s13, s12
	s_and_b32 s11, s11, exec_lo
	s_cselect_b32 s10, s10, s12
	s_xor_b32 s11, s10, 0x80000000
	s_wait_xcnt 0x1
	v_mov_b32_e32 v0, s11
	s_delay_alu instid0(VALU_DEP_1) | instskip(SKIP_1) | instid1(VALU_DEP_1)
	v_cndmask_b32_e32 v0, s10, v0, vcc_lo
	s_mov_b32 s10, s6
	v_sub_f32_e32 v2, v2, v0
	s_delay_alu instid0(VALU_DEP_1) | instskip(SKIP_1) | instid1(VALU_DEP_2)
	v_div_scale_f32 v3, null, v2, v2, 1.0
	v_div_scale_f32 v6, vcc_lo, 1.0, v2, 1.0
	v_rcp_f32_e32 v4, v3
	v_nop
	v_xor_b32_e32 v3, 0x80000000, v3
	s_delay_alu instid0(TRANS32_DEP_1) | instid1(VALU_DEP_1)
	v_fma_f32 v5, v3, v4, 1.0
	s_delay_alu instid0(VALU_DEP_1) | instskip(NEXT) | instid1(VALU_DEP_1)
	v_fmac_f32_e32 v4, v5, v4
	v_mul_f32_e32 v5, v6, v4
	s_delay_alu instid0(VALU_DEP_1) | instskip(NEXT) | instid1(VALU_DEP_1)
	v_fma_f32 v7, v3, v5, v6
	v_fmac_f32_e32 v5, v7, v4
	s_delay_alu instid0(VALU_DEP_1) | instskip(NEXT) | instid1(VALU_DEP_1)
	v_fmac_f32_e32 v6, v3, v5
	v_div_fmas_f32 v3, v6, v4, v5
	s_delay_alu instid0(VALU_DEP_1)
	v_div_fixup_f32 v2, v3, v2, 1.0
	s_clause 0x1
	global_store_b32 v1, v2, s[8:9]
	global_load_b32 v2, v1, s[0:1]
	s_wait_loadcnt 0x0
	v_sub_f32_e32 v2, v0, v2
	s_delay_alu instid0(VALU_DEP_1) | instskip(NEXT) | instid1(VALU_DEP_1)
	v_div_scale_f32 v3, null, v0, v0, v2
	v_rcp_f32_e32 v4, v3
	v_nop
	v_xor_b32_e32 v3, 0x80000000, v3
	s_delay_alu instid0(TRANS32_DEP_1) | instid1(VALU_DEP_1)
	v_fma_f32 v5, v3, v4, 1.0
	s_delay_alu instid0(VALU_DEP_1) | instskip(SKIP_1) | instid1(VALU_DEP_1)
	v_fmac_f32_e32 v4, v5, v4
	v_div_scale_f32 v5, vcc_lo, v2, v0, v2
	v_mul_f32_e32 v6, v5, v4
	s_delay_alu instid0(VALU_DEP_1) | instskip(NEXT) | instid1(VALU_DEP_1)
	v_fma_f32 v7, v3, v6, v5
	v_fmac_f32_e32 v6, v7, v4
	s_delay_alu instid0(VALU_DEP_1) | instskip(NEXT) | instid1(VALU_DEP_1)
	v_fmac_f32_e32 v5, v3, v6
	v_div_fmas_f32 v3, v5, v4, v6
	s_delay_alu instid0(VALU_DEP_1)
	v_div_fixup_f32 v2, v3, v0, v2
	global_store_b32 v1, v2, s[4:5]
.LBB4_8:
	s_and_not1_b32 vcc_lo, exec_lo, s22
	s_cbranch_vccz .LBB4_11
; %bb.9:
	s_and_not1_b32 vcc_lo, exec_lo, s10
	s_cbranch_vccz .LBB4_12
; %bb.10:
	s_endpgm
.LBB4_11:
	s_wait_xcnt 0x0
	v_mov_b32_e32 v1, 0
	s_wait_loadcnt 0x0
	global_store_b32 v1, v0, s[2:3]
	s_wait_xcnt 0x0
	v_mov_b32_e32 v0, 1.0
.LBB4_12:
	s_wait_xcnt 0x0
	v_mov_b32_e32 v1, 0
	s_wait_loadcnt 0x0
	global_store_b32 v1, v0, s[0:1]
	s_endpgm
	.section	.rodata,"a",@progbits
	.p2align	6, 0x0
	.amdhsa_kernel _ZN9rocsolver6v33100L11set_taubetaIfifPfEEvPT_lS4_T2_llPT1_ll
		.amdhsa_group_segment_fixed_size 0
		.amdhsa_private_segment_fixed_size 0
		.amdhsa_kernarg_size 72
		.amdhsa_user_sgpr_count 2
		.amdhsa_user_sgpr_dispatch_ptr 0
		.amdhsa_user_sgpr_queue_ptr 0
		.amdhsa_user_sgpr_kernarg_segment_ptr 1
		.amdhsa_user_sgpr_dispatch_id 0
		.amdhsa_user_sgpr_kernarg_preload_length 0
		.amdhsa_user_sgpr_kernarg_preload_offset 0
		.amdhsa_user_sgpr_private_segment_size 0
		.amdhsa_wavefront_size32 1
		.amdhsa_uses_dynamic_stack 0
		.amdhsa_enable_private_segment 0
		.amdhsa_system_sgpr_workgroup_id_x 1
		.amdhsa_system_sgpr_workgroup_id_y 0
		.amdhsa_system_sgpr_workgroup_id_z 0
		.amdhsa_system_sgpr_workgroup_info 0
		.amdhsa_system_vgpr_workitem_id 0
		.amdhsa_next_free_vgpr 8
		.amdhsa_next_free_sgpr 23
		.amdhsa_named_barrier_count 0
		.amdhsa_reserve_vcc 1
		.amdhsa_float_round_mode_32 0
		.amdhsa_float_round_mode_16_64 0
		.amdhsa_float_denorm_mode_32 3
		.amdhsa_float_denorm_mode_16_64 3
		.amdhsa_fp16_overflow 0
		.amdhsa_memory_ordered 1
		.amdhsa_forward_progress 1
		.amdhsa_inst_pref_size 7
		.amdhsa_round_robin_scheduling 0
		.amdhsa_exception_fp_ieee_invalid_op 0
		.amdhsa_exception_fp_denorm_src 0
		.amdhsa_exception_fp_ieee_div_zero 0
		.amdhsa_exception_fp_ieee_overflow 0
		.amdhsa_exception_fp_ieee_underflow 0
		.amdhsa_exception_fp_ieee_inexact 0
		.amdhsa_exception_int_div_zero 0
	.end_amdhsa_kernel
	.section	.text._ZN9rocsolver6v33100L11set_taubetaIfifPfEEvPT_lS4_T2_llPT1_ll,"axG",@progbits,_ZN9rocsolver6v33100L11set_taubetaIfifPfEEvPT_lS4_T2_llPT1_ll,comdat
.Lfunc_end4:
	.size	_ZN9rocsolver6v33100L11set_taubetaIfifPfEEvPT_lS4_T2_llPT1_ll, .Lfunc_end4-_ZN9rocsolver6v33100L11set_taubetaIfifPfEEvPT_lS4_T2_llPT1_ll
                                        ; -- End function
	.set _ZN9rocsolver6v33100L11set_taubetaIfifPfEEvPT_lS4_T2_llPT1_ll.num_vgpr, 8
	.set _ZN9rocsolver6v33100L11set_taubetaIfifPfEEvPT_lS4_T2_llPT1_ll.num_agpr, 0
	.set _ZN9rocsolver6v33100L11set_taubetaIfifPfEEvPT_lS4_T2_llPT1_ll.numbered_sgpr, 23
	.set _ZN9rocsolver6v33100L11set_taubetaIfifPfEEvPT_lS4_T2_llPT1_ll.num_named_barrier, 0
	.set _ZN9rocsolver6v33100L11set_taubetaIfifPfEEvPT_lS4_T2_llPT1_ll.private_seg_size, 0
	.set _ZN9rocsolver6v33100L11set_taubetaIfifPfEEvPT_lS4_T2_llPT1_ll.uses_vcc, 1
	.set _ZN9rocsolver6v33100L11set_taubetaIfifPfEEvPT_lS4_T2_llPT1_ll.uses_flat_scratch, 0
	.set _ZN9rocsolver6v33100L11set_taubetaIfifPfEEvPT_lS4_T2_llPT1_ll.has_dyn_sized_stack, 0
	.set _ZN9rocsolver6v33100L11set_taubetaIfifPfEEvPT_lS4_T2_llPT1_ll.has_recursion, 0
	.set _ZN9rocsolver6v33100L11set_taubetaIfifPfEEvPT_lS4_T2_llPT1_ll.has_indirect_call, 0
	.section	.AMDGPU.csdata,"",@progbits
; Kernel info:
; codeLenInByte = 836
; TotalNumSgprs: 25
; NumVgprs: 8
; ScratchSize: 0
; MemoryBound: 0
; FloatMode: 240
; IeeeMode: 1
; LDSByteSize: 0 bytes/workgroup (compile time only)
; SGPRBlocks: 0
; VGPRBlocks: 0
; NumSGPRsForWavesPerEU: 25
; NumVGPRsForWavesPerEU: 8
; NamedBarCnt: 0
; Occupancy: 16
; WaveLimiterHint : 0
; COMPUTE_PGM_RSRC2:SCRATCH_EN: 0
; COMPUTE_PGM_RSRC2:USER_SGPR: 2
; COMPUTE_PGM_RSRC2:TRAP_HANDLER: 0
; COMPUTE_PGM_RSRC2:TGID_X_EN: 1
; COMPUTE_PGM_RSRC2:TGID_Y_EN: 0
; COMPUTE_PGM_RSRC2:TGID_Z_EN: 0
; COMPUTE_PGM_RSRC2:TIDIG_COMP_CNT: 0
	.section	.text._ZN9rocsolver6v33100L13conj_in_placeIfiPfTnNSt9enable_ifIXnt18rocblas_is_complexIT_EEiE4typeELi0EEEvT0_S7_T1_lS7_l,"axG",@progbits,_ZN9rocsolver6v33100L13conj_in_placeIfiPfTnNSt9enable_ifIXnt18rocblas_is_complexIT_EEiE4typeELi0EEEvT0_S7_T1_lS7_l,comdat
	.globl	_ZN9rocsolver6v33100L13conj_in_placeIfiPfTnNSt9enable_ifIXnt18rocblas_is_complexIT_EEiE4typeELi0EEEvT0_S7_T1_lS7_l ; -- Begin function _ZN9rocsolver6v33100L13conj_in_placeIfiPfTnNSt9enable_ifIXnt18rocblas_is_complexIT_EEiE4typeELi0EEEvT0_S7_T1_lS7_l
	.p2align	8
	.type	_ZN9rocsolver6v33100L13conj_in_placeIfiPfTnNSt9enable_ifIXnt18rocblas_is_complexIT_EEiE4typeELi0EEEvT0_S7_T1_lS7_l,@function
_ZN9rocsolver6v33100L13conj_in_placeIfiPfTnNSt9enable_ifIXnt18rocblas_is_complexIT_EEiE4typeELi0EEEvT0_S7_T1_lS7_l: ; @_ZN9rocsolver6v33100L13conj_in_placeIfiPfTnNSt9enable_ifIXnt18rocblas_is_complexIT_EEiE4typeELi0EEEvT0_S7_T1_lS7_l
; %bb.0:
	s_endpgm
	.section	.rodata,"a",@progbits
	.p2align	6, 0x0
	.amdhsa_kernel _ZN9rocsolver6v33100L13conj_in_placeIfiPfTnNSt9enable_ifIXnt18rocblas_is_complexIT_EEiE4typeELi0EEEvT0_S7_T1_lS7_l
		.amdhsa_group_segment_fixed_size 0
		.amdhsa_private_segment_fixed_size 0
		.amdhsa_kernarg_size 40
		.amdhsa_user_sgpr_count 2
		.amdhsa_user_sgpr_dispatch_ptr 0
		.amdhsa_user_sgpr_queue_ptr 0
		.amdhsa_user_sgpr_kernarg_segment_ptr 1
		.amdhsa_user_sgpr_dispatch_id 0
		.amdhsa_user_sgpr_kernarg_preload_length 0
		.amdhsa_user_sgpr_kernarg_preload_offset 0
		.amdhsa_user_sgpr_private_segment_size 0
		.amdhsa_wavefront_size32 1
		.amdhsa_uses_dynamic_stack 0
		.amdhsa_enable_private_segment 0
		.amdhsa_system_sgpr_workgroup_id_x 1
		.amdhsa_system_sgpr_workgroup_id_y 0
		.amdhsa_system_sgpr_workgroup_id_z 0
		.amdhsa_system_sgpr_workgroup_info 0
		.amdhsa_system_vgpr_workitem_id 0
		.amdhsa_next_free_vgpr 1
		.amdhsa_next_free_sgpr 1
		.amdhsa_named_barrier_count 0
		.amdhsa_reserve_vcc 0
		.amdhsa_float_round_mode_32 0
		.amdhsa_float_round_mode_16_64 0
		.amdhsa_float_denorm_mode_32 3
		.amdhsa_float_denorm_mode_16_64 3
		.amdhsa_fp16_overflow 0
		.amdhsa_memory_ordered 1
		.amdhsa_forward_progress 1
		.amdhsa_inst_pref_size 1
		.amdhsa_round_robin_scheduling 0
		.amdhsa_exception_fp_ieee_invalid_op 0
		.amdhsa_exception_fp_denorm_src 0
		.amdhsa_exception_fp_ieee_div_zero 0
		.amdhsa_exception_fp_ieee_overflow 0
		.amdhsa_exception_fp_ieee_underflow 0
		.amdhsa_exception_fp_ieee_inexact 0
		.amdhsa_exception_int_div_zero 0
	.end_amdhsa_kernel
	.section	.text._ZN9rocsolver6v33100L13conj_in_placeIfiPfTnNSt9enable_ifIXnt18rocblas_is_complexIT_EEiE4typeELi0EEEvT0_S7_T1_lS7_l,"axG",@progbits,_ZN9rocsolver6v33100L13conj_in_placeIfiPfTnNSt9enable_ifIXnt18rocblas_is_complexIT_EEiE4typeELi0EEEvT0_S7_T1_lS7_l,comdat
.Lfunc_end5:
	.size	_ZN9rocsolver6v33100L13conj_in_placeIfiPfTnNSt9enable_ifIXnt18rocblas_is_complexIT_EEiE4typeELi0EEEvT0_S7_T1_lS7_l, .Lfunc_end5-_ZN9rocsolver6v33100L13conj_in_placeIfiPfTnNSt9enable_ifIXnt18rocblas_is_complexIT_EEiE4typeELi0EEEvT0_S7_T1_lS7_l
                                        ; -- End function
	.set _ZN9rocsolver6v33100L13conj_in_placeIfiPfTnNSt9enable_ifIXnt18rocblas_is_complexIT_EEiE4typeELi0EEEvT0_S7_T1_lS7_l.num_vgpr, 0
	.set _ZN9rocsolver6v33100L13conj_in_placeIfiPfTnNSt9enable_ifIXnt18rocblas_is_complexIT_EEiE4typeELi0EEEvT0_S7_T1_lS7_l.num_agpr, 0
	.set _ZN9rocsolver6v33100L13conj_in_placeIfiPfTnNSt9enable_ifIXnt18rocblas_is_complexIT_EEiE4typeELi0EEEvT0_S7_T1_lS7_l.numbered_sgpr, 0
	.set _ZN9rocsolver6v33100L13conj_in_placeIfiPfTnNSt9enable_ifIXnt18rocblas_is_complexIT_EEiE4typeELi0EEEvT0_S7_T1_lS7_l.num_named_barrier, 0
	.set _ZN9rocsolver6v33100L13conj_in_placeIfiPfTnNSt9enable_ifIXnt18rocblas_is_complexIT_EEiE4typeELi0EEEvT0_S7_T1_lS7_l.private_seg_size, 0
	.set _ZN9rocsolver6v33100L13conj_in_placeIfiPfTnNSt9enable_ifIXnt18rocblas_is_complexIT_EEiE4typeELi0EEEvT0_S7_T1_lS7_l.uses_vcc, 0
	.set _ZN9rocsolver6v33100L13conj_in_placeIfiPfTnNSt9enable_ifIXnt18rocblas_is_complexIT_EEiE4typeELi0EEEvT0_S7_T1_lS7_l.uses_flat_scratch, 0
	.set _ZN9rocsolver6v33100L13conj_in_placeIfiPfTnNSt9enable_ifIXnt18rocblas_is_complexIT_EEiE4typeELi0EEEvT0_S7_T1_lS7_l.has_dyn_sized_stack, 0
	.set _ZN9rocsolver6v33100L13conj_in_placeIfiPfTnNSt9enable_ifIXnt18rocblas_is_complexIT_EEiE4typeELi0EEEvT0_S7_T1_lS7_l.has_recursion, 0
	.set _ZN9rocsolver6v33100L13conj_in_placeIfiPfTnNSt9enable_ifIXnt18rocblas_is_complexIT_EEiE4typeELi0EEEvT0_S7_T1_lS7_l.has_indirect_call, 0
	.section	.AMDGPU.csdata,"",@progbits
; Kernel info:
; codeLenInByte = 4
; TotalNumSgprs: 0
; NumVgprs: 0
; ScratchSize: 0
; MemoryBound: 0
; FloatMode: 240
; IeeeMode: 1
; LDSByteSize: 0 bytes/workgroup (compile time only)
; SGPRBlocks: 0
; VGPRBlocks: 0
; NumSGPRsForWavesPerEU: 1
; NumVGPRsForWavesPerEU: 1
; NamedBarCnt: 0
; Occupancy: 16
; WaveLimiterHint : 0
; COMPUTE_PGM_RSRC2:SCRATCH_EN: 0
; COMPUTE_PGM_RSRC2:USER_SGPR: 2
; COMPUTE_PGM_RSRC2:TRAP_HANDLER: 0
; COMPUTE_PGM_RSRC2:TGID_X_EN: 1
; COMPUTE_PGM_RSRC2:TGID_Y_EN: 0
; COMPUTE_PGM_RSRC2:TGID_Z_EN: 0
; COMPUTE_PGM_RSRC2:TIDIG_COMP_CNT: 0
	.section	.text._ZN9rocsolver6v33100L16larf_left_kernelILi1024EfiPfEEvT1_S3_T2_lS3_lPKT0_lS4_lS3_l,"axG",@progbits,_ZN9rocsolver6v33100L16larf_left_kernelILi1024EfiPfEEvT1_S3_T2_lS3_lPKT0_lS4_lS3_l,comdat
	.globl	_ZN9rocsolver6v33100L16larf_left_kernelILi1024EfiPfEEvT1_S3_T2_lS3_lPKT0_lS4_lS3_l ; -- Begin function _ZN9rocsolver6v33100L16larf_left_kernelILi1024EfiPfEEvT1_S3_T2_lS3_lPKT0_lS4_lS3_l
	.p2align	8
	.type	_ZN9rocsolver6v33100L16larf_left_kernelILi1024EfiPfEEvT1_S3_T2_lS3_lPKT0_lS4_lS3_l,@function
_ZN9rocsolver6v33100L16larf_left_kernelILi1024EfiPfEEvT1_S3_T2_lS3_lPKT0_lS4_lS3_l: ; @_ZN9rocsolver6v33100L16larf_left_kernelILi1024EfiPfEEvT1_S3_T2_lS3_lPKT0_lS4_lS3_l
; %bb.0:
	s_clause 0x3
	s_load_b96 s[16:18], s[0:1], 0x40
	s_load_b32 s30, s[0:1], 0x0
	s_load_b64 s[2:3], s[0:1], 0x50
	s_load_b256 s[4:11], s[0:1], 0x20
	s_bfe_u32 s12, ttmp6, 0x40010
	s_bfe_u32 s19, ttmp6, 0x40014
	s_and_b32 s14, ttmp7, 0xffff
	s_lshr_b32 s15, ttmp7, 16
	s_add_co_i32 s12, s12, 1
	s_add_co_i32 s19, s19, 1
	s_bfe_u32 s13, ttmp6, 0x40004
	s_bfe_u32 s20, ttmp6, 0x40008
	s_mul_i32 s12, s14, s12
	s_mul_i32 s19, s15, s19
	s_getreg_b32 s22, hwreg(HW_REG_IB_STS2, 6, 4)
	s_add_co_i32 s23, s13, s12
	s_add_co_i32 s20, s20, s19
	s_mov_b32 s21, 0
	v_mov_b32_e32 v3, 0
	s_wait_kmcnt 0x0
	s_ashr_i32 s13, s18, 31
	s_cmp_eq_u32 s22, 0
	v_cmp_gt_i32_e32 vcc_lo, s30, v0
	v_xad_u32 v6, v0, -1, s30
	s_mov_b32 s12, s18
	s_cselect_b32 s20, s15, s20
	s_cselect_b32 s14, s14, s23
	s_mov_b32 s15, s21
	s_mul_u64 s[2:3], s[2:3], s[20:21]
	s_mul_u64 s[18:19], s[12:13], s[14:15]
	s_and_saveexec_b32 s31, vcc_lo
	s_cbranch_execz .LBB6_12
; %bb.1:
	s_clause 0x1
	s_load_b32 s22, s[0:1], 0x18
	s_load_b128 s[12:15], s[0:1], 0x8
	s_sub_co_i32 s24, 1, s30
	v_lshl_add_u32 v7, v0, 2, 0x80
	v_mov_b32_e32 v2, v0
	s_mul_u64 s[4:5], s[4:5], s[20:21]
	s_mov_b32 s26, -1
                                        ; implicit-def: $vgpr8
	s_wait_kmcnt 0x0
	s_ashr_i32 s23, s22, 31
	s_mul_i32 s24, s22, s24
	v_cmp_lt_i64_e64 s1, s[22:23], 1
	s_and_b32 s1, s1, exec_lo
	s_cselect_b32 s24, s24, 0
	s_mov_b32 s1, exec_lo
	s_ashr_i32 s25, s24, 31
	v_cmpx_lt_u32_e32 0x3ff, v6
	s_cbranch_execz .LBB6_5
; %bb.2:
	v_dual_lshrrev_b32 v1, 10, v6 :: v_dual_mov_b32 v3, 0
	v_lshl_add_u32 v8, v0, 2, 0x80
	s_lshl_b64 s[26:27], s[4:5], 2
	s_lshl_b64 s[28:29], s[14:15], 2
	s_delay_alu instid0(VALU_DEP_2)
	v_add_nc_u32_e32 v9, 1, v1
	v_or_b32_e32 v1, 0x400, v0
	v_add_nc_u32_e32 v11, 0, v8
	s_add_nc_u64 s[26:27], s[12:13], s[26:27]
	s_lshl_b64 s[34:35], s[24:25], 2
	v_and_b32_e32 v10, 0x7ffffe, v9
	v_mov_b64_e32 v[4:5], v[0:1]
	s_add_nc_u64 s[26:27], s[26:27], s[28:29]
	s_mov_b32 s28, s22
	s_add_nc_u64 s[26:27], s[26:27], s[34:35]
	v_mov_b32_e32 v12, v10
	s_mov_b32 s29, s23
	s_mov_b32 s33, 0
.LBB6_3:                                ; =>This Inner Loop Header: Depth=1
	v_dual_mov_b32 v2, v4 :: v_dual_mov_b32 v14, v5
	s_delay_alu instid0(VALU_DEP_2) | instskip(SKIP_1) | instid1(VALU_DEP_3)
	v_dual_mov_b32 v15, v3 :: v_dual_add_nc_u32 v12, -2, v12
	v_add_nc_u32_e32 v5, 0x800, v5
	v_mul_u64_e32 v[16:17], s[22:23], v[2:3]
	v_add_nc_u32_e32 v4, 0x800, v4
	s_delay_alu instid0(VALU_DEP_4)
	v_mul_u64_e32 v[14:15], s[28:29], v[14:15]
	v_cmp_eq_u32_e64 s0, 0, v12
	s_or_b32 s33, s0, s33
	v_lshl_add_u64 v[16:17], v[16:17], 2, s[26:27]
	v_lshl_add_u64 v[14:15], v[14:15], 2, s[26:27]
	s_clause 0x1
	global_load_b32 v1, v[16:17], off
	global_load_b32 v2, v[14:15], off
	s_wait_loadcnt 0x0
	ds_store_2addr_stride64_b32 v11, v1, v2 offset1:16
	v_add_nc_u32_e32 v11, 0x2000, v11
	s_wait_xcnt 0x0
	s_and_not1_b32 exec_lo, exec_lo, s33
	s_cbranch_execnz .LBB6_3
; %bb.4:
	s_or_b32 exec_lo, exec_lo, s33
	v_cmp_ne_u32_e64 s0, v9, v10
	v_lshl_or_b32 v2, v10, 10, v0
	s_or_not1_b32 s26, s0, exec_lo
.LBB6_5:
	s_or_b32 exec_lo, exec_lo, s1
	s_and_saveexec_b32 s1, s26
	s_cbranch_execz .LBB6_9
; %bb.6:
	v_dual_mov_b32 v3, 0 :: v_dual_lshlrev_b32 v1, 2, v2
	s_lshl_b64 s[24:25], s[24:25], 2
	s_lshl_b64 s[14:15], s[14:15], 2
	s_add_nc_u64 s[12:13], s[12:13], s[24:25]
	s_delay_alu instid0(VALU_DEP_1)
	v_mul_u64_e32 v[4:5], s[22:23], v[2:3]
	s_lshl_b64 s[4:5], s[4:5], 2
	s_add_nc_u64 s[12:13], s[12:13], s[14:15]
	v_add3_u32 v1, v1, 0, 0x80
	s_add_nc_u64 s[4:5], s[12:13], s[4:5]
	s_mov_b32 s12, 0
	s_delay_alu instid0(VALU_DEP_2)
	v_lshl_add_u64 v[4:5], v[4:5], 2, s[4:5]
	s_lshl_b64 s[4:5], s[22:23], 12
.LBB6_7:                                ; =>This Inner Loop Header: Depth=1
	global_load_b32 v3, v[4:5], off
	v_add_nc_u32_e32 v2, 0x400, v2
	s_wait_xcnt 0x0
	v_add_nc_u64_e32 v[4:5], s[4:5], v[4:5]
	s_delay_alu instid0(VALU_DEP_2)
	v_cmp_le_i32_e64 s0, s30, v2
	s_or_b32 s12, s0, s12
	s_wait_loadcnt 0x0
	ds_store_b32 v1, v3
	v_add_nc_u32_e32 v1, 0x1000, v1
	s_and_not1_b32 exec_lo, exec_lo, s12
	s_cbranch_execnz .LBB6_7
; %bb.8:
	s_or_b32 exec_lo, exec_lo, s12
	v_mov_b32_e32 v8, v7
.LBB6_9:
	s_or_b32 exec_lo, exec_lo, s1
	s_lshl_b64 s[0:1], s[2:3], 2
	s_lshl_b64 s[4:5], s[18:19], 2
	v_dual_mov_b32 v3, 0 :: v_dual_lshlrev_b32 v2, 2, v0
	s_add_nc_u64 s[0:1], s[0:1], s[4:5]
	s_lshl_b64 s[4:5], s[16:17], 2
	v_add_nc_u32_e32 v1, 0, v8
	s_add_nc_u64 s[0:1], s[0:1], s[4:5]
	s_delay_alu instid0(SALU_CYCLE_1) | instskip(NEXT) | instid1(SALU_CYCLE_1)
	s_add_nc_u64 s[0:1], s[10:11], s[0:1]
	v_add_nc_u64_e32 v[4:5], s[0:1], v[2:3]
	v_mov_b32_e32 v2, v0
	s_mov_b32 s1, 0
.LBB6_10:                               ; =>This Inner Loop Header: Depth=1
	global_load_b32 v7, v[4:5], off
	ds_load_b32 v8, v1
	v_add_nc_u32_e32 v2, 0x400, v2
	s_wait_xcnt 0x0
	v_add_nc_u64_e32 v[4:5], 0x1000, v[4:5]
	v_add_nc_u32_e32 v1, 0x1000, v1
	s_wait_loadcnt_dscnt 0x0
	v_fmac_f32_e32 v3, v7, v8
	v_cmp_le_i32_e64 s0, s30, v2
	s_or_b32 s1, s0, s1
	s_delay_alu instid0(SALU_CYCLE_1)
	s_and_not1_b32 exec_lo, exec_lo, s1
	s_cbranch_execnz .LBB6_10
; %bb.11:
	s_or_b32 exec_lo, exec_lo, s1
.LBB6_12:
	s_delay_alu instid0(SALU_CYCLE_1) | instskip(SKIP_2) | instid1(VALU_DEP_1)
	s_or_b32 exec_lo, exec_lo, s31
	v_mbcnt_lo_u32_b32 v1, -1, 0
	s_mov_b32 s1, exec_lo
	v_cmp_ne_u32_e64 s0, 31, v1
	s_delay_alu instid0(VALU_DEP_1) | instskip(SKIP_1) | instid1(VALU_DEP_2)
	v_add_co_ci_u32_e64 v2, null, 0, v1, s0
	v_cmp_gt_u32_e64 s0, 30, v1
	v_lshlrev_b32_e32 v2, 2, v2
	s_delay_alu instid0(VALU_DEP_2)
	v_cndmask_b32_e64 v4, 0, 2, s0
	v_cmp_gt_u32_e64 s0, 28, v1
	ds_bpermute_b32 v2, v2, v3
	v_add_lshl_u32 v4, v4, v1, 2
	s_wait_dscnt 0x0
	v_add_f32_e32 v2, v3, v2
	ds_bpermute_b32 v3, v4, v2
	v_cndmask_b32_e64 v4, 0, 4, s0
	v_cmp_gt_u32_e64 s0, 24, v1
	s_delay_alu instid0(VALU_DEP_2) | instskip(SKIP_4) | instid1(VALU_DEP_1)
	v_add_lshl_u32 v4, v4, v1, 2
	s_wait_dscnt 0x0
	v_add_f32_e32 v2, v2, v3
	ds_bpermute_b32 v3, v4, v2
	v_cndmask_b32_e64 v4, 0, 8, s0
	v_add_lshl_u32 v4, v4, v1, 2
	v_lshl_or_b32 v1, v1, 2, 64
	s_wait_dscnt 0x0
	v_add_f32_e32 v2, v2, v3
	ds_bpermute_b32 v3, v4, v2
	s_wait_dscnt 0x0
	v_dual_add_f32 v2, v2, v3 :: v_dual_bitop2_b32 v3, 31, v0 bitop3:0x40
	ds_bpermute_b32 v1, v1, v2
	s_wait_dscnt 0x0
	v_add_f32_e32 v1, v2, v1
	v_cmpx_eq_u32_e32 0, v3
; %bb.13:
	v_lshrrev_b32_e32 v2, 3, v0
	s_delay_alu instid0(VALU_DEP_1)
	v_add_nc_u32_e32 v2, 0, v2
	ds_store_b32 v2, v1
; %bb.14:
	s_or_b32 exec_lo, exec_lo, s1
	s_delay_alu instid0(SALU_CYCLE_1)
	s_mov_b32 s1, exec_lo
	s_wait_dscnt 0x0
	s_barrier_signal -1
	s_barrier_wait -1
	v_cmpx_eq_u32_e32 0, v0
	s_cbranch_execz .LBB6_16
; %bb.15:
	v_mov_b32_e32 v7, 0
	ds_load_2addr_b32 v[2:3], v7 offset0:1 offset1:2
	ds_load_2addr_b32 v[4:5], v7 offset0:3 offset1:4
	ds_load_2addr_b32 v[8:9], v7 offset0:5 offset1:6
	ds_load_2addr_b32 v[10:11], v7 offset0:7 offset1:8
	s_wait_dscnt 0x3
	v_add_f32_e32 v1, v1, v2
	s_delay_alu instid0(VALU_DEP_1) | instskip(SKIP_3) | instid1(VALU_DEP_1)
	v_add_f32_e32 v1, v1, v3
	ds_load_2addr_b32 v[2:3], v7 offset0:9 offset1:10
	s_wait_dscnt 0x3
	v_add_f32_e32 v1, v1, v4
	v_add_f32_e32 v1, v1, v5
	ds_load_2addr_b32 v[4:5], v7 offset0:11 offset1:12
	s_wait_dscnt 0x3
	v_add_f32_e32 v1, v1, v8
	s_delay_alu instid0(VALU_DEP_1) | instskip(SKIP_1) | instid1(VALU_DEP_1)
	v_add_f32_e32 v1, v1, v9
	s_wait_dscnt 0x2
	v_add_f32_e32 v1, v1, v10
	s_delay_alu instid0(VALU_DEP_1) | instskip(SKIP_4) | instid1(VALU_DEP_1)
	v_add_f32_e32 v1, v1, v11
	ds_load_2addr_b32 v[8:9], v7 offset0:13 offset1:14
	ds_load_2addr_b32 v[10:11], v7 offset0:15 offset1:16
	s_wait_dscnt 0x3
	v_add_f32_e32 v1, v1, v2
	v_add_f32_e32 v1, v1, v3
	ds_load_2addr_b32 v[2:3], v7 offset0:17 offset1:18
	s_wait_dscnt 0x3
	v_add_f32_e32 v1, v1, v4
	s_delay_alu instid0(VALU_DEP_1) | instskip(SKIP_3) | instid1(VALU_DEP_1)
	v_add_f32_e32 v1, v1, v5
	ds_load_2addr_b32 v[4:5], v7 offset0:19 offset1:20
	s_wait_dscnt 0x3
	v_add_f32_e32 v1, v1, v8
	v_add_f32_e32 v1, v1, v9
	s_wait_dscnt 0x2
	s_delay_alu instid0(VALU_DEP_1) | instskip(NEXT) | instid1(VALU_DEP_1)
	v_add_f32_e32 v1, v1, v10
	v_add_f32_e32 v1, v1, v11
	ds_load_2addr_b32 v[8:9], v7 offset0:21 offset1:22
	ds_load_2addr_b32 v[10:11], v7 offset0:23 offset1:24
	s_wait_dscnt 0x3
	v_add_f32_e32 v1, v1, v2
	s_delay_alu instid0(VALU_DEP_1) | instskip(SKIP_3) | instid1(VALU_DEP_1)
	v_add_f32_e32 v1, v1, v3
	ds_load_2addr_b32 v[2:3], v7 offset0:25 offset1:26
	s_wait_dscnt 0x3
	v_add_f32_e32 v1, v1, v4
	v_add_f32_e32 v1, v1, v5
	ds_load_2addr_b32 v[4:5], v7 offset0:27 offset1:28
	s_wait_dscnt 0x3
	v_add_f32_e32 v1, v1, v8
	s_delay_alu instid0(VALU_DEP_1) | instskip(SKIP_1) | instid1(VALU_DEP_1)
	v_add_f32_e32 v1, v1, v9
	s_wait_dscnt 0x2
	v_add_f32_e32 v1, v1, v10
	ds_load_2addr_b32 v[8:9], v7 offset0:29 offset1:30
	ds_load_b32 v10, v7 offset:124
	v_add_f32_e32 v1, v1, v11
	s_wait_dscnt 0x3
	s_delay_alu instid0(VALU_DEP_1) | instskip(NEXT) | instid1(VALU_DEP_1)
	v_add_f32_e32 v1, v1, v2
	v_add_f32_e32 v1, v1, v3
	s_wait_dscnt 0x2
	s_delay_alu instid0(VALU_DEP_1) | instskip(NEXT) | instid1(VALU_DEP_1)
	v_add_f32_e32 v1, v1, v4
	;; [unrolled: 4-line block ×3, first 2 shown]
	v_add_f32_e32 v1, v1, v9
	s_wait_dscnt 0x0
	s_delay_alu instid0(VALU_DEP_1)
	v_add_f32_e32 v1, v1, v10
	ds_store_b32 v7, v1
.LBB6_16:
	s_or_b32 exec_lo, exec_lo, s1
	s_wait_dscnt 0x0
	s_barrier_signal -1
	s_barrier_wait -1
	s_and_saveexec_b32 s0, vcc_lo
	s_cbranch_execz .LBB6_24
; %bb.17:
	s_mul_u64 s[0:1], s[8:9], s[20:21]
	s_mov_b32 s5, 0
	s_lshl_b64 s[0:1], s[0:1], 2
	s_mov_b32 s4, exec_lo
	s_add_nc_u64 s[0:1], s[6:7], s[0:1]
	s_load_b32 s0, s[0:1], 0x0
	s_wait_kmcnt 0x0
	s_xor_b32 s0, s0, 0x80000000
	v_mov_b32_e32 v5, 0
	ds_load_b32 v1, v5
	s_wait_dscnt 0x0
	v_mul_f32_e32 v2, s0, v1
	s_mov_b32 s0, -1
	v_cmpx_lt_u32_e32 0x3ff, v6
	s_cbranch_execz .LBB6_21
; %bb.18:
	v_dual_lshrrev_b32 v1, 10, v6 :: v_dual_lshlrev_b32 v4, 2, v0
	s_lshl_b64 s[0:1], s[2:3], 2
	s_lshl_b64 s[6:7], s[16:17], 2
	s_add_nc_u64 s[0:1], s[10:11], s[0:1]
	s_delay_alu instid0(VALU_DEP_1) | instskip(SKIP_3) | instid1(VALU_DEP_3)
	v_dual_mov_b32 v3, v2 :: v_dual_add_nc_u32 v8, 1, v1
	v_or_b32_e32 v1, 0x400, v0
	v_add3_u32 v10, v4, 0, 0x80
	s_add_nc_u64 s[0:1], s[0:1], s[6:7]
	v_and_b32_e32 v9, 0x7ffffe, v8
	s_lshl_b64 s[6:7], s[18:19], 2
	v_mov_b64_e32 v[6:7], v[0:1]
	s_add_nc_u64 s[0:1], s[0:1], s[6:7]
	s_delay_alu instid0(VALU_DEP_2)
	v_mov_b32_e32 v11, v9
.LBB6_19:                               ; =>This Inner Loop Header: Depth=1
	s_delay_alu instid0(VALU_DEP_1) | instskip(SKIP_1) | instid1(VALU_DEP_2)
	v_dual_mov_b32 v4, v6 :: v_dual_add_nc_u32 v11, -2, v11
	v_add_nc_u32_e32 v6, 0x800, v6
	v_lshl_add_u64 v[12:13], v[4:5], 2, s[0:1]
	v_dual_mov_b32 v4, v7 :: v_dual_add_nc_u32 v7, 0x800, v7
	s_delay_alu instid0(VALU_DEP_4) | instskip(NEXT) | instid1(VALU_DEP_2)
	v_cmp_eq_u32_e32 vcc_lo, 0, v11
	v_lshl_add_u64 v[14:15], v[4:5], 2, s[0:1]
	s_clause 0x1
	global_load_b32 v16, v[12:13], off
	global_load_b32 v17, v[14:15], off
	ds_load_2addr_stride64_b32 v[18:19], v10 offset1:16
	v_add_nc_u32_e32 v10, 0x2000, v10
	s_or_b32 s5, vcc_lo, s5
	s_wait_loadcnt_dscnt 0x0
	v_pk_fma_f32 v[16:17], v[2:3], v[18:19], v[16:17]
	s_clause 0x1
	global_store_b32 v[12:13], v16, off
	global_store_b32 v[14:15], v17, off
	s_wait_xcnt 0x0
	s_and_not1_b32 exec_lo, exec_lo, s5
	s_cbranch_execnz .LBB6_19
; %bb.20:
	s_or_b32 exec_lo, exec_lo, s5
	v_cmp_ne_u32_e32 vcc_lo, v8, v9
	v_lshl_or_b32 v0, v9, 10, v0
	s_or_not1_b32 s0, vcc_lo, exec_lo
.LBB6_21:
	s_or_b32 exec_lo, exec_lo, s4
	s_delay_alu instid0(SALU_CYCLE_1)
	s_and_b32 exec_lo, exec_lo, s0
	s_cbranch_execz .LBB6_24
; %bb.22:
	s_lshl_b64 s[0:1], s[2:3], 2
	s_lshl_b64 s[2:3], s[18:19], 2
	v_dual_lshlrev_b32 v3, 2, v0 :: v_dual_mov_b32 v1, 0
	s_add_nc_u64 s[0:1], s[0:1], s[2:3]
	s_lshl_b64 s[2:3], s[16:17], 2
	s_delay_alu instid0(SALU_CYCLE_1) | instskip(NEXT) | instid1(VALU_DEP_1)
	s_add_nc_u64 s[0:1], s[0:1], s[2:3]
	v_add3_u32 v3, v3, 0, 0x80
	s_add_nc_u64 s[0:1], s[10:11], s[0:1]
	s_delay_alu instid0(SALU_CYCLE_1)
	v_lshl_add_u64 v[4:5], v[0:1], 2, s[0:1]
	s_mov_b32 s0, 0
.LBB6_23:                               ; =>This Inner Loop Header: Depth=1
	global_load_b32 v1, v[4:5], off
	ds_load_b32 v6, v3
	v_add_nc_u32_e32 v0, 0x400, v0
	v_add_nc_u32_e32 v3, 0x1000, v3
	s_wait_loadcnt_dscnt 0x0
	v_fmac_f32_e32 v1, v2, v6
	s_delay_alu instid0(VALU_DEP_3) | instskip(SKIP_4) | instid1(SALU_CYCLE_1)
	v_cmp_le_i32_e32 vcc_lo, s30, v0
	global_store_b32 v[4:5], v1, off
	s_wait_xcnt 0x0
	v_add_nc_u64_e32 v[4:5], 0x1000, v[4:5]
	s_or_b32 s0, vcc_lo, s0
	s_and_not1_b32 exec_lo, exec_lo, s0
	s_cbranch_execnz .LBB6_23
.LBB6_24:
	s_endpgm
	.section	.rodata,"a",@progbits
	.p2align	6, 0x0
	.amdhsa_kernel _ZN9rocsolver6v33100L16larf_left_kernelILi1024EfiPfEEvT1_S3_T2_lS3_lPKT0_lS4_lS3_l
		.amdhsa_group_segment_fixed_size 0
		.amdhsa_private_segment_fixed_size 0
		.amdhsa_kernarg_size 88
		.amdhsa_user_sgpr_count 2
		.amdhsa_user_sgpr_dispatch_ptr 0
		.amdhsa_user_sgpr_queue_ptr 0
		.amdhsa_user_sgpr_kernarg_segment_ptr 1
		.amdhsa_user_sgpr_dispatch_id 0
		.amdhsa_user_sgpr_kernarg_preload_length 0
		.amdhsa_user_sgpr_kernarg_preload_offset 0
		.amdhsa_user_sgpr_private_segment_size 0
		.amdhsa_wavefront_size32 1
		.amdhsa_uses_dynamic_stack 0
		.amdhsa_enable_private_segment 0
		.amdhsa_system_sgpr_workgroup_id_x 1
		.amdhsa_system_sgpr_workgroup_id_y 1
		.amdhsa_system_sgpr_workgroup_id_z 1
		.amdhsa_system_sgpr_workgroup_info 0
		.amdhsa_system_vgpr_workitem_id 0
		.amdhsa_next_free_vgpr 20
		.amdhsa_next_free_sgpr 36
		.amdhsa_named_barrier_count 0
		.amdhsa_reserve_vcc 1
		.amdhsa_float_round_mode_32 0
		.amdhsa_float_round_mode_16_64 0
		.amdhsa_float_denorm_mode_32 3
		.amdhsa_float_denorm_mode_16_64 3
		.amdhsa_fp16_overflow 0
		.amdhsa_memory_ordered 1
		.amdhsa_forward_progress 1
		.amdhsa_inst_pref_size 16
		.amdhsa_round_robin_scheduling 0
		.amdhsa_exception_fp_ieee_invalid_op 0
		.amdhsa_exception_fp_denorm_src 0
		.amdhsa_exception_fp_ieee_div_zero 0
		.amdhsa_exception_fp_ieee_overflow 0
		.amdhsa_exception_fp_ieee_underflow 0
		.amdhsa_exception_fp_ieee_inexact 0
		.amdhsa_exception_int_div_zero 0
	.end_amdhsa_kernel
	.section	.text._ZN9rocsolver6v33100L16larf_left_kernelILi1024EfiPfEEvT1_S3_T2_lS3_lPKT0_lS4_lS3_l,"axG",@progbits,_ZN9rocsolver6v33100L16larf_left_kernelILi1024EfiPfEEvT1_S3_T2_lS3_lPKT0_lS4_lS3_l,comdat
.Lfunc_end6:
	.size	_ZN9rocsolver6v33100L16larf_left_kernelILi1024EfiPfEEvT1_S3_T2_lS3_lPKT0_lS4_lS3_l, .Lfunc_end6-_ZN9rocsolver6v33100L16larf_left_kernelILi1024EfiPfEEvT1_S3_T2_lS3_lPKT0_lS4_lS3_l
                                        ; -- End function
	.set _ZN9rocsolver6v33100L16larf_left_kernelILi1024EfiPfEEvT1_S3_T2_lS3_lPKT0_lS4_lS3_l.num_vgpr, 20
	.set _ZN9rocsolver6v33100L16larf_left_kernelILi1024EfiPfEEvT1_S3_T2_lS3_lPKT0_lS4_lS3_l.num_agpr, 0
	.set _ZN9rocsolver6v33100L16larf_left_kernelILi1024EfiPfEEvT1_S3_T2_lS3_lPKT0_lS4_lS3_l.numbered_sgpr, 36
	.set _ZN9rocsolver6v33100L16larf_left_kernelILi1024EfiPfEEvT1_S3_T2_lS3_lPKT0_lS4_lS3_l.num_named_barrier, 0
	.set _ZN9rocsolver6v33100L16larf_left_kernelILi1024EfiPfEEvT1_S3_T2_lS3_lPKT0_lS4_lS3_l.private_seg_size, 0
	.set _ZN9rocsolver6v33100L16larf_left_kernelILi1024EfiPfEEvT1_S3_T2_lS3_lPKT0_lS4_lS3_l.uses_vcc, 1
	.set _ZN9rocsolver6v33100L16larf_left_kernelILi1024EfiPfEEvT1_S3_T2_lS3_lPKT0_lS4_lS3_l.uses_flat_scratch, 0
	.set _ZN9rocsolver6v33100L16larf_left_kernelILi1024EfiPfEEvT1_S3_T2_lS3_lPKT0_lS4_lS3_l.has_dyn_sized_stack, 0
	.set _ZN9rocsolver6v33100L16larf_left_kernelILi1024EfiPfEEvT1_S3_T2_lS3_lPKT0_lS4_lS3_l.has_recursion, 0
	.set _ZN9rocsolver6v33100L16larf_left_kernelILi1024EfiPfEEvT1_S3_T2_lS3_lPKT0_lS4_lS3_l.has_indirect_call, 0
	.section	.AMDGPU.csdata,"",@progbits
; Kernel info:
; codeLenInByte = 2024
; TotalNumSgprs: 38
; NumVgprs: 20
; ScratchSize: 0
; MemoryBound: 0
; FloatMode: 240
; IeeeMode: 1
; LDSByteSize: 0 bytes/workgroup (compile time only)
; SGPRBlocks: 0
; VGPRBlocks: 1
; NumSGPRsForWavesPerEU: 38
; NumVGPRsForWavesPerEU: 20
; NamedBarCnt: 0
; Occupancy: 16
; WaveLimiterHint : 0
; COMPUTE_PGM_RSRC2:SCRATCH_EN: 0
; COMPUTE_PGM_RSRC2:USER_SGPR: 2
; COMPUTE_PGM_RSRC2:TRAP_HANDLER: 0
; COMPUTE_PGM_RSRC2:TGID_X_EN: 1
; COMPUTE_PGM_RSRC2:TGID_Y_EN: 1
; COMPUTE_PGM_RSRC2:TGID_Z_EN: 1
; COMPUTE_PGM_RSRC2:TIDIG_COMP_CNT: 0
	.section	.text._ZN9rocsolver6v33100L17larf_right_kernelILi1024EfiPfEEvT1_S3_T2_lS3_lPKT0_lS4_lS3_l,"axG",@progbits,_ZN9rocsolver6v33100L17larf_right_kernelILi1024EfiPfEEvT1_S3_T2_lS3_lPKT0_lS4_lS3_l,comdat
	.globl	_ZN9rocsolver6v33100L17larf_right_kernelILi1024EfiPfEEvT1_S3_T2_lS3_lPKT0_lS4_lS3_l ; -- Begin function _ZN9rocsolver6v33100L17larf_right_kernelILi1024EfiPfEEvT1_S3_T2_lS3_lPKT0_lS4_lS3_l
	.p2align	8
	.type	_ZN9rocsolver6v33100L17larf_right_kernelILi1024EfiPfEEvT1_S3_T2_lS3_lPKT0_lS4_lS3_l,@function
_ZN9rocsolver6v33100L17larf_right_kernelILi1024EfiPfEEvT1_S3_T2_lS3_lPKT0_lS4_lS3_l: ; @_ZN9rocsolver6v33100L17larf_right_kernelILi1024EfiPfEEvT1_S3_T2_lS3_lPKT0_lS4_lS3_l
; %bb.0:
	s_clause 0x3
	s_load_b32 s19, s[0:1], 0x4
	s_load_b96 s[16:18], s[0:1], 0x40
	s_load_b64 s[12:13], s[0:1], 0x50
	s_load_b256 s[4:11], s[0:1], 0x20
	s_bfe_u32 s2, ttmp6, 0x40010
	s_bfe_u32 s21, ttmp6, 0x40014
	s_and_b32 s14, ttmp7, 0xffff
	s_lshr_b32 s20, ttmp7, 16
	s_add_co_i32 s2, s2, 1
	s_add_co_i32 s21, s21, 1
	s_bfe_u32 s15, ttmp6, 0x40004
	s_bfe_u32 s22, ttmp6, 0x40008
	s_mul_i32 s2, s14, s2
	s_mul_i32 s21, s20, s21
	s_getreg_b32 s23, hwreg(HW_REG_IB_STS2, 6, 4)
	s_add_co_i32 s15, s15, s2
	s_add_co_i32 s22, s22, s21
	s_cmp_eq_u32 s23, 0
	v_mov_b32_e32 v1, 0
	s_mov_b32 s3, 0
	s_cselect_b32 s2, s20, s22
	s_wait_kmcnt 0x0
	v_cmp_gt_i32_e32 vcc_lo, s19, v0
	s_cselect_b32 s30, s14, s15
	s_mul_u64 s[20:21], s[12:13], s[2:3]
	s_and_saveexec_b32 s31, vcc_lo
	s_cbranch_execz .LBB7_12
; %bb.1:
	s_clause 0x1
	s_load_b32 s22, s[0:1], 0x18
	s_load_b128 s[12:15], s[0:1], 0x8
	s_sub_co_i32 s24, 1, s19
	v_xad_u32 v1, v0, -1, s19
	v_lshl_add_u32 v6, v0, 2, 0x80
	v_mov_b32_e32 v2, v0
	s_mul_u64 s[4:5], s[4:5], s[2:3]
	s_mov_b32 s26, -1
                                        ; implicit-def: $vgpr7
	s_wait_kmcnt 0x0
	s_ashr_i32 s23, s22, 31
	s_mul_i32 s24, s22, s24
	v_cmp_lt_i64_e64 s1, s[22:23], 1
	s_and_b32 s1, s1, exec_lo
	s_cselect_b32 s24, s24, 0
	s_mov_b32 s1, exec_lo
	s_ashr_i32 s25, s24, 31
	v_cmpx_lt_u32_e32 0x3ff, v1
	s_cbranch_execz .LBB7_5
; %bb.2:
	v_dual_lshrrev_b32 v1, 10, v1 :: v_dual_mov_b32 v3, 0
	v_lshl_add_u32 v7, v0, 2, 0x80
	s_lshl_b64 s[26:27], s[4:5], 2
	s_lshl_b64 s[28:29], s[14:15], 2
	s_delay_alu instid0(VALU_DEP_2)
	v_add_nc_u32_e32 v8, 1, v1
	v_or_b32_e32 v1, 0x400, v0
	v_add_nc_u32_e32 v10, 0, v7
	s_add_nc_u64 s[26:27], s[12:13], s[26:27]
	s_lshl_b64 s[34:35], s[24:25], 2
	v_and_b32_e32 v9, 0x7ffffe, v8
	v_mov_b64_e32 v[4:5], v[0:1]
	s_add_nc_u64 s[26:27], s[26:27], s[28:29]
	s_mov_b32 s28, s22
	s_add_nc_u64 s[26:27], s[26:27], s[34:35]
	v_mov_b32_e32 v11, v9
	s_mov_b32 s29, s23
	s_mov_b32 s33, 0
.LBB7_3:                                ; =>This Inner Loop Header: Depth=1
	v_dual_mov_b32 v2, v4 :: v_dual_mov_b32 v12, v5
	s_delay_alu instid0(VALU_DEP_2) | instskip(SKIP_1) | instid1(VALU_DEP_3)
	v_dual_mov_b32 v13, v3 :: v_dual_add_nc_u32 v11, -2, v11
	v_add_nc_u32_e32 v5, 0x800, v5
	v_mul_u64_e32 v[14:15], s[22:23], v[2:3]
	v_add_nc_u32_e32 v4, 0x800, v4
	s_delay_alu instid0(VALU_DEP_4)
	v_mul_u64_e32 v[12:13], s[28:29], v[12:13]
	v_cmp_eq_u32_e64 s0, 0, v11
	s_or_b32 s33, s0, s33
	v_lshl_add_u64 v[14:15], v[14:15], 2, s[26:27]
	v_lshl_add_u64 v[12:13], v[12:13], 2, s[26:27]
	s_clause 0x1
	global_load_b32 v1, v[14:15], off
	global_load_b32 v2, v[12:13], off
	s_wait_loadcnt 0x0
	ds_store_2addr_stride64_b32 v10, v1, v2 offset1:16
	v_add_nc_u32_e32 v10, 0x2000, v10
	s_wait_xcnt 0x0
	s_and_not1_b32 exec_lo, exec_lo, s33
	s_cbranch_execnz .LBB7_3
; %bb.4:
	s_or_b32 exec_lo, exec_lo, s33
	v_cmp_ne_u32_e64 s0, v8, v9
	v_lshl_or_b32 v2, v9, 10, v0
	s_or_not1_b32 s26, s0, exec_lo
.LBB7_5:
	s_or_b32 exec_lo, exec_lo, s1
	s_and_saveexec_b32 s1, s26
	s_cbranch_execz .LBB7_9
; %bb.6:
	v_dual_mov_b32 v3, 0 :: v_dual_lshlrev_b32 v1, 2, v2
	s_lshl_b64 s[24:25], s[24:25], 2
	s_lshl_b64 s[14:15], s[14:15], 2
	s_add_nc_u64 s[12:13], s[12:13], s[24:25]
	s_delay_alu instid0(VALU_DEP_1)
	v_mul_u64_e32 v[4:5], s[22:23], v[2:3]
	s_lshl_b64 s[4:5], s[4:5], 2
	s_add_nc_u64 s[12:13], s[12:13], s[14:15]
	v_add3_u32 v1, v1, 0, 0x80
	s_add_nc_u64 s[4:5], s[12:13], s[4:5]
	s_mov_b32 s12, 0
	s_delay_alu instid0(VALU_DEP_2)
	v_lshl_add_u64 v[4:5], v[4:5], 2, s[4:5]
	s_lshl_b64 s[4:5], s[22:23], 12
.LBB7_7:                                ; =>This Inner Loop Header: Depth=1
	global_load_b32 v3, v[4:5], off
	v_add_nc_u32_e32 v2, 0x400, v2
	s_wait_xcnt 0x0
	v_add_nc_u64_e32 v[4:5], s[4:5], v[4:5]
	s_delay_alu instid0(VALU_DEP_2)
	v_cmp_le_i32_e64 s0, s19, v2
	s_or_b32 s12, s0, s12
	s_wait_loadcnt 0x0
	ds_store_b32 v1, v3
	v_add_nc_u32_e32 v1, 0x1000, v1
	s_and_not1_b32 exec_lo, exec_lo, s12
	s_cbranch_execnz .LBB7_7
; %bb.8:
	s_or_b32 exec_lo, exec_lo, s12
	v_mov_b32_e32 v7, v6
.LBB7_9:
	s_or_b32 exec_lo, exec_lo, s1
	s_delay_alu instid0(VALU_DEP_1) | instskip(SKIP_3) | instid1(VALU_DEP_1)
	v_dual_mov_b32 v1, 0 :: v_dual_add_nc_u32 v4, 0, v7
	s_ashr_i32 s5, s18, 31
	s_mov_b32 s4, s18
	s_mov_b32 s1, 0
	v_mul_u64_e32 v[2:3], s[4:5], v[0:1]
	s_lshl_b32 s0, s30, 2
	s_lshl_b64 s[12:13], s[16:17], 2
	s_add_nc_u64 s[14:15], s[10:11], s[0:1]
	s_lshl_b64 s[22:23], s[20:21], 2
	s_add_nc_u64 s[12:13], s[14:15], s[12:13]
	v_mov_b32_e32 v5, v0
	s_add_nc_u64 s[12:13], s[12:13], s[22:23]
	s_lshl_b64 s[4:5], s[4:5], 12
	s_delay_alu instid0(VALU_DEP_2)
	v_lshl_add_u64 v[2:3], v[2:3], 2, s[12:13]
.LBB7_10:                               ; =>This Inner Loop Header: Depth=1
	global_load_b32 v6, v[2:3], off
	ds_load_b32 v7, v4
	v_add_nc_u32_e32 v5, 0x400, v5
	s_wait_xcnt 0x0
	v_add_nc_u64_e32 v[2:3], s[4:5], v[2:3]
	v_add_nc_u32_e32 v4, 0x1000, v4
	s_delay_alu instid0(VALU_DEP_3)
	v_cmp_le_i32_e64 s0, s19, v5
	s_or_b32 s1, s0, s1
	s_wait_loadcnt_dscnt 0x0
	v_fmac_f32_e32 v1, v6, v7
	s_and_not1_b32 exec_lo, exec_lo, s1
	s_cbranch_execnz .LBB7_10
; %bb.11:
	s_or_b32 exec_lo, exec_lo, s1
.LBB7_12:
	s_delay_alu instid0(SALU_CYCLE_1) | instskip(SKIP_2) | instid1(VALU_DEP_1)
	s_or_b32 exec_lo, exec_lo, s31
	v_mbcnt_lo_u32_b32 v2, -1, 0
	s_mov_b32 s1, exec_lo
	v_cmp_ne_u32_e64 s0, 31, v2
	s_delay_alu instid0(VALU_DEP_1) | instskip(SKIP_1) | instid1(VALU_DEP_2)
	v_add_co_ci_u32_e64 v3, null, 0, v2, s0
	v_cmp_gt_u32_e64 s0, 30, v2
	v_lshlrev_b32_e32 v3, 2, v3
	s_delay_alu instid0(VALU_DEP_2)
	v_cndmask_b32_e64 v4, 0, 2, s0
	v_cmp_gt_u32_e64 s0, 28, v2
	ds_bpermute_b32 v3, v3, v1
	v_add_lshl_u32 v4, v4, v2, 2
	s_wait_dscnt 0x0
	v_add_f32_e32 v1, v1, v3
	ds_bpermute_b32 v3, v4, v1
	v_cndmask_b32_e64 v4, 0, 4, s0
	v_cmp_gt_u32_e64 s0, 24, v2
	s_delay_alu instid0(VALU_DEP_2) | instskip(SKIP_4) | instid1(VALU_DEP_1)
	v_add_lshl_u32 v4, v4, v2, 2
	s_wait_dscnt 0x0
	v_add_f32_e32 v1, v1, v3
	ds_bpermute_b32 v3, v4, v1
	v_cndmask_b32_e64 v4, 0, 8, s0
	v_add_lshl_u32 v4, v4, v2, 2
	v_lshl_or_b32 v2, v2, 2, 64
	s_wait_dscnt 0x0
	v_add_f32_e32 v1, v1, v3
	ds_bpermute_b32 v3, v4, v1
	s_wait_dscnt 0x0
	v_dual_add_f32 v1, v1, v3 :: v_dual_bitop2_b32 v3, 31, v0 bitop3:0x40
	ds_bpermute_b32 v2, v2, v1
	s_wait_dscnt 0x0
	v_add_f32_e32 v1, v1, v2
	v_cmpx_eq_u32_e32 0, v3
; %bb.13:
	v_lshrrev_b32_e32 v2, 3, v0
	s_delay_alu instid0(VALU_DEP_1)
	v_add_nc_u32_e32 v2, 0, v2
	ds_store_b32 v2, v1
; %bb.14:
	s_or_b32 exec_lo, exec_lo, s1
	s_delay_alu instid0(SALU_CYCLE_1)
	s_mov_b32 s1, exec_lo
	s_wait_dscnt 0x0
	s_barrier_signal -1
	s_barrier_wait -1
	v_cmpx_eq_u32_e32 0, v0
	s_cbranch_execz .LBB7_16
; %bb.15:
	v_mov_b32_e32 v10, 0
	ds_load_2addr_b32 v[2:3], v10 offset0:1 offset1:2
	ds_load_2addr_b32 v[4:5], v10 offset0:3 offset1:4
	;; [unrolled: 1-line block ×4, first 2 shown]
	s_wait_dscnt 0x3
	v_add_f32_e32 v1, v1, v2
	s_delay_alu instid0(VALU_DEP_1) | instskip(SKIP_3) | instid1(VALU_DEP_1)
	v_add_f32_e32 v1, v1, v3
	ds_load_2addr_b32 v[2:3], v10 offset0:9 offset1:10
	s_wait_dscnt 0x3
	v_add_f32_e32 v1, v1, v4
	v_add_f32_e32 v1, v1, v5
	ds_load_2addr_b32 v[4:5], v10 offset0:11 offset1:12
	s_wait_dscnt 0x3
	v_add_f32_e32 v1, v1, v6
	s_delay_alu instid0(VALU_DEP_1) | instskip(SKIP_1) | instid1(VALU_DEP_1)
	v_add_f32_e32 v1, v1, v7
	s_wait_dscnt 0x2
	v_add_f32_e32 v1, v1, v8
	s_delay_alu instid0(VALU_DEP_1) | instskip(SKIP_4) | instid1(VALU_DEP_1)
	v_add_f32_e32 v1, v1, v9
	ds_load_2addr_b32 v[6:7], v10 offset0:13 offset1:14
	ds_load_2addr_b32 v[8:9], v10 offset0:15 offset1:16
	s_wait_dscnt 0x3
	v_add_f32_e32 v1, v1, v2
	v_add_f32_e32 v1, v1, v3
	ds_load_2addr_b32 v[2:3], v10 offset0:17 offset1:18
	s_wait_dscnt 0x3
	v_add_f32_e32 v1, v1, v4
	s_delay_alu instid0(VALU_DEP_1) | instskip(SKIP_3) | instid1(VALU_DEP_1)
	v_add_f32_e32 v1, v1, v5
	ds_load_2addr_b32 v[4:5], v10 offset0:19 offset1:20
	s_wait_dscnt 0x3
	v_add_f32_e32 v1, v1, v6
	v_add_f32_e32 v1, v1, v7
	s_wait_dscnt 0x2
	s_delay_alu instid0(VALU_DEP_1) | instskip(NEXT) | instid1(VALU_DEP_1)
	v_add_f32_e32 v1, v1, v8
	v_add_f32_e32 v1, v1, v9
	ds_load_2addr_b32 v[6:7], v10 offset0:21 offset1:22
	ds_load_2addr_b32 v[8:9], v10 offset0:23 offset1:24
	s_wait_dscnt 0x3
	v_add_f32_e32 v1, v1, v2
	s_delay_alu instid0(VALU_DEP_1) | instskip(SKIP_3) | instid1(VALU_DEP_1)
	v_add_f32_e32 v1, v1, v3
	ds_load_2addr_b32 v[2:3], v10 offset0:25 offset1:26
	s_wait_dscnt 0x3
	v_add_f32_e32 v1, v1, v4
	v_add_f32_e32 v1, v1, v5
	ds_load_2addr_b32 v[4:5], v10 offset0:27 offset1:28
	s_wait_dscnt 0x3
	v_add_f32_e32 v1, v1, v6
	s_delay_alu instid0(VALU_DEP_1) | instskip(SKIP_1) | instid1(VALU_DEP_1)
	v_add_f32_e32 v1, v1, v7
	s_wait_dscnt 0x2
	v_add_f32_e32 v1, v1, v8
	ds_load_2addr_b32 v[6:7], v10 offset0:29 offset1:30
	ds_load_b32 v8, v10 offset:124
	v_add_f32_e32 v1, v1, v9
	s_wait_dscnt 0x3
	s_delay_alu instid0(VALU_DEP_1) | instskip(NEXT) | instid1(VALU_DEP_1)
	v_add_f32_e32 v1, v1, v2
	v_add_f32_e32 v1, v1, v3
	s_wait_dscnt 0x2
	s_delay_alu instid0(VALU_DEP_1) | instskip(NEXT) | instid1(VALU_DEP_1)
	v_add_f32_e32 v1, v1, v4
	;; [unrolled: 4-line block ×3, first 2 shown]
	v_add_f32_e32 v1, v1, v7
	s_wait_dscnt 0x0
	s_delay_alu instid0(VALU_DEP_1)
	v_add_f32_e32 v1, v1, v8
	ds_store_b32 v10, v1
.LBB7_16:
	s_or_b32 exec_lo, exec_lo, s1
	s_wait_dscnt 0x0
	s_barrier_signal -1
	s_barrier_wait -1
	s_and_saveexec_b32 s0, vcc_lo
	s_cbranch_execz .LBB7_19
; %bb.17:
	v_dual_mov_b32 v1, 0 :: v_dual_lshlrev_b32 v4, 2, v0
	s_mul_u64 s[0:1], s[8:9], s[2:3]
	s_ashr_i32 s3, s18, 31
	s_mov_b32 s2, s18
	s_lshl_b64 s[0:1], s[0:1], 2
	v_mul_u64_e32 v[2:3], s[2:3], v[0:1]
	s_add_nc_u64 s[0:1], s[6:7], s[0:1]
	ds_load_b32 v1, v1
	s_load_b32 s0, s[0:1], 0x0
	s_wait_xcnt 0x0
	s_mov_b32 s1, 0
	s_lshl_b64 s[4:5], s[16:17], 2
	s_lshl_b64 s[8:9], s[20:21], 2
	v_add3_u32 v4, v4, 0, 0x80
	s_lshl_b64 s[2:3], s[2:3], 12
	s_wait_kmcnt 0x0
	s_xor_b32 s12, s0, 0x80000000
	s_lshl_b32 s0, s30, 2
	s_wait_dscnt 0x0
	v_mul_f32_e32 v1, s12, v1
	s_add_nc_u64 s[6:7], s[10:11], s[0:1]
	s_delay_alu instid0(SALU_CYCLE_1) | instskip(NEXT) | instid1(SALU_CYCLE_1)
	s_add_nc_u64 s[4:5], s[6:7], s[4:5]
	s_add_nc_u64 s[4:5], s[4:5], s[8:9]
	s_delay_alu instid0(SALU_CYCLE_1)
	v_lshl_add_u64 v[2:3], v[2:3], 2, s[4:5]
.LBB7_18:                               ; =>This Inner Loop Header: Depth=1
	global_load_b32 v5, v[2:3], off
	ds_load_b32 v6, v4
	v_add_nc_u32_e32 v0, 0x400, v0
	s_wait_loadcnt_dscnt 0x0
	v_dual_fmac_f32 v5, v1, v6 :: v_dual_add_nc_u32 v4, 0x1000, v4
	s_delay_alu instid0(VALU_DEP_2) | instskip(SKIP_4) | instid1(SALU_CYCLE_1)
	v_cmp_le_i32_e32 vcc_lo, s19, v0
	global_store_b32 v[2:3], v5, off
	s_wait_xcnt 0x0
	v_add_nc_u64_e32 v[2:3], s[2:3], v[2:3]
	s_or_b32 s1, vcc_lo, s1
	s_and_not1_b32 exec_lo, exec_lo, s1
	s_cbranch_execnz .LBB7_18
.LBB7_19:
	s_endpgm
	.section	.rodata,"a",@progbits
	.p2align	6, 0x0
	.amdhsa_kernel _ZN9rocsolver6v33100L17larf_right_kernelILi1024EfiPfEEvT1_S3_T2_lS3_lPKT0_lS4_lS3_l
		.amdhsa_group_segment_fixed_size 0
		.amdhsa_private_segment_fixed_size 0
		.amdhsa_kernarg_size 88
		.amdhsa_user_sgpr_count 2
		.amdhsa_user_sgpr_dispatch_ptr 0
		.amdhsa_user_sgpr_queue_ptr 0
		.amdhsa_user_sgpr_kernarg_segment_ptr 1
		.amdhsa_user_sgpr_dispatch_id 0
		.amdhsa_user_sgpr_kernarg_preload_length 0
		.amdhsa_user_sgpr_kernarg_preload_offset 0
		.amdhsa_user_sgpr_private_segment_size 0
		.amdhsa_wavefront_size32 1
		.amdhsa_uses_dynamic_stack 0
		.amdhsa_enable_private_segment 0
		.amdhsa_system_sgpr_workgroup_id_x 1
		.amdhsa_system_sgpr_workgroup_id_y 1
		.amdhsa_system_sgpr_workgroup_id_z 1
		.amdhsa_system_sgpr_workgroup_info 0
		.amdhsa_system_vgpr_workitem_id 0
		.amdhsa_next_free_vgpr 16
		.amdhsa_next_free_sgpr 36
		.amdhsa_named_barrier_count 0
		.amdhsa_reserve_vcc 1
		.amdhsa_float_round_mode_32 0
		.amdhsa_float_round_mode_16_64 0
		.amdhsa_float_denorm_mode_32 3
		.amdhsa_float_denorm_mode_16_64 3
		.amdhsa_fp16_overflow 0
		.amdhsa_memory_ordered 1
		.amdhsa_forward_progress 1
		.amdhsa_inst_pref_size 14
		.amdhsa_round_robin_scheduling 0
		.amdhsa_exception_fp_ieee_invalid_op 0
		.amdhsa_exception_fp_denorm_src 0
		.amdhsa_exception_fp_ieee_div_zero 0
		.amdhsa_exception_fp_ieee_overflow 0
		.amdhsa_exception_fp_ieee_underflow 0
		.amdhsa_exception_fp_ieee_inexact 0
		.amdhsa_exception_int_div_zero 0
	.end_amdhsa_kernel
	.section	.text._ZN9rocsolver6v33100L17larf_right_kernelILi1024EfiPfEEvT1_S3_T2_lS3_lPKT0_lS4_lS3_l,"axG",@progbits,_ZN9rocsolver6v33100L17larf_right_kernelILi1024EfiPfEEvT1_S3_T2_lS3_lPKT0_lS4_lS3_l,comdat
.Lfunc_end7:
	.size	_ZN9rocsolver6v33100L17larf_right_kernelILi1024EfiPfEEvT1_S3_T2_lS3_lPKT0_lS4_lS3_l, .Lfunc_end7-_ZN9rocsolver6v33100L17larf_right_kernelILi1024EfiPfEEvT1_S3_T2_lS3_lPKT0_lS4_lS3_l
                                        ; -- End function
	.set _ZN9rocsolver6v33100L17larf_right_kernelILi1024EfiPfEEvT1_S3_T2_lS3_lPKT0_lS4_lS3_l.num_vgpr, 16
	.set _ZN9rocsolver6v33100L17larf_right_kernelILi1024EfiPfEEvT1_S3_T2_lS3_lPKT0_lS4_lS3_l.num_agpr, 0
	.set _ZN9rocsolver6v33100L17larf_right_kernelILi1024EfiPfEEvT1_S3_T2_lS3_lPKT0_lS4_lS3_l.numbered_sgpr, 36
	.set _ZN9rocsolver6v33100L17larf_right_kernelILi1024EfiPfEEvT1_S3_T2_lS3_lPKT0_lS4_lS3_l.num_named_barrier, 0
	.set _ZN9rocsolver6v33100L17larf_right_kernelILi1024EfiPfEEvT1_S3_T2_lS3_lPKT0_lS4_lS3_l.private_seg_size, 0
	.set _ZN9rocsolver6v33100L17larf_right_kernelILi1024EfiPfEEvT1_S3_T2_lS3_lPKT0_lS4_lS3_l.uses_vcc, 1
	.set _ZN9rocsolver6v33100L17larf_right_kernelILi1024EfiPfEEvT1_S3_T2_lS3_lPKT0_lS4_lS3_l.uses_flat_scratch, 0
	.set _ZN9rocsolver6v33100L17larf_right_kernelILi1024EfiPfEEvT1_S3_T2_lS3_lPKT0_lS4_lS3_l.has_dyn_sized_stack, 0
	.set _ZN9rocsolver6v33100L17larf_right_kernelILi1024EfiPfEEvT1_S3_T2_lS3_lPKT0_lS4_lS3_l.has_recursion, 0
	.set _ZN9rocsolver6v33100L17larf_right_kernelILi1024EfiPfEEvT1_S3_T2_lS3_lPKT0_lS4_lS3_l.has_indirect_call, 0
	.section	.AMDGPU.csdata,"",@progbits
; Kernel info:
; codeLenInByte = 1732
; TotalNumSgprs: 38
; NumVgprs: 16
; ScratchSize: 0
; MemoryBound: 0
; FloatMode: 240
; IeeeMode: 1
; LDSByteSize: 0 bytes/workgroup (compile time only)
; SGPRBlocks: 0
; VGPRBlocks: 0
; NumSGPRsForWavesPerEU: 38
; NumVGPRsForWavesPerEU: 16
; NamedBarCnt: 0
; Occupancy: 16
; WaveLimiterHint : 0
; COMPUTE_PGM_RSRC2:SCRATCH_EN: 0
; COMPUTE_PGM_RSRC2:USER_SGPR: 2
; COMPUTE_PGM_RSRC2:TRAP_HANDLER: 0
; COMPUTE_PGM_RSRC2:TGID_X_EN: 1
; COMPUTE_PGM_RSRC2:TGID_Y_EN: 1
; COMPUTE_PGM_RSRC2:TGID_Z_EN: 1
; COMPUTE_PGM_RSRC2:TIDIG_COMP_CNT: 0
	.section	.text._ZN9rocsolver6v33100L12restore_diagIfifPfEEvPT1_llT2_lT0_lS6_,"axG",@progbits,_ZN9rocsolver6v33100L12restore_diagIfifPfEEvPT1_llT2_lT0_lS6_,comdat
	.globl	_ZN9rocsolver6v33100L12restore_diagIfifPfEEvPT1_llT2_lT0_lS6_ ; -- Begin function _ZN9rocsolver6v33100L12restore_diagIfifPfEEvPT1_llT2_lT0_lS6_
	.p2align	8
	.type	_ZN9rocsolver6v33100L12restore_diagIfifPfEEvPT1_llT2_lT0_lS6_,@function
_ZN9rocsolver6v33100L12restore_diagIfifPfEEvPT1_llT2_lT0_lS6_: ; @_ZN9rocsolver6v33100L12restore_diagIfifPfEEvPT1_llT2_lT0_lS6_
; %bb.0:
	s_clause 0x1
	s_load_u16 s3, s[0:1], 0x4e
	s_load_b32 s4, s[0:1], 0x38
	s_bfe_u32 s2, ttmp6, 0x40010
	s_bfe_u32 s5, ttmp6, 0x40004
	s_add_co_i32 s2, s2, 1
	v_bfe_u32 v0, v0, 10, 10
	s_mul_i32 s2, ttmp7, s2
	s_delay_alu instid0(SALU_CYCLE_1) | instskip(SKIP_1) | instid1(SALU_CYCLE_1)
	s_add_co_i32 s5, s5, s2
	s_getreg_b32 s2, hwreg(HW_REG_IB_STS2, 6, 4)
	s_cmp_eq_u32 s2, 0
	s_cselect_b32 s5, ttmp7, s5
	s_wait_kmcnt 0x0
	v_mad_u32 v0, s5, s3, v0
	s_mov_b32 s3, exec_lo
	s_delay_alu instid0(VALU_DEP_1)
	v_cmpx_gt_i32_e64 s4, v0
	s_cbranch_execz .LBB8_2
; %bb.1:
	s_load_b256 s[4:11], s[0:1], 0x0
	s_bfe_u32 s3, ttmp6, 0x4000c
	s_and_b32 s12, ttmp6, 15
	s_add_co_i32 s3, s3, 1
	s_delay_alu instid0(SALU_CYCLE_1) | instskip(NEXT) | instid1(SALU_CYCLE_1)
	s_mul_i32 s3, ttmp9, s3
	s_add_co_i32 s12, s12, s3
	s_cmp_eq_u32 s2, 0
	s_cselect_b32 s2, ttmp9, s12
	s_delay_alu instid0(SALU_CYCLE_1) | instskip(SKIP_4) | instid1(SALU_CYCLE_1)
	s_ashr_i32 s3, s2, 31
	s_wait_kmcnt 0x0
	s_mul_u64 s[8:9], s[8:9], s[2:3]
	s_lshl_b64 s[6:7], s[6:7], 2
	s_lshl_b64 s[8:9], s[8:9], 2
	s_add_nc_u64 s[4:5], s[4:5], s[8:9]
	s_delay_alu instid0(SALU_CYCLE_1)
	s_add_nc_u64 s[4:5], s[4:5], s[6:7]
	global_load_b32 v1, v0, s[4:5] scale_offset
	s_wait_xcnt 0x0
	s_clause 0x1
	s_load_b96 s[4:6], s[0:1], 0x20
	s_load_b64 s[8:9], s[0:1], 0x30
	s_wait_kmcnt 0x0
	v_mad_u32 v0, v0, s6, v0
	s_mul_u64 s[0:1], s[8:9], s[2:3]
	s_lshl_b64 s[2:3], s[4:5], 2
	s_lshl_b64 s[0:1], s[0:1], 2
	s_delay_alu instid0(SALU_CYCLE_1) | instskip(NEXT) | instid1(SALU_CYCLE_1)
	s_add_nc_u64 s[0:1], s[10:11], s[0:1]
	s_add_nc_u64 s[0:1], s[0:1], s[2:3]
	s_wait_loadcnt 0x0
	global_store_b32 v0, v1, s[0:1] scale_offset
.LBB8_2:
	s_endpgm
	.section	.rodata,"a",@progbits
	.p2align	6, 0x0
	.amdhsa_kernel _ZN9rocsolver6v33100L12restore_diagIfifPfEEvPT1_llT2_lT0_lS6_
		.amdhsa_group_segment_fixed_size 0
		.amdhsa_private_segment_fixed_size 0
		.amdhsa_kernarg_size 320
		.amdhsa_user_sgpr_count 2
		.amdhsa_user_sgpr_dispatch_ptr 0
		.amdhsa_user_sgpr_queue_ptr 0
		.amdhsa_user_sgpr_kernarg_segment_ptr 1
		.amdhsa_user_sgpr_dispatch_id 0
		.amdhsa_user_sgpr_kernarg_preload_length 0
		.amdhsa_user_sgpr_kernarg_preload_offset 0
		.amdhsa_user_sgpr_private_segment_size 0
		.amdhsa_wavefront_size32 1
		.amdhsa_uses_dynamic_stack 0
		.amdhsa_enable_private_segment 0
		.amdhsa_system_sgpr_workgroup_id_x 1
		.amdhsa_system_sgpr_workgroup_id_y 1
		.amdhsa_system_sgpr_workgroup_id_z 0
		.amdhsa_system_sgpr_workgroup_info 0
		.amdhsa_system_vgpr_workitem_id 1
		.amdhsa_next_free_vgpr 2
		.amdhsa_next_free_sgpr 13
		.amdhsa_named_barrier_count 0
		.amdhsa_reserve_vcc 0
		.amdhsa_float_round_mode_32 0
		.amdhsa_float_round_mode_16_64 0
		.amdhsa_float_denorm_mode_32 3
		.amdhsa_float_denorm_mode_16_64 3
		.amdhsa_fp16_overflow 0
		.amdhsa_memory_ordered 1
		.amdhsa_forward_progress 1
		.amdhsa_inst_pref_size 3
		.amdhsa_round_robin_scheduling 0
		.amdhsa_exception_fp_ieee_invalid_op 0
		.amdhsa_exception_fp_denorm_src 0
		.amdhsa_exception_fp_ieee_div_zero 0
		.amdhsa_exception_fp_ieee_overflow 0
		.amdhsa_exception_fp_ieee_underflow 0
		.amdhsa_exception_fp_ieee_inexact 0
		.amdhsa_exception_int_div_zero 0
	.end_amdhsa_kernel
	.section	.text._ZN9rocsolver6v33100L12restore_diagIfifPfEEvPT1_llT2_lT0_lS6_,"axG",@progbits,_ZN9rocsolver6v33100L12restore_diagIfifPfEEvPT1_llT2_lT0_lS6_,comdat
.Lfunc_end8:
	.size	_ZN9rocsolver6v33100L12restore_diagIfifPfEEvPT1_llT2_lT0_lS6_, .Lfunc_end8-_ZN9rocsolver6v33100L12restore_diagIfifPfEEvPT1_llT2_lT0_lS6_
                                        ; -- End function
	.set _ZN9rocsolver6v33100L12restore_diagIfifPfEEvPT1_llT2_lT0_lS6_.num_vgpr, 2
	.set _ZN9rocsolver6v33100L12restore_diagIfifPfEEvPT1_llT2_lT0_lS6_.num_agpr, 0
	.set _ZN9rocsolver6v33100L12restore_diagIfifPfEEvPT1_llT2_lT0_lS6_.numbered_sgpr, 13
	.set _ZN9rocsolver6v33100L12restore_diagIfifPfEEvPT1_llT2_lT0_lS6_.num_named_barrier, 0
	.set _ZN9rocsolver6v33100L12restore_diagIfifPfEEvPT1_llT2_lT0_lS6_.private_seg_size, 0
	.set _ZN9rocsolver6v33100L12restore_diagIfifPfEEvPT1_llT2_lT0_lS6_.uses_vcc, 0
	.set _ZN9rocsolver6v33100L12restore_diagIfifPfEEvPT1_llT2_lT0_lS6_.uses_flat_scratch, 0
	.set _ZN9rocsolver6v33100L12restore_diagIfifPfEEvPT1_llT2_lT0_lS6_.has_dyn_sized_stack, 0
	.set _ZN9rocsolver6v33100L12restore_diagIfifPfEEvPT1_llT2_lT0_lS6_.has_recursion, 0
	.set _ZN9rocsolver6v33100L12restore_diagIfifPfEEvPT1_llT2_lT0_lS6_.has_indirect_call, 0
	.section	.AMDGPU.csdata,"",@progbits
; Kernel info:
; codeLenInByte = 276
; TotalNumSgprs: 13
; NumVgprs: 2
; ScratchSize: 0
; MemoryBound: 0
; FloatMode: 240
; IeeeMode: 1
; LDSByteSize: 0 bytes/workgroup (compile time only)
; SGPRBlocks: 0
; VGPRBlocks: 0
; NumSGPRsForWavesPerEU: 13
; NumVGPRsForWavesPerEU: 2
; NamedBarCnt: 0
; Occupancy: 16
; WaveLimiterHint : 0
; COMPUTE_PGM_RSRC2:SCRATCH_EN: 0
; COMPUTE_PGM_RSRC2:USER_SGPR: 2
; COMPUTE_PGM_RSRC2:TRAP_HANDLER: 0
; COMPUTE_PGM_RSRC2:TGID_X_EN: 1
; COMPUTE_PGM_RSRC2:TGID_Y_EN: 1
; COMPUTE_PGM_RSRC2:TGID_Z_EN: 0
; COMPUTE_PGM_RSRC2:TIDIG_COMP_CNT: 1
	.section	.text._ZN9rocsolver6v33100L14set_triangularIfPfTnNSt9enable_ifIXnt18rocblas_is_complexIT_EEiE4typeELi0EEEviiT0_iilPS4_lS8_il15rocblas_direct_15rocblas_storev_b,"axG",@progbits,_ZN9rocsolver6v33100L14set_triangularIfPfTnNSt9enable_ifIXnt18rocblas_is_complexIT_EEiE4typeELi0EEEviiT0_iilPS4_lS8_il15rocblas_direct_15rocblas_storev_b,comdat
	.globl	_ZN9rocsolver6v33100L14set_triangularIfPfTnNSt9enable_ifIXnt18rocblas_is_complexIT_EEiE4typeELi0EEEviiT0_iilPS4_lS8_il15rocblas_direct_15rocblas_storev_b ; -- Begin function _ZN9rocsolver6v33100L14set_triangularIfPfTnNSt9enable_ifIXnt18rocblas_is_complexIT_EEiE4typeELi0EEEviiT0_iilPS4_lS8_il15rocblas_direct_15rocblas_storev_b
	.p2align	8
	.type	_ZN9rocsolver6v33100L14set_triangularIfPfTnNSt9enable_ifIXnt18rocblas_is_complexIT_EEiE4typeELi0EEEviiT0_iilPS4_lS8_il15rocblas_direct_15rocblas_storev_b,@function
_ZN9rocsolver6v33100L14set_triangularIfPfTnNSt9enable_ifIXnt18rocblas_is_complexIT_EEiE4typeELi0EEEviiT0_iilPS4_lS8_il15rocblas_direct_15rocblas_storev_b: ; @_ZN9rocsolver6v33100L14set_triangularIfPfTnNSt9enable_ifIXnt18rocblas_is_complexIT_EEiE4typeELi0EEEviiT0_iilPS4_lS8_il15rocblas_direct_15rocblas_storev_b
; %bb.0:
	s_clause 0x1
	s_load_b32 s2, s[0:1], 0x64
	s_load_b64 s[18:19], s[0:1], 0x0
	s_bfe_u32 s5, ttmp6, 0x40010
	s_bfe_u32 s8, ttmp6, 0x4000c
	s_and_b32 s4, ttmp7, 0xffff
	s_add_co_i32 s5, s5, 1
	s_add_co_i32 s8, s8, 1
	s_bfe_u32 s6, ttmp6, 0x40004
	s_and_b32 s7, ttmp6, 15
	s_mul_i32 s5, s4, s5
	s_mul_i32 s8, ttmp9, s8
	s_getreg_b32 s3, hwreg(HW_REG_IB_STS2, 6, 4)
	v_and_b32_e32 v1, 0x3ff, v0
	v_bfe_u32 v2, v0, 10, 10
	s_add_co_i32 s6, s6, s5
	s_add_co_i32 s7, s7, s8
	s_mov_b32 s21, 0
	s_wait_kmcnt 0x0
	s_lshr_b32 s5, s2, 16
	s_and_b32 s2, s2, 0xffff
	s_cmp_eq_u32 s3, 0
	s_cselect_b32 s7, ttmp9, s7
	s_cselect_b32 s4, s4, s6
	v_mad_u32 v0, s7, s2, v1
	v_mad_u32 v2, s4, s5, v2
	s_mov_b32 s2, exec_lo
	s_delay_alu instid0(VALU_DEP_1) | instskip(NEXT) | instid1(VALU_DEP_1)
	v_max_u32_e32 v1, v0, v2
	v_cmpx_gt_u32_e64 s19, v1
	s_cbranch_execz .LBB9_36
; %bb.1:
	s_clause 0x2
	s_load_b256 s[4:11], s[0:1], 0x18
	s_load_b64 s[12:13], s[0:1], 0x40
	s_load_b32 s2, s[0:1], 0x38
	s_bfe_u32 s14, ttmp6, 0x40014
	s_lshr_b32 s15, ttmp7, 16
	s_add_co_i32 s14, s14, 1
	s_bfe_u32 s16, ttmp6, 0x40008
	s_mul_i32 s14, s15, s14
	s_delay_alu instid0(SALU_CYCLE_1)
	s_add_co_i32 s16, s16, s14
	s_cmp_eq_u32 s3, 0
	s_mov_b32 s3, exec_lo
	s_cselect_b32 s20, s15, s16
	s_wait_kmcnt 0x0
	s_mul_u64 s[8:9], s[8:9], s[20:21]
	s_mul_u64 s[12:13], s[12:13], s[20:21]
	s_lshl_b64 s[8:9], s[8:9], 2
	s_lshl_b64 s[12:13], s[12:13], 2
	s_add_nc_u64 s[16:17], s[6:7], s[8:9]
	s_add_nc_u64 s[6:7], s[10:11], s[12:13]
	v_cmpx_ne_u32_e64 v2, v0
	s_xor_b32 s15, exec_lo, s3
	s_cbranch_execz .LBB9_34
; %bb.2:
	s_clause 0x1
	s_load_b128 s[8:11], s[0:1], 0x8
	s_load_b96 s[12:14], s[0:1], 0x48
	s_wait_xcnt 0x0
	s_mul_u64 s[0:1], s[4:5], s[20:21]
	v_mov_b32_e32 v1, 0
	s_lshl_b64 s[0:1], s[0:1], 2
	s_wait_kmcnt 0x0
	s_ashr_i32 s5, s10, 31
	s_mov_b32 s4, s10
	s_add_nc_u64 s[0:1], s[8:9], s[0:1]
	s_lshl_b64 s[4:5], s[4:5], 2
	s_bitcmp1_b32 s14, 0
	s_add_nc_u64 s[0:1], s[0:1], s[4:5]
	s_cselect_b32 s3, -1, 0
	s_delay_alu instid0(SALU_CYCLE_1)
	s_xor_b32 s4, s3, -1
	s_cmp_lg_u32 s12, 0xab
	s_mov_b32 s3, -1
	s_cbranch_scc0 .LBB9_18
; %bb.3:
	s_mov_b32 s3, exec_lo
	v_cmpx_le_u32_e64 v2, v0
	s_xor_b32 s5, exec_lo, s3
	s_cbranch_execz .LBB9_5
; %bb.4:
	s_ashr_i32 s3, s2, 31
	v_mov_b32_e32 v3, 0
	v_mul_u64_e32 v[4:5], s[2:3], v[0:1]
	s_delay_alu instid0(VALU_DEP_1) | instskip(NEXT) | instid1(VALU_DEP_1)
	v_lshl_add_u64 v[4:5], v[4:5], 2, s[6:7]
	v_lshl_add_u64 v[4:5], v[2:3], 2, v[4:5]
	global_store_b32 v[4:5], v3, off
.LBB9_5:
	s_wait_xcnt 0x0
	s_and_not1_saveexec_b32 s5, s5
	s_cbranch_execz .LBB9_17
; %bb.6:
	v_lshl_add_u64 v[4:5], v[0:1], 2, s[16:17]
	s_cmp_lg_u32 s13, 0xb5
	s_mov_b32 s3, -1
	global_load_b32 v6, v[4:5], off
	s_cbranch_scc0 .LBB9_12
; %bb.7:
	v_mov_b32_e32 v3, 0
	s_and_not1_b32 vcc_lo, exec_lo, s4
	s_wait_xcnt 0x0
	s_delay_alu instid0(VALU_DEP_1)
	v_lshlrev_b64_e32 v[4:5], 2, v[2:3]
	s_cbranch_vccnz .LBB9_9
; %bb.8:
	s_sub_co_i32 s3, s18, s19
	s_ashr_i32 s9, s11, 31
	v_dual_mov_b32 v9, v3 :: v_dual_add_nc_u32 v8, s3, v0
	s_mov_b32 s8, s11
	s_ashr_i32 s3, s2, 31
	s_delay_alu instid0(VALU_DEP_1) | instskip(NEXT) | instid1(VALU_DEP_1)
	v_mul_u64_e32 v[8:9], s[8:9], v[8:9]
	v_lshl_add_u64 v[8:9], v[8:9], 2, s[0:1]
	s_delay_alu instid0(VALU_DEP_1) | instskip(SKIP_4) | instid1(VALU_DEP_1)
	v_add_nc_u64_e32 v[8:9], v[8:9], v[4:5]
	global_load_b32 v3, v[8:9], off
	s_wait_xcnt 0x0
	v_mul_u64_e32 v[8:9], s[2:3], v[0:1]
	s_mov_b32 s3, 0
	v_lshl_add_u64 v[8:9], v[8:9], 2, s[6:7]
	s_delay_alu instid0(VALU_DEP_1)
	v_add_nc_u64_e32 v[8:9], v[8:9], v[4:5]
	s_wait_loadcnt 0x0
	v_mul_f32_e64 v3, v3, -v6
	global_store_b32 v[8:9], v3, off
.LBB9_9:
	s_and_not1_b32 vcc_lo, exec_lo, s3
	s_cbranch_vccnz .LBB9_11
; %bb.10:
	s_sub_co_i32 s3, s18, s19
	s_ashr_i32 s9, s11, 31
	s_wait_xcnt 0x0
	v_dual_mov_b32 v9, 0 :: v_dual_add_nc_u32 v8, s3, v0
	s_ashr_i32 s3, s2, 31
	s_mov_b32 s8, s11
	v_mul_u64_e32 v[10:11], s[2:3], v[0:1]
	s_delay_alu instid0(VALU_DEP_2) | instskip(NEXT) | instid1(VALU_DEP_2)
	v_mul_u64_e32 v[8:9], s[8:9], v[8:9]
	v_lshl_add_u64 v[10:11], v[10:11], 2, s[6:7]
	s_delay_alu instid0(VALU_DEP_2) | instskip(NEXT) | instid1(VALU_DEP_2)
	v_lshl_add_u64 v[8:9], v[8:9], 2, s[0:1]
	v_add_nc_u64_e32 v[10:11], v[10:11], v[4:5]
	s_delay_alu instid0(VALU_DEP_2) | instskip(SKIP_4) | instid1(VALU_DEP_1)
	v_add_nc_u64_e32 v[4:5], v[8:9], v[4:5]
	global_load_b32 v3, v[10:11], off
	global_load_b32 v7, v[4:5], off
	s_wait_loadcnt 0x0
	v_add_f32_e32 v3, v3, v7
	v_mul_f32_e64 v3, v3, -v6
	global_store_b32 v[10:11], v3, off
.LBB9_11:
	s_mov_b32 s3, 0
.LBB9_12:
	s_delay_alu instid0(SALU_CYCLE_1)
	s_and_not1_b32 vcc_lo, exec_lo, s3
	s_cbranch_vccnz .LBB9_17
; %bb.13:
	s_and_not1_b32 vcc_lo, exec_lo, s4
	s_mov_b32 s3, -1
	s_cbranch_vccnz .LBB9_15
; %bb.14:
	s_sub_co_i32 s3, s18, s19
	s_wait_xcnt 0x0
	v_dual_mov_b32 v5, 0 :: v_dual_add_nc_u32 v4, s3, v0
	s_ashr_i32 s9, s11, 31
	s_mov_b32 s8, s11
	s_ashr_i32 s3, s2, 31
	s_delay_alu instid0(VALU_DEP_1) | instskip(NEXT) | instid1(VALU_DEP_1)
	v_mov_b32_e32 v3, v5
	v_mul_u64_e32 v[8:9], s[8:9], v[2:3]
	s_delay_alu instid0(VALU_DEP_1) | instskip(NEXT) | instid1(VALU_DEP_1)
	v_lshl_add_u64 v[8:9], v[8:9], 2, s[0:1]
	v_lshl_add_u64 v[4:5], v[4:5], 2, v[8:9]
	global_load_b32 v7, v[4:5], off
	s_wait_xcnt 0x0
	v_mul_u64_e32 v[4:5], s[2:3], v[0:1]
	s_mov_b32 s3, 0
	s_delay_alu instid0(VALU_DEP_1) | instskip(SKIP_2) | instid1(VALU_DEP_2)
	v_lshl_add_u64 v[4:5], v[4:5], 2, s[6:7]
	s_wait_loadcnt 0x0
	v_mul_f32_e64 v7, v7, -v6
	v_lshl_add_u64 v[4:5], v[2:3], 2, v[4:5]
	global_store_b32 v[4:5], v7, off
.LBB9_15:
	s_and_not1_b32 vcc_lo, exec_lo, s3
	s_cbranch_vccnz .LBB9_17
; %bb.16:
	s_ashr_i32 s3, s2, 31
	s_ashr_i32 s9, s11, 31
	s_wait_xcnt 0x0
	v_mul_u64_e32 v[4:5], s[2:3], v[0:1]
	s_sub_co_i32 s3, s18, s19
	s_delay_alu instid0(SALU_CYCLE_1)
	v_dual_mov_b32 v3, 0 :: v_dual_add_nc_u32 v10, s3, v0
	s_mov_b32 s8, s11
	s_delay_alu instid0(VALU_DEP_1) | instid1(SALU_CYCLE_1)
	v_mul_u64_e32 v[8:9], s[8:9], v[2:3]
	v_mov_b32_e32 v11, v3
	s_delay_alu instid0(VALU_DEP_4) | instskip(NEXT) | instid1(VALU_DEP_1)
	v_lshl_add_u64 v[4:5], v[4:5], 2, s[6:7]
	v_lshl_add_u64 v[4:5], v[2:3], 2, v[4:5]
	s_delay_alu instid0(VALU_DEP_4) | instskip(NEXT) | instid1(VALU_DEP_1)
	v_lshl_add_u64 v[8:9], v[8:9], 2, s[0:1]
	v_lshl_add_u64 v[8:9], v[10:11], 2, v[8:9]
	global_load_b32 v3, v[4:5], off
	global_load_b32 v7, v[8:9], off
	s_wait_loadcnt 0x0
	v_add_f32_e32 v3, v3, v7
	s_delay_alu instid0(VALU_DEP_1)
	v_mul_f32_e64 v3, v3, -v6
	global_store_b32 v[4:5], v3, off
.LBB9_17:
	s_wait_xcnt 0x0
	s_or_b32 exec_lo, exec_lo, s5
	s_mov_b32 s3, 0
.LBB9_18:
	s_delay_alu instid0(SALU_CYCLE_1)
	s_and_not1_b32 vcc_lo, exec_lo, s3
	s_cbranch_vccnz .LBB9_34
; %bb.19:
	s_mov_b32 s3, exec_lo
	v_cmpx_ge_u32_e64 v2, v0
	s_xor_b32 s5, exec_lo, s3
	s_cbranch_execz .LBB9_21
; %bb.20:
	s_ashr_i32 s3, s2, 31
	v_mov_b32_e32 v3, 0
	v_mul_u64_e32 v[0:1], s[2:3], v[0:1]
	s_delay_alu instid0(VALU_DEP_1) | instskip(NEXT) | instid1(VALU_DEP_1)
	v_lshl_add_u64 v[0:1], v[0:1], 2, s[6:7]
	v_lshl_add_u64 v[0:1], v[2:3], 2, v[0:1]
                                        ; implicit-def: $vgpr2
	global_store_b32 v[0:1], v3, off
                                        ; implicit-def: $vgpr0_vgpr1
.LBB9_21:
	s_wait_xcnt 0x0
	s_and_not1_saveexec_b32 s5, s5
	s_cbranch_execz .LBB9_33
; %bb.22:
	v_lshl_add_u64 v[4:5], v[0:1], 2, s[16:17]
	v_mov_b32_e32 v3, 0
	s_cmp_lg_u32 s13, 0xb5
	s_mov_b32 s3, -1
	s_wait_loadcnt 0x0
	global_load_b32 v6, v[4:5], off
	s_wait_xcnt 0x0
	v_cndmask_b32_e64 v4, 0, 1, s4
	s_delay_alu instid0(VALU_DEP_1)
	v_cmp_ne_u32_e32 vcc_lo, 1, v4
	s_cbranch_scc0 .LBB9_28
; %bb.23:
	v_lshlrev_b64_e32 v[4:5], 2, v[2:3]
	s_and_b32 vcc_lo, exec_lo, vcc_lo
	s_cbranch_vccnz .LBB9_25
; %bb.24:
	s_ashr_i32 s9, s11, 31
	s_mov_b32 s8, s11
	s_ashr_i32 s3, s2, 31
	v_mul_u64_e32 v[8:9], s[8:9], v[0:1]
	s_delay_alu instid0(VALU_DEP_1) | instskip(NEXT) | instid1(VALU_DEP_1)
	v_lshl_add_u64 v[8:9], v[8:9], 2, s[0:1]
	v_add_nc_u64_e32 v[8:9], v[8:9], v[4:5]
	global_load_b32 v7, v[8:9], off
	s_wait_xcnt 0x0
	v_mul_u64_e32 v[8:9], s[2:3], v[0:1]
	s_mov_b32 s3, 0
	s_delay_alu instid0(VALU_DEP_1) | instskip(NEXT) | instid1(VALU_DEP_1)
	v_lshl_add_u64 v[8:9], v[8:9], 2, s[6:7]
	v_add_nc_u64_e32 v[8:9], v[8:9], v[4:5]
	s_wait_loadcnt 0x0
	v_mul_f32_e64 v7, v7, -v6
	global_store_b32 v[8:9], v7, off
.LBB9_25:
	s_and_not1_b32 vcc_lo, exec_lo, s3
	s_cbranch_vccnz .LBB9_27
; %bb.26:
	s_ashr_i32 s3, s2, 31
	s_ashr_i32 s9, s11, 31
	s_mov_b32 s8, s11
	s_wait_xcnt 0x0
	v_mul_u64_e32 v[8:9], s[2:3], v[0:1]
	v_mul_u64_e32 v[10:11], s[8:9], v[0:1]
	s_delay_alu instid0(VALU_DEP_2) | instskip(NEXT) | instid1(VALU_DEP_2)
	v_lshl_add_u64 v[8:9], v[8:9], 2, s[6:7]
	v_lshl_add_u64 v[10:11], v[10:11], 2, s[0:1]
	s_delay_alu instid0(VALU_DEP_2) | instskip(NEXT) | instid1(VALU_DEP_2)
	v_add_nc_u64_e32 v[8:9], v[8:9], v[4:5]
	v_add_nc_u64_e32 v[4:5], v[10:11], v[4:5]
	global_load_b32 v7, v[8:9], off
	global_load_b32 v10, v[4:5], off
	s_wait_loadcnt 0x0
	v_add_f32_e32 v4, v7, v10
	s_delay_alu instid0(VALU_DEP_1)
	v_mul_f32_e64 v4, v4, -v6
	global_store_b32 v[8:9], v4, off
.LBB9_27:
	s_mov_b32 s3, 0
.LBB9_28:
	s_delay_alu instid0(SALU_CYCLE_1)
	s_and_not1_b32 vcc_lo, exec_lo, s3
	s_cbranch_vccnz .LBB9_33
; %bb.29:
	s_and_not1_b32 vcc_lo, exec_lo, s4
	s_mov_b32 s3, -1
	s_cbranch_vccnz .LBB9_31
; %bb.30:
	s_ashr_i32 s9, s11, 31
	s_mov_b32 s8, s11
	s_ashr_i32 s3, s2, 31
	s_wait_xcnt 0x0
	v_mul_u64_e32 v[4:5], s[8:9], v[2:3]
	s_delay_alu instid0(VALU_DEP_1) | instskip(NEXT) | instid1(VALU_DEP_1)
	v_lshl_add_u64 v[4:5], v[4:5], 2, s[0:1]
	v_lshl_add_u64 v[4:5], v[0:1], 2, v[4:5]
	global_load_b32 v7, v[4:5], off
	s_wait_xcnt 0x0
	v_mul_u64_e32 v[4:5], s[2:3], v[0:1]
	s_mov_b32 s3, 0
	s_delay_alu instid0(VALU_DEP_1) | instskip(NEXT) | instid1(VALU_DEP_1)
	v_lshl_add_u64 v[4:5], v[4:5], 2, s[6:7]
	v_lshl_add_u64 v[4:5], v[2:3], 2, v[4:5]
	s_wait_loadcnt 0x0
	v_mul_f32_e64 v7, v7, -v6
	global_store_b32 v[4:5], v7, off
.LBB9_31:
	s_and_not1_b32 vcc_lo, exec_lo, s3
	s_cbranch_vccnz .LBB9_33
; %bb.32:
	s_ashr_i32 s3, s2, 31
	s_ashr_i32 s9, s11, 31
	s_mov_b32 s8, s11
	s_wait_xcnt 0x0
	v_mul_u64_e32 v[4:5], s[2:3], v[0:1]
	v_mul_u64_e32 v[8:9], s[8:9], v[2:3]
	s_delay_alu instid0(VALU_DEP_2) | instskip(NEXT) | instid1(VALU_DEP_2)
	v_lshl_add_u64 v[4:5], v[4:5], 2, s[6:7]
	v_lshl_add_u64 v[8:9], v[8:9], 2, s[0:1]
	s_delay_alu instid0(VALU_DEP_2) | instskip(NEXT) | instid1(VALU_DEP_2)
	v_lshl_add_u64 v[2:3], v[2:3], 2, v[4:5]
	v_lshl_add_u64 v[0:1], v[0:1], 2, v[8:9]
	global_load_b32 v4, v[2:3], off
	global_load_b32 v5, v[0:1], off
	s_wait_loadcnt 0x0
	v_add_f32_e32 v0, v4, v5
	s_delay_alu instid0(VALU_DEP_1)
	v_mul_f32_e64 v0, v0, -v6
	global_store_b32 v[2:3], v0, off
.LBB9_33:
	s_wait_xcnt 0x0
	s_or_b32 exec_lo, exec_lo, s5
                                        ; implicit-def: $vgpr0
.LBB9_34:
	s_and_not1_saveexec_b32 s0, s15
	s_cbranch_execz .LBB9_36
; %bb.35:
	global_load_b32 v4, v0, s[16:17] scale_offset
	v_mov_b32_e32 v1, 0
	s_ashr_i32 s3, s2, 31
	s_delay_alu instid0(VALU_DEP_1) | instid1(SALU_CYCLE_1)
	v_mul_u64_e32 v[2:3], s[2:3], v[0:1]
	s_wait_xcnt 0x0
	v_lshlrev_b64_e32 v[0:1], 2, v[0:1]
	s_delay_alu instid0(VALU_DEP_2) | instskip(NEXT) | instid1(VALU_DEP_1)
	v_lshl_add_u64 v[2:3], v[2:3], 2, s[6:7]
	v_add_nc_u64_e32 v[0:1], v[2:3], v[0:1]
	s_wait_loadcnt 0x0
	global_store_b32 v[0:1], v4, off
.LBB9_36:
	s_endpgm
	.section	.rodata,"a",@progbits
	.p2align	6, 0x0
	.amdhsa_kernel _ZN9rocsolver6v33100L14set_triangularIfPfTnNSt9enable_ifIXnt18rocblas_is_complexIT_EEiE4typeELi0EEEviiT0_iilPS4_lS8_il15rocblas_direct_15rocblas_storev_b
		.amdhsa_group_segment_fixed_size 0
		.amdhsa_private_segment_fixed_size 0
		.amdhsa_kernarg_size 344
		.amdhsa_user_sgpr_count 2
		.amdhsa_user_sgpr_dispatch_ptr 0
		.amdhsa_user_sgpr_queue_ptr 0
		.amdhsa_user_sgpr_kernarg_segment_ptr 1
		.amdhsa_user_sgpr_dispatch_id 0
		.amdhsa_user_sgpr_kernarg_preload_length 0
		.amdhsa_user_sgpr_kernarg_preload_offset 0
		.amdhsa_user_sgpr_private_segment_size 0
		.amdhsa_wavefront_size32 1
		.amdhsa_uses_dynamic_stack 0
		.amdhsa_enable_private_segment 0
		.amdhsa_system_sgpr_workgroup_id_x 1
		.amdhsa_system_sgpr_workgroup_id_y 1
		.amdhsa_system_sgpr_workgroup_id_z 1
		.amdhsa_system_sgpr_workgroup_info 0
		.amdhsa_system_vgpr_workitem_id 1
		.amdhsa_next_free_vgpr 12
		.amdhsa_next_free_sgpr 22
		.amdhsa_named_barrier_count 0
		.amdhsa_reserve_vcc 1
		.amdhsa_float_round_mode_32 0
		.amdhsa_float_round_mode_16_64 0
		.amdhsa_float_denorm_mode_32 3
		.amdhsa_float_denorm_mode_16_64 3
		.amdhsa_fp16_overflow 0
		.amdhsa_memory_ordered 1
		.amdhsa_forward_progress 1
		.amdhsa_inst_pref_size 15
		.amdhsa_round_robin_scheduling 0
		.amdhsa_exception_fp_ieee_invalid_op 0
		.amdhsa_exception_fp_denorm_src 0
		.amdhsa_exception_fp_ieee_div_zero 0
		.amdhsa_exception_fp_ieee_overflow 0
		.amdhsa_exception_fp_ieee_underflow 0
		.amdhsa_exception_fp_ieee_inexact 0
		.amdhsa_exception_int_div_zero 0
	.end_amdhsa_kernel
	.section	.text._ZN9rocsolver6v33100L14set_triangularIfPfTnNSt9enable_ifIXnt18rocblas_is_complexIT_EEiE4typeELi0EEEviiT0_iilPS4_lS8_il15rocblas_direct_15rocblas_storev_b,"axG",@progbits,_ZN9rocsolver6v33100L14set_triangularIfPfTnNSt9enable_ifIXnt18rocblas_is_complexIT_EEiE4typeELi0EEEviiT0_iilPS4_lS8_il15rocblas_direct_15rocblas_storev_b,comdat
.Lfunc_end9:
	.size	_ZN9rocsolver6v33100L14set_triangularIfPfTnNSt9enable_ifIXnt18rocblas_is_complexIT_EEiE4typeELi0EEEviiT0_iilPS4_lS8_il15rocblas_direct_15rocblas_storev_b, .Lfunc_end9-_ZN9rocsolver6v33100L14set_triangularIfPfTnNSt9enable_ifIXnt18rocblas_is_complexIT_EEiE4typeELi0EEEviiT0_iilPS4_lS8_il15rocblas_direct_15rocblas_storev_b
                                        ; -- End function
	.set _ZN9rocsolver6v33100L14set_triangularIfPfTnNSt9enable_ifIXnt18rocblas_is_complexIT_EEiE4typeELi0EEEviiT0_iilPS4_lS8_il15rocblas_direct_15rocblas_storev_b.num_vgpr, 12
	.set _ZN9rocsolver6v33100L14set_triangularIfPfTnNSt9enable_ifIXnt18rocblas_is_complexIT_EEiE4typeELi0EEEviiT0_iilPS4_lS8_il15rocblas_direct_15rocblas_storev_b.num_agpr, 0
	.set _ZN9rocsolver6v33100L14set_triangularIfPfTnNSt9enable_ifIXnt18rocblas_is_complexIT_EEiE4typeELi0EEEviiT0_iilPS4_lS8_il15rocblas_direct_15rocblas_storev_b.numbered_sgpr, 22
	.set _ZN9rocsolver6v33100L14set_triangularIfPfTnNSt9enable_ifIXnt18rocblas_is_complexIT_EEiE4typeELi0EEEviiT0_iilPS4_lS8_il15rocblas_direct_15rocblas_storev_b.num_named_barrier, 0
	.set _ZN9rocsolver6v33100L14set_triangularIfPfTnNSt9enable_ifIXnt18rocblas_is_complexIT_EEiE4typeELi0EEEviiT0_iilPS4_lS8_il15rocblas_direct_15rocblas_storev_b.private_seg_size, 0
	.set _ZN9rocsolver6v33100L14set_triangularIfPfTnNSt9enable_ifIXnt18rocblas_is_complexIT_EEiE4typeELi0EEEviiT0_iilPS4_lS8_il15rocblas_direct_15rocblas_storev_b.uses_vcc, 1
	.set _ZN9rocsolver6v33100L14set_triangularIfPfTnNSt9enable_ifIXnt18rocblas_is_complexIT_EEiE4typeELi0EEEviiT0_iilPS4_lS8_il15rocblas_direct_15rocblas_storev_b.uses_flat_scratch, 0
	.set _ZN9rocsolver6v33100L14set_triangularIfPfTnNSt9enable_ifIXnt18rocblas_is_complexIT_EEiE4typeELi0EEEviiT0_iilPS4_lS8_il15rocblas_direct_15rocblas_storev_b.has_dyn_sized_stack, 0
	.set _ZN9rocsolver6v33100L14set_triangularIfPfTnNSt9enable_ifIXnt18rocblas_is_complexIT_EEiE4typeELi0EEEviiT0_iilPS4_lS8_il15rocblas_direct_15rocblas_storev_b.has_recursion, 0
	.set _ZN9rocsolver6v33100L14set_triangularIfPfTnNSt9enable_ifIXnt18rocblas_is_complexIT_EEiE4typeELi0EEEviiT0_iilPS4_lS8_il15rocblas_direct_15rocblas_storev_b.has_indirect_call, 0
	.section	.AMDGPU.csdata,"",@progbits
; Kernel info:
; codeLenInByte = 1816
; TotalNumSgprs: 24
; NumVgprs: 12
; ScratchSize: 0
; MemoryBound: 0
; FloatMode: 240
; IeeeMode: 1
; LDSByteSize: 0 bytes/workgroup (compile time only)
; SGPRBlocks: 0
; VGPRBlocks: 0
; NumSGPRsForWavesPerEU: 24
; NumVGPRsForWavesPerEU: 12
; NamedBarCnt: 0
; Occupancy: 16
; WaveLimiterHint : 0
; COMPUTE_PGM_RSRC2:SCRATCH_EN: 0
; COMPUTE_PGM_RSRC2:USER_SGPR: 2
; COMPUTE_PGM_RSRC2:TRAP_HANDLER: 0
; COMPUTE_PGM_RSRC2:TGID_X_EN: 1
; COMPUTE_PGM_RSRC2:TGID_Y_EN: 1
; COMPUTE_PGM_RSRC2:TGID_Z_EN: 1
; COMPUTE_PGM_RSRC2:TIDIG_COMP_CNT: 1
	.section	.text._ZN9rocsolver6v33100L7set_tauIfEEviPT_l,"axG",@progbits,_ZN9rocsolver6v33100L7set_tauIfEEviPT_l,comdat
	.globl	_ZN9rocsolver6v33100L7set_tauIfEEviPT_l ; -- Begin function _ZN9rocsolver6v33100L7set_tauIfEEviPT_l
	.p2align	8
	.type	_ZN9rocsolver6v33100L7set_tauIfEEviPT_l,@function
_ZN9rocsolver6v33100L7set_tauIfEEviPT_l: ; @_ZN9rocsolver6v33100L7set_tauIfEEviPT_l
; %bb.0:
	s_clause 0x1
	s_load_b32 s3, s[0:1], 0x24
	s_load_b32 s4, s[0:1], 0x0
	s_bfe_u32 s2, ttmp6, 0x4000c
	s_and_b32 s5, ttmp6, 15
	s_add_co_i32 s6, s2, 1
	s_getreg_b32 s2, hwreg(HW_REG_IB_STS2, 6, 4)
	s_mul_i32 s6, ttmp9, s6
	s_delay_alu instid0(SALU_CYCLE_1) | instskip(SKIP_4) | instid1(SALU_CYCLE_1)
	s_add_co_i32 s5, s5, s6
	s_wait_kmcnt 0x0
	s_and_b32 s3, s3, 0xffff
	s_cmp_eq_u32 s2, 0
	s_cselect_b32 s5, ttmp9, s5
	v_mad_u32 v0, s5, s3, v0
	s_mov_b32 s3, 0
	s_delay_alu instid0(VALU_DEP_1)
	v_cmp_gt_u32_e32 vcc_lo, s4, v0
	s_and_saveexec_b32 s4, vcc_lo
	s_cbranch_execz .LBB10_2
; %bb.1:
	s_load_b128 s[4:7], s[0:1], 0x8
	s_wait_xcnt 0x0
	s_bfe_u32 s0, ttmp6, 0x40010
	s_bfe_u32 s1, ttmp6, 0x40004
	s_add_co_i32 s0, s0, 1
	s_delay_alu instid0(SALU_CYCLE_1) | instskip(NEXT) | instid1(SALU_CYCLE_1)
	s_mul_i32 s0, ttmp7, s0
	s_add_co_i32 s1, s1, s0
	s_cmp_eq_u32 s2, 0
	s_cselect_b32 s2, ttmp7, s1
	s_wait_kmcnt 0x0
	s_mul_u64 s[0:1], s[6:7], s[2:3]
	s_delay_alu instid0(SALU_CYCLE_1) | instskip(NEXT) | instid1(SALU_CYCLE_1)
	s_lshl_b64 s[0:1], s[0:1], 2
	s_add_nc_u64 s[0:1], s[4:5], s[0:1]
	global_load_b32 v1, v0, s[0:1] scale_offset
	s_wait_loadcnt 0x0
	v_xor_b32_e32 v1, 0x80000000, v1
	global_store_b32 v0, v1, s[0:1] scale_offset
.LBB10_2:
	s_endpgm
	.section	.rodata,"a",@progbits
	.p2align	6, 0x0
	.amdhsa_kernel _ZN9rocsolver6v33100L7set_tauIfEEviPT_l
		.amdhsa_group_segment_fixed_size 0
		.amdhsa_private_segment_fixed_size 0
		.amdhsa_kernarg_size 280
		.amdhsa_user_sgpr_count 2
		.amdhsa_user_sgpr_dispatch_ptr 0
		.amdhsa_user_sgpr_queue_ptr 0
		.amdhsa_user_sgpr_kernarg_segment_ptr 1
		.amdhsa_user_sgpr_dispatch_id 0
		.amdhsa_user_sgpr_kernarg_preload_length 0
		.amdhsa_user_sgpr_kernarg_preload_offset 0
		.amdhsa_user_sgpr_private_segment_size 0
		.amdhsa_wavefront_size32 1
		.amdhsa_uses_dynamic_stack 0
		.amdhsa_enable_private_segment 0
		.amdhsa_system_sgpr_workgroup_id_x 1
		.amdhsa_system_sgpr_workgroup_id_y 1
		.amdhsa_system_sgpr_workgroup_id_z 0
		.amdhsa_system_sgpr_workgroup_info 0
		.amdhsa_system_vgpr_workitem_id 0
		.amdhsa_next_free_vgpr 2
		.amdhsa_next_free_sgpr 8
		.amdhsa_named_barrier_count 0
		.amdhsa_reserve_vcc 1
		.amdhsa_float_round_mode_32 0
		.amdhsa_float_round_mode_16_64 0
		.amdhsa_float_denorm_mode_32 3
		.amdhsa_float_denorm_mode_16_64 3
		.amdhsa_fp16_overflow 0
		.amdhsa_memory_ordered 1
		.amdhsa_forward_progress 1
		.amdhsa_inst_pref_size 2
		.amdhsa_round_robin_scheduling 0
		.amdhsa_exception_fp_ieee_invalid_op 0
		.amdhsa_exception_fp_denorm_src 0
		.amdhsa_exception_fp_ieee_div_zero 0
		.amdhsa_exception_fp_ieee_overflow 0
		.amdhsa_exception_fp_ieee_underflow 0
		.amdhsa_exception_fp_ieee_inexact 0
		.amdhsa_exception_int_div_zero 0
	.end_amdhsa_kernel
	.section	.text._ZN9rocsolver6v33100L7set_tauIfEEviPT_l,"axG",@progbits,_ZN9rocsolver6v33100L7set_tauIfEEviPT_l,comdat
.Lfunc_end10:
	.size	_ZN9rocsolver6v33100L7set_tauIfEEviPT_l, .Lfunc_end10-_ZN9rocsolver6v33100L7set_tauIfEEviPT_l
                                        ; -- End function
	.set _ZN9rocsolver6v33100L7set_tauIfEEviPT_l.num_vgpr, 2
	.set _ZN9rocsolver6v33100L7set_tauIfEEviPT_l.num_agpr, 0
	.set _ZN9rocsolver6v33100L7set_tauIfEEviPT_l.numbered_sgpr, 8
	.set _ZN9rocsolver6v33100L7set_tauIfEEviPT_l.num_named_barrier, 0
	.set _ZN9rocsolver6v33100L7set_tauIfEEviPT_l.private_seg_size, 0
	.set _ZN9rocsolver6v33100L7set_tauIfEEviPT_l.uses_vcc, 1
	.set _ZN9rocsolver6v33100L7set_tauIfEEviPT_l.uses_flat_scratch, 0
	.set _ZN9rocsolver6v33100L7set_tauIfEEviPT_l.has_dyn_sized_stack, 0
	.set _ZN9rocsolver6v33100L7set_tauIfEEviPT_l.has_recursion, 0
	.set _ZN9rocsolver6v33100L7set_tauIfEEviPT_l.has_indirect_call, 0
	.section	.AMDGPU.csdata,"",@progbits
; Kernel info:
; codeLenInByte = 212
; TotalNumSgprs: 10
; NumVgprs: 2
; ScratchSize: 0
; MemoryBound: 0
; FloatMode: 240
; IeeeMode: 1
; LDSByteSize: 0 bytes/workgroup (compile time only)
; SGPRBlocks: 0
; VGPRBlocks: 0
; NumSGPRsForWavesPerEU: 10
; NumVGPRsForWavesPerEU: 2
; NamedBarCnt: 0
; Occupancy: 16
; WaveLimiterHint : 0
; COMPUTE_PGM_RSRC2:SCRATCH_EN: 0
; COMPUTE_PGM_RSRC2:USER_SGPR: 2
; COMPUTE_PGM_RSRC2:TRAP_HANDLER: 0
; COMPUTE_PGM_RSRC2:TGID_X_EN: 1
; COMPUTE_PGM_RSRC2:TGID_Y_EN: 1
; COMPUTE_PGM_RSRC2:TGID_Z_EN: 0
; COMPUTE_PGM_RSRC2:TIDIG_COMP_CNT: 0
	.section	.text._ZN9rocsolver6v33100L20larft_kernel_forwardIfPfEEv15rocblas_storev_iiT0_iilPT_lS6_il,"axG",@progbits,_ZN9rocsolver6v33100L20larft_kernel_forwardIfPfEEv15rocblas_storev_iiT0_iilPT_lS6_il,comdat
	.globl	_ZN9rocsolver6v33100L20larft_kernel_forwardIfPfEEv15rocblas_storev_iiT0_iilPT_lS6_il ; -- Begin function _ZN9rocsolver6v33100L20larft_kernel_forwardIfPfEEv15rocblas_storev_iiT0_iilPT_lS6_il
	.p2align	8
	.type	_ZN9rocsolver6v33100L20larft_kernel_forwardIfPfEEv15rocblas_storev_iiT0_iilPT_lS6_il,@function
_ZN9rocsolver6v33100L20larft_kernel_forwardIfPfEEv15rocblas_storev_iiT0_iilPT_lS6_il: ; @_ZN9rocsolver6v33100L20larft_kernel_forwardIfPfEEv15rocblas_storev_iiT0_iilPT_lS6_il
; %bb.0:
	s_clause 0x4
	s_load_b32 s2, s[0:1], 0x5c
	s_load_b96 s[16:18], s[0:1], 0x0
	s_load_b64 s[14:15], s[0:1], 0x48
	s_load_b32 s3, s[0:1], 0x40
	s_load_b256 s[4:11], s[0:1], 0x20
	s_bfe_u32 s13, ttmp6, 0x40010
	s_bfe_u32 s19, ttmp6, 0x40004
	s_add_co_i32 s13, s13, 1
	s_getreg_b32 s20, hwreg(HW_REG_IB_STS2, 6, 4)
	s_mul_i32 s13, ttmp7, s13
	v_dual_lshlrev_b32 v1, 1, v0 :: v_dual_lshlrev_b32 v2, 2, v0
	s_add_co_i32 s13, s19, s13
	s_mov_b32 s12, 0
	s_wait_kmcnt 0x0
	s_and_b32 s19, s2, 0xffff
	s_cmp_eq_u32 s20, 0
	v_cmp_gt_i32_e64 s2, s18, v0
	s_cselect_b32 s20, ttmp7, s13
	v_xad_u32 v10, v0, -1, s18
	s_ashr_i32 s21, s20, 31
	v_sub_nc_u32_e32 v11, s18, v0
	s_mul_u64 s[14:15], s[14:15], s[20:21]
	s_lshl_b32 s30, s18, 2
	s_lshl_b64 s[14:15], s[14:15], 2
	s_add_co_i32 s31, s30, 0
	s_add_nc_u64 s[10:11], s[10:11], s[14:15]
	s_and_saveexec_b32 s13, s2
	s_cbranch_execz .LBB11_12
; %bb.1:
	v_dual_lshlrev_b32 v3, 1, v0 :: v_dual_sub_nc_u32 v12, s18, v0
	s_lshl_b32 s14, s19, 1
	s_cmp_lg_u32 s3, 1
	v_add3_u32 v13, 0, s30, v2
	s_delay_alu instid0(VALU_DEP_2)
	v_dual_mov_b32 v14, v3 :: v_dual_mov_b32 v4, v0
	s_cselect_b32 s24, -1, 0
	s_mov_b32 s15, s18
	s_mov_b32 s22, s18
	s_lshl_b32 s23, s19, 2
	s_xor_b32 s24, s24, -1
	s_mov_b32 s25, 0
	s_branch .LBB11_3
.LBB11_2:                               ;   in Loop: Header=BB11_3 Depth=1
	s_or_b32 exec_lo, exec_lo, s27
	v_dual_add_nc_u32 v4, s19, v4 :: v_dual_add_nc_u32 v14, s14, v14
	v_subrev_nc_u32_e32 v12, s19, v12
	v_add_nc_u32_e32 v13, s23, v13
	s_add_co_i32 s25, s25, 1
	s_delay_alu instid0(VALU_DEP_3) | instskip(SKIP_1) | instid1(SALU_CYCLE_1)
	v_cmp_le_i32_e32 vcc_lo, s18, v4
	s_or_b32 s12, vcc_lo, s12
	s_and_not1_b32 exec_lo, exec_lo, s12
	s_cbranch_execz .LBB11_12
.LBB11_3:                               ; =>This Loop Header: Depth=1
                                        ;     Child Loop BB11_6 Depth 2
                                        ;     Child Loop BB11_11 Depth 2
	s_mul_i32 s28, s25, s19
	s_mov_b32 s27, exec_lo
	v_add_nc_u32_e32 v5, s28, v0
	s_delay_alu instid0(VALU_DEP_1) | instskip(NEXT) | instid1(VALU_DEP_1)
	v_dual_sub_nc_u32 v15, s18, v5 :: v_dual_mov_b32 v5, v4
	v_cmp_gt_u32_e64 s26, 4, v15
	v_cmpx_lt_u32_e32 3, v15
	s_cbranch_execz .LBB11_9
; %bb.4:                                ;   in Loop: Header=BB11_3 Depth=1
	v_mad_u32 v5, s14, s25, v3
	v_subrev_nc_u32_e32 v6, s28, v10
	s_mov_b32 s29, -1
	s_delay_alu instid0(VALU_DEP_1) | instskip(NEXT) | instid1(VALU_DEP_1)
	v_add_nc_u32_e32 v6, v5, v6
	v_cmp_ge_i32_e32 vcc_lo, v6, v5
	v_mov_b32_e32 v5, v4
	s_and_b32 s33, s24, vcc_lo
	s_delay_alu instid0(SALU_CYCLE_1)
	s_and_saveexec_b32 s28, s33
	s_cbranch_execz .LBB11_8
; %bb.5:                                ;   in Loop: Header=BB11_3 Depth=1
	v_dual_mov_b32 v6, v14 :: v_dual_add_nc_u32 v5, 1, v4
	v_and_b32_e32 v16, -2, v12
	v_lshl_add_u32 v17, v4, 2, s31
	s_mov_b32 s29, 0
	s_delay_alu instid0(VALU_DEP_3)
	v_mov_b64_e32 v[8:9], v[4:5]
.LBB11_6:                               ;   Parent Loop BB11_3 Depth=1
                                        ; =>  This Inner Loop Header: Depth=2
	s_delay_alu instid0(VALU_DEP_3) | instskip(NEXT) | instid1(VALU_DEP_2)
	v_dual_ashrrev_i32 v7, 31, v6 :: v_dual_add_nc_u32 v16, -2, v16
	v_mul_lo_u32 v5, v8, s15
	v_add_nc_u32_e32 v8, 2, v8
	s_delay_alu instid0(VALU_DEP_3)
	v_lshl_add_u64 v[18:19], v[6:7], 2, s[10:11]
	v_mul_lo_u32 v7, v9, s22
	v_cmp_eq_u32_e32 vcc_lo, 0, v16
	v_dual_add_nc_u32 v9, 2, v9 :: v_dual_add_nc_u32 v6, 2, v6
	global_load_b64 v[18:19], v[18:19], off
	s_or_b32 s29, vcc_lo, s29
	v_lshl_add_u32 v5, v5, 2, v17
	v_lshl_add_u32 v7, v7, 2, v17
	s_wait_loadcnt 0x0
	ds_store_b32 v5, v18
	ds_store_b32 v7, v19
	s_wait_xcnt 0x0
	s_and_not1_b32 exec_lo, exec_lo, s29
	s_cbranch_execnz .LBB11_6
; %bb.7:                                ;   in Loop: Header=BB11_3 Depth=1
	s_or_b32 exec_lo, exec_lo, s29
	v_and_b32_e32 v5, -2, v15
	s_delay_alu instid0(VALU_DEP_1)
	v_cmp_ne_u32_e32 vcc_lo, v15, v5
	v_add_nc_u32_e32 v5, v4, v5
	s_or_not1_b32 s29, vcc_lo, exec_lo
.LBB11_8:                               ;   in Loop: Header=BB11_3 Depth=1
	s_or_b32 exec_lo, exec_lo, s28
	s_delay_alu instid0(SALU_CYCLE_1) | instskip(SKIP_1) | instid1(SALU_CYCLE_1)
	s_and_not1_b32 s26, s26, exec_lo
	s_and_b32 s28, s29, exec_lo
	s_or_b32 s26, s26, s28
.LBB11_9:                               ;   in Loop: Header=BB11_3 Depth=1
	s_or_b32 exec_lo, exec_lo, s27
	s_and_saveexec_b32 s27, s26
	s_cbranch_execz .LBB11_2
; %bb.10:                               ;   in Loop: Header=BB11_3 Depth=1
	v_mad_u32 v6, s30, v5, v13
	v_mad_u32 v7, s3, v5, v4
	s_mov_b32 s26, 0
.LBB11_11:                              ;   Parent Loop BB11_3 Depth=1
                                        ; =>  This Inner Loop Header: Depth=2
	global_load_b32 v8, v7, s[10:11] scale_offset
	s_wait_xcnt 0x0
	v_dual_add_nc_u32 v5, 1, v5 :: v_dual_add_nc_u32 v7, s3, v7
	s_delay_alu instid0(VALU_DEP_1)
	v_cmp_le_i32_e32 vcc_lo, s18, v5
	s_or_b32 s26, vcc_lo, s26
	s_wait_loadcnt 0x0
	ds_store_b32 v6, v8
	v_add_nc_u32_e32 v6, s30, v6
	s_and_not1_b32 exec_lo, exec_lo, s26
	s_cbranch_execnz .LBB11_11
	s_branch .LBB11_2
.LBB11_12:
	s_or_b32 exec_lo, exec_lo, s13
	s_cmp_lt_i32 s18, 2
	s_wait_dscnt 0x0
	s_barrier_signal -1
	s_barrier_wait -1
	s_cbranch_scc1 .LBB11_37
; %bb.13:
	s_load_b128 s[12:15], s[0:1], 0x10
	v_add_nc_u32_e32 v3, 4, v2
	s_wait_xcnt 0x0
	s_mul_u64 s[0:1], s[8:9], s[20:21]
	s_mul_u64 s[8:9], s[4:5], s[20:21]
	s_lshl_b64 s[0:1], s[0:1], 2
	s_mov_b32 s33, 1
	v_mul_lo_u32 v4, s18, v3
	v_mov_b32_e32 v3, 0
	s_add_nc_u64 s[6:7], s[6:7], s[0:1]
	s_mov_b32 s5, 0
	s_delay_alu instid0(VALU_DEP_2)
	v_add3_u32 v12, v4, v2, 0
	s_wait_kmcnt 0x0
	s_ashr_i32 s1, s14, 31
	s_cmp_lg_u32 s16, 0xb5
	v_mul_lo_u32 v13, v0, s15
	s_mov_b32 s0, s14
	s_cselect_b32 s14, -1, 0
	s_lshl_b64 s[26:27], s[8:9], 2
	s_lshl_b64 s[0:1], s[0:1], 2
	v_add_nc_u64_e32 v[4:5], s[26:27], v[2:3]
	s_add_nc_u64 s[22:23], s[12:13], s[0:1]
	s_add_nc_u64 s[0:1], s[26:27], s[0:1]
	v_add_nc_u32_e32 v3, 0, v2
	s_mov_b32 s24, s15
	s_ashr_i32 s25, s15, 31
	s_add_nc_u64 s[0:1], s[12:13], s[0:1]
	s_add_co_i32 s35, s30, 4
	s_add_co_i32 s16, s17, -2
	s_lshl_b32 s8, s15, 1
	s_lshl_b32 s4, s19, 2
	s_add_nc_u64 s[20:21], s[26:27], 4
	s_lshl_b64 s[24:25], s[24:25], 2
	s_add_nc_u64 s[12:13], s[0:1], 8
	s_mul_i32 s34, s15, s19
	s_mul_i32 s35, s35, s19
	s_mov_b32 s26, s15
	s_branch .LBB11_15
.LBB11_14:                              ;   in Loop: Header=BB11_15 Depth=1
	s_or_b32 exec_lo, exec_lo, s0
	s_add_co_i32 s33, s33, 1
	s_add_co_i32 s16, s16, -1
	s_add_co_i32 s8, s8, s15
	s_add_co_i32 s26, s26, s15
	s_add_nc_u64 s[20:21], s[20:21], 4
	s_cmp_eq_u32 s33, s18
	s_add_nc_u64 s[12:13], s[12:13], 4
	s_wait_dscnt 0x0
	s_barrier_signal -1
	s_barrier_wait -1
	s_cbranch_scc1 .LBB11_37
.LBB11_15:                              ; =>This Loop Header: Depth=1
                                        ;     Child Loop BB11_19 Depth 2
                                        ;       Child Loop BB11_21 Depth 3
                                        ;     Child Loop BB11_28 Depth 2
                                        ;       Child Loop BB11_30 Depth 3
	;; [unrolled: 2-line block ×3, first 2 shown]
	s_mul_i32 s0, s33, s18
	s_not_b32 s1, s33
	s_lshl_b32 s0, s0, 2
	s_add_co_i32 s37, s17, s1
	s_add_co_i32 s36, s31, s0
	v_cmp_gt_u32_e64 s0, s33, v0
	s_and_b32 vcc_lo, exec_lo, s14
	s_mov_b32 s1, -1
	s_cbranch_vccz .LBB11_23
; %bb.16:                               ;   in Loop: Header=BB11_15 Depth=1
	s_and_saveexec_b32 s27, s0
	s_cbranch_execz .LBB11_22
; %bb.17:                               ;   in Loop: Header=BB11_15 Depth=1
	s_load_b32 s38, s[6:7], s33 offset:0x0 scale_offset
	s_ashr_i32 s9, s8, 31
	v_mov_b64_e32 v[6:7], v[4:5]
	s_lshl_b64 s[0:1], s[8:9], 2
	v_mov_b32_e32 v8, v0
	s_cmp_gt_i32 s37, 0
	s_add_nc_u64 s[0:1], s[22:23], s[0:1]
	s_cselect_b32 s9, -1, 0
	s_mov_b32 s39, 0
	s_branch .LBB11_19
.LBB11_18:                              ;   in Loop: Header=BB11_19 Depth=2
	s_wait_xcnt 0x0
	v_dual_lshlrev_b32 v14, 2, v8 :: v_dual_add_nc_u32 v8, s19, v8
	v_add_nc_u64_e32 v[6:7], s[4:5], v[6:7]
	s_delay_alu instid0(VALU_DEP_2) | instskip(NEXT) | instid1(VALU_DEP_3)
	v_add_nc_u32_e32 v15, s36, v14
	v_cmp_le_u32_e32 vcc_lo, s33, v8
	ds_load_b32 v15, v15
	s_or_b32 s39, vcc_lo, s39
	s_wait_dscnt 0x0
	s_wait_kmcnt 0x0
	v_dual_fmac_f32 v15, s38, v9 :: v_dual_add_nc_u32 v9, 0, v14
	ds_store_b32 v9, v15
	s_and_not1_b32 exec_lo, exec_lo, s39
	s_cbranch_execz .LBB11_22
.LBB11_19:                              ;   Parent Loop BB11_15 Depth=1
                                        ; =>  This Loop Header: Depth=2
                                        ;       Child Loop BB11_21 Depth 3
	v_mov_b32_e32 v9, 0
	s_and_not1_b32 vcc_lo, exec_lo, s9
	s_cbranch_vccnz .LBB11_18
; %bb.20:                               ;   in Loop: Header=BB11_19 Depth=2
	s_mov_b32 s40, 0
	s_mov_b64 s[28:29], s[0:1]
.LBB11_21:                              ;   Parent Loop BB11_15 Depth=1
                                        ;     Parent Loop BB11_19 Depth=2
                                        ; =>    This Inner Loop Header: Depth=3
	s_wait_xcnt 0x0
	v_add_nc_u64_e32 v[14:15], s[28:29], v[6:7]
	s_add_nc_u64 s[42:43], s[28:29], s[20:21]
	s_add_co_i32 s40, s40, 1
	s_add_nc_u64 s[28:29], s[28:29], s[24:25]
	s_cmp_eq_u32 s16, s40
	s_load_b32 s41, s[42:43], 0x0
	global_load_b32 v14, v[14:15], off
	s_wait_loadcnt 0x0
	s_wait_kmcnt 0x0
	v_fmac_f32_e32 v9, s41, v14
	s_cbranch_scc0 .LBB11_21
	s_branch .LBB11_18
.LBB11_22:                              ;   in Loop: Header=BB11_15 Depth=1
	s_or_b32 exec_lo, exec_lo, s27
	s_mov_b32 s1, 0
.LBB11_23:                              ;   in Loop: Header=BB11_15 Depth=1
	s_delay_alu instid0(SALU_CYCLE_1)
	s_and_not1_b32 vcc_lo, exec_lo, s1
	s_cbranch_vccnz .LBB11_32
; %bb.24:                               ;   in Loop: Header=BB11_15 Depth=1
	s_mov_b32 s9, exec_lo
	v_cmpx_gt_u32_e64 s33, v0
	s_cbranch_execz .LBB11_31
; %bb.25:                               ;   in Loop: Header=BB11_15 Depth=1
	s_load_b32 s38, s[6:7], s33 offset:0x0 scale_offset
	s_ashr_i32 s27, s26, 31
	v_dual_mov_b32 v6, v13 :: v_dual_mov_b32 v14, v0
	s_lshl_b64 s[0:1], s[26:27], 2
	s_cmp_gt_i32 s37, 0
	s_add_nc_u64 s[0:1], s[12:13], s[0:1]
	s_cselect_b32 s27, -1, 0
	s_mov_b32 s37, 0
	s_branch .LBB11_28
.LBB11_26:                              ;   in Loop: Header=BB11_28 Depth=2
	v_mov_b32_e32 v7, 0
.LBB11_27:                              ;   in Loop: Header=BB11_28 Depth=2
	v_dual_lshlrev_b32 v8, 2, v14 :: v_dual_add_nc_u32 v14, s19, v14
	s_delay_alu instid0(VALU_DEP_1) | instskip(NEXT) | instid1(VALU_DEP_2)
	v_dual_add_nc_u32 v6, s34, v6 :: v_dual_add_nc_u32 v9, s36, v8
	v_cmp_le_u32_e32 vcc_lo, s33, v14
	ds_load_b32 v9, v9
	s_or_b32 s37, vcc_lo, s37
	s_wait_dscnt 0x0
	s_wait_kmcnt 0x0
	v_dual_fmac_f32 v9, s38, v7 :: v_dual_add_nc_u32 v7, 0, v8
	ds_store_b32 v7, v9
	s_and_not1_b32 exec_lo, exec_lo, s37
	s_cbranch_execz .LBB11_31
.LBB11_28:                              ;   Parent Loop BB11_15 Depth=1
                                        ; =>  This Loop Header: Depth=2
                                        ;       Child Loop BB11_30 Depth 3
	s_and_not1_b32 vcc_lo, exec_lo, s27
	s_cbranch_vccnz .LBB11_26
; %bb.29:                               ;   in Loop: Header=BB11_28 Depth=2
	v_ashrrev_i32_e32 v7, 31, v6
	s_mov_b32 s39, 0
	s_mov_b64 s[28:29], s[0:1]
	s_delay_alu instid0(VALU_DEP_1)
	v_lshl_add_u64 v[8:9], v[6:7], 2, s[12:13]
	v_mov_b32_e32 v7, 0
.LBB11_30:                              ;   Parent Loop BB11_15 Depth=1
                                        ;     Parent Loop BB11_28 Depth=2
                                        ; =>    This Inner Loop Header: Depth=3
	global_load_b32 v15, v[8:9], off
	s_load_b32 s40, s[28:29], 0x0
	v_add_nc_u64_e32 v[8:9], 4, v[8:9]
	s_add_co_i32 s39, s39, 1
	s_wait_xcnt 0x0
	s_add_nc_u64 s[28:29], s[28:29], 4
	s_cmp_eq_u32 s16, s39
	s_wait_loadcnt 0x0
	s_wait_kmcnt 0x0
	v_fmac_f32_e32 v7, s40, v15
	s_cbranch_scc0 .LBB11_30
	s_branch .LBB11_27
.LBB11_31:                              ;   in Loop: Header=BB11_15 Depth=1
	s_or_b32 exec_lo, exec_lo, s9
.LBB11_32:                              ;   in Loop: Header=BB11_15 Depth=1
	s_delay_alu instid0(SALU_CYCLE_1)
	s_mov_b32 s0, exec_lo
	s_wait_dscnt 0x0
	s_barrier_signal -1
	s_barrier_wait -1
	v_cmpx_gt_u32_e64 s33, v0
	s_cbranch_execz .LBB11_14
; %bb.33:                               ;   in Loop: Header=BB11_15 Depth=1
	v_dual_mov_b32 v6, v3 :: v_dual_mov_b32 v7, v12
	v_mov_b32_e32 v8, v0
	s_mov_b32 s1, 0
.LBB11_34:                              ;   Parent Loop BB11_15 Depth=1
                                        ; =>  This Loop Header: Depth=2
                                        ;       Child Loop BB11_35 Depth 3
	s_delay_alu instid0(VALU_DEP_2) | instskip(NEXT) | instid1(VALU_DEP_2)
	v_dual_mov_b32 v9, 0 :: v_dual_mov_b32 v14, v6
	v_dual_mov_b32 v15, v7 :: v_dual_mov_b32 v16, v8
	s_mov_b32 s9, 0
.LBB11_35:                              ;   Parent Loop BB11_15 Depth=1
                                        ;     Parent Loop BB11_34 Depth=2
                                        ; =>    This Inner Loop Header: Depth=3
	ds_load_b32 v17, v15
	ds_load_b32 v18, v14
	v_dual_add_nc_u32 v16, 1, v16 :: v_dual_add_nc_u32 v15, s30, v15
	v_add_nc_u32_e32 v14, 4, v14
	s_delay_alu instid0(VALU_DEP_2)
	v_cmp_le_u32_e32 vcc_lo, s33, v16
	s_or_b32 s9, vcc_lo, s9
	s_wait_dscnt 0x0
	v_fmac_f32_e32 v9, v17, v18
	s_and_not1_b32 exec_lo, exec_lo, s9
	s_cbranch_execnz .LBB11_35
; %bb.36:                               ;   in Loop: Header=BB11_34 Depth=2
	s_or_b32 exec_lo, exec_lo, s9
	v_lshl_add_u32 v14, v8, 2, s36
	v_dual_add_nc_u32 v8, s19, v8 :: v_dual_add_nc_u32 v7, s35, v7
	v_add_nc_u32_e32 v6, s4, v6
	ds_store_b32 v14, v9
	v_cmp_le_u32_e32 vcc_lo, s33, v8
	s_or_b32 s1, vcc_lo, s1
	s_delay_alu instid0(SALU_CYCLE_1)
	s_and_not1_b32 exec_lo, exec_lo, s1
	s_cbranch_execnz .LBB11_34
	s_branch .LBB11_14
.LBB11_37:
	s_and_saveexec_b32 s0, s2
	s_cbranch_execz .LBB11_49
; %bb.38:
	s_lshl_b32 s0, s19, 1
	s_cmp_lg_u32 s3, 1
	v_add3_u32 v8, 0, s30, v2
	v_dual_mov_b32 v9, v1 :: v_dual_mov_b32 v2, v0
	s_cselect_b32 s6, -1, 0
	s_mov_b32 s1, s18
	s_mov_b32 s2, s18
	;; [unrolled: 1-line block ×3, first 2 shown]
	s_lshl_b32 s5, s19, 2
	s_xor_b32 s6, s6, -1
	s_mov_b32 s7, 0
	s_branch .LBB11_40
.LBB11_39:                              ;   in Loop: Header=BB11_40 Depth=1
	s_or_b32 exec_lo, exec_lo, s9
	v_dual_add_nc_u32 v2, s19, v2 :: v_dual_add_nc_u32 v9, s0, v9
	v_subrev_nc_u32_e32 v11, s19, v11
	v_add_nc_u32_e32 v8, s5, v8
	s_add_co_i32 s7, s7, 1
	s_delay_alu instid0(VALU_DEP_3) | instskip(SKIP_1) | instid1(SALU_CYCLE_1)
	v_cmp_le_i32_e32 vcc_lo, s18, v2
	s_or_b32 s4, vcc_lo, s4
	s_and_not1_b32 exec_lo, exec_lo, s4
	s_cbranch_execz .LBB11_49
.LBB11_40:                              ; =>This Loop Header: Depth=1
                                        ;     Child Loop BB11_43 Depth 2
                                        ;     Child Loop BB11_48 Depth 2
	s_mul_i32 s12, s7, s19
	s_mov_b32 s9, exec_lo
	v_add_nc_u32_e32 v3, s12, v0
	s_delay_alu instid0(VALU_DEP_1) | instskip(NEXT) | instid1(VALU_DEP_1)
	v_dual_mov_b32 v3, v2 :: v_dual_sub_nc_u32 v12, s18, v3
	v_cmp_gt_u32_e64 s8, 4, v12
	v_cmpx_lt_u32_e32 3, v12
	s_cbranch_execz .LBB11_46
; %bb.41:                               ;   in Loop: Header=BB11_40 Depth=1
	v_mad_u32 v3, s0, s7, v1
	v_subrev_nc_u32_e32 v4, s12, v10
	s_mov_b32 s13, -1
	s_delay_alu instid0(VALU_DEP_1) | instskip(NEXT) | instid1(VALU_DEP_1)
	v_add_nc_u32_e32 v4, v3, v4
	v_cmp_ge_i32_e32 vcc_lo, v4, v3
	v_mov_b32_e32 v3, v2
	s_and_b32 s14, s6, vcc_lo
	s_delay_alu instid0(SALU_CYCLE_1)
	s_and_saveexec_b32 s12, s14
	s_cbranch_execz .LBB11_45
; %bb.42:                               ;   in Loop: Header=BB11_40 Depth=1
	v_dual_add_nc_u32 v3, 1, v2 :: v_dual_bitop2_b32 v13, -2, v11 bitop3:0x40
	v_lshl_add_u32 v14, v2, 2, s31
	v_mov_b32_e32 v4, v9
	s_mov_b32 s13, 0
	s_delay_alu instid0(VALU_DEP_3)
	v_mov_b64_e32 v[6:7], v[2:3]
.LBB11_43:                              ;   Parent Loop BB11_40 Depth=1
                                        ; =>  This Inner Loop Header: Depth=2
	s_delay_alu instid0(VALU_DEP_1) | instskip(NEXT) | instid1(VALU_DEP_2)
	v_mul_lo_u32 v3, v6, s1
	v_mul_lo_u32 v5, v7, s2
	v_dual_add_nc_u32 v13, -2, v13 :: v_dual_add_nc_u32 v7, 2, v7
	v_add_nc_u32_e32 v6, 2, v6
	s_delay_alu instid0(VALU_DEP_4) | instskip(NEXT) | instid1(VALU_DEP_4)
	v_lshl_add_u32 v3, v3, 2, v14
	v_lshl_add_u32 v5, v5, 2, v14
	ds_load_b32 v16, v3
	ds_load_b32 v17, v5
	v_ashrrev_i32_e32 v5, 31, v4
	v_cmp_eq_u32_e32 vcc_lo, 0, v13
	s_delay_alu instid0(VALU_DEP_2)
	v_lshl_add_u64 v[18:19], v[4:5], 2, s[10:11]
	v_add_nc_u32_e32 v4, 2, v4
	s_or_b32 s13, vcc_lo, s13
	s_wait_dscnt 0x0
	global_store_b64 v[18:19], v[16:17], off
	s_wait_xcnt 0x0
	s_and_not1_b32 exec_lo, exec_lo, s13
	s_cbranch_execnz .LBB11_43
; %bb.44:                               ;   in Loop: Header=BB11_40 Depth=1
	s_or_b32 exec_lo, exec_lo, s13
	v_and_b32_e32 v3, -2, v12
	s_delay_alu instid0(VALU_DEP_1)
	v_cmp_ne_u32_e32 vcc_lo, v12, v3
	v_add_nc_u32_e32 v3, v2, v3
	s_or_not1_b32 s13, vcc_lo, exec_lo
.LBB11_45:                              ;   in Loop: Header=BB11_40 Depth=1
	s_or_b32 exec_lo, exec_lo, s12
	s_delay_alu instid0(SALU_CYCLE_1) | instskip(SKIP_1) | instid1(SALU_CYCLE_1)
	s_and_not1_b32 s8, s8, exec_lo
	s_and_b32 s12, s13, exec_lo
	s_or_b32 s8, s8, s12
.LBB11_46:                              ;   in Loop: Header=BB11_40 Depth=1
	s_or_b32 exec_lo, exec_lo, s9
	s_and_saveexec_b32 s9, s8
	s_cbranch_execz .LBB11_39
; %bb.47:                               ;   in Loop: Header=BB11_40 Depth=1
	v_mad_u32 v4, s3, v3, v2
	v_mad_u32 v5, s30, v3, v8
	s_mov_b32 s8, 0
.LBB11_48:                              ;   Parent Loop BB11_40 Depth=1
                                        ; =>  This Inner Loop Header: Depth=2
	ds_load_b32 v6, v5
	v_dual_add_nc_u32 v3, 1, v3 :: v_dual_add_nc_u32 v5, s30, v5
	s_delay_alu instid0(VALU_DEP_1)
	v_cmp_le_i32_e32 vcc_lo, s18, v3
	s_or_b32 s8, vcc_lo, s8
	s_wait_dscnt 0x0
	global_store_b32 v4, v6, s[10:11] scale_offset
	s_wait_xcnt 0x0
	v_add_nc_u32_e32 v4, s3, v4
	s_and_not1_b32 exec_lo, exec_lo, s8
	s_cbranch_execnz .LBB11_48
	s_branch .LBB11_39
.LBB11_49:
	s_endpgm
	.section	.rodata,"a",@progbits
	.p2align	6, 0x0
	.amdhsa_kernel _ZN9rocsolver6v33100L20larft_kernel_forwardIfPfEEv15rocblas_storev_iiT0_iilPT_lS6_il
		.amdhsa_group_segment_fixed_size 0
		.amdhsa_private_segment_fixed_size 0
		.amdhsa_kernarg_size 336
		.amdhsa_user_sgpr_count 2
		.amdhsa_user_sgpr_dispatch_ptr 0
		.amdhsa_user_sgpr_queue_ptr 0
		.amdhsa_user_sgpr_kernarg_segment_ptr 1
		.amdhsa_user_sgpr_dispatch_id 0
		.amdhsa_user_sgpr_kernarg_preload_length 0
		.amdhsa_user_sgpr_kernarg_preload_offset 0
		.amdhsa_user_sgpr_private_segment_size 0
		.amdhsa_wavefront_size32 1
		.amdhsa_uses_dynamic_stack 0
		.amdhsa_enable_private_segment 0
		.amdhsa_system_sgpr_workgroup_id_x 1
		.amdhsa_system_sgpr_workgroup_id_y 1
		.amdhsa_system_sgpr_workgroup_id_z 0
		.amdhsa_system_sgpr_workgroup_info 0
		.amdhsa_system_vgpr_workitem_id 0
		.amdhsa_next_free_vgpr 20
		.amdhsa_next_free_sgpr 44
		.amdhsa_named_barrier_count 0
		.amdhsa_reserve_vcc 1
		.amdhsa_float_round_mode_32 0
		.amdhsa_float_round_mode_16_64 0
		.amdhsa_float_denorm_mode_32 3
		.amdhsa_float_denorm_mode_16_64 3
		.amdhsa_fp16_overflow 0
		.amdhsa_memory_ordered 1
		.amdhsa_forward_progress 1
		.amdhsa_inst_pref_size 17
		.amdhsa_round_robin_scheduling 0
		.amdhsa_exception_fp_ieee_invalid_op 0
		.amdhsa_exception_fp_denorm_src 0
		.amdhsa_exception_fp_ieee_div_zero 0
		.amdhsa_exception_fp_ieee_overflow 0
		.amdhsa_exception_fp_ieee_underflow 0
		.amdhsa_exception_fp_ieee_inexact 0
		.amdhsa_exception_int_div_zero 0
	.end_amdhsa_kernel
	.section	.text._ZN9rocsolver6v33100L20larft_kernel_forwardIfPfEEv15rocblas_storev_iiT0_iilPT_lS6_il,"axG",@progbits,_ZN9rocsolver6v33100L20larft_kernel_forwardIfPfEEv15rocblas_storev_iiT0_iilPT_lS6_il,comdat
.Lfunc_end11:
	.size	_ZN9rocsolver6v33100L20larft_kernel_forwardIfPfEEv15rocblas_storev_iiT0_iilPT_lS6_il, .Lfunc_end11-_ZN9rocsolver6v33100L20larft_kernel_forwardIfPfEEv15rocblas_storev_iiT0_iilPT_lS6_il
                                        ; -- End function
	.set _ZN9rocsolver6v33100L20larft_kernel_forwardIfPfEEv15rocblas_storev_iiT0_iilPT_lS6_il.num_vgpr, 20
	.set _ZN9rocsolver6v33100L20larft_kernel_forwardIfPfEEv15rocblas_storev_iiT0_iilPT_lS6_il.num_agpr, 0
	.set _ZN9rocsolver6v33100L20larft_kernel_forwardIfPfEEv15rocblas_storev_iiT0_iilPT_lS6_il.numbered_sgpr, 44
	.set _ZN9rocsolver6v33100L20larft_kernel_forwardIfPfEEv15rocblas_storev_iiT0_iilPT_lS6_il.num_named_barrier, 0
	.set _ZN9rocsolver6v33100L20larft_kernel_forwardIfPfEEv15rocblas_storev_iiT0_iilPT_lS6_il.private_seg_size, 0
	.set _ZN9rocsolver6v33100L20larft_kernel_forwardIfPfEEv15rocblas_storev_iiT0_iilPT_lS6_il.uses_vcc, 1
	.set _ZN9rocsolver6v33100L20larft_kernel_forwardIfPfEEv15rocblas_storev_iiT0_iilPT_lS6_il.uses_flat_scratch, 0
	.set _ZN9rocsolver6v33100L20larft_kernel_forwardIfPfEEv15rocblas_storev_iiT0_iilPT_lS6_il.has_dyn_sized_stack, 0
	.set _ZN9rocsolver6v33100L20larft_kernel_forwardIfPfEEv15rocblas_storev_iiT0_iilPT_lS6_il.has_recursion, 0
	.set _ZN9rocsolver6v33100L20larft_kernel_forwardIfPfEEv15rocblas_storev_iiT0_iilPT_lS6_il.has_indirect_call, 0
	.section	.AMDGPU.csdata,"",@progbits
; Kernel info:
; codeLenInByte = 2156
; TotalNumSgprs: 46
; NumVgprs: 20
; ScratchSize: 0
; MemoryBound: 0
; FloatMode: 240
; IeeeMode: 1
; LDSByteSize: 0 bytes/workgroup (compile time only)
; SGPRBlocks: 0
; VGPRBlocks: 1
; NumSGPRsForWavesPerEU: 46
; NumVGPRsForWavesPerEU: 20
; NamedBarCnt: 0
; Occupancy: 16
; WaveLimiterHint : 0
; COMPUTE_PGM_RSRC2:SCRATCH_EN: 0
; COMPUTE_PGM_RSRC2:USER_SGPR: 2
; COMPUTE_PGM_RSRC2:TRAP_HANDLER: 0
; COMPUTE_PGM_RSRC2:TGID_X_EN: 1
; COMPUTE_PGM_RSRC2:TGID_Y_EN: 1
; COMPUTE_PGM_RSRC2:TGID_Z_EN: 0
; COMPUTE_PGM_RSRC2:TIDIG_COMP_CNT: 0
	.section	.text._ZN9rocsolver6v33100L21larft_kernel_backwardIfPfEEv15rocblas_storev_iiT0_iilPT_lS6_il,"axG",@progbits,_ZN9rocsolver6v33100L21larft_kernel_backwardIfPfEEv15rocblas_storev_iiT0_iilPT_lS6_il,comdat
	.globl	_ZN9rocsolver6v33100L21larft_kernel_backwardIfPfEEv15rocblas_storev_iiT0_iilPT_lS6_il ; -- Begin function _ZN9rocsolver6v33100L21larft_kernel_backwardIfPfEEv15rocblas_storev_iiT0_iilPT_lS6_il
	.p2align	8
	.type	_ZN9rocsolver6v33100L21larft_kernel_backwardIfPfEEv15rocblas_storev_iiT0_iilPT_lS6_il,@function
_ZN9rocsolver6v33100L21larft_kernel_backwardIfPfEEv15rocblas_storev_iiT0_iilPT_lS6_il: ; @_ZN9rocsolver6v33100L21larft_kernel_backwardIfPfEEv15rocblas_storev_iiT0_iilPT_lS6_il
; %bb.0:
	s_clause 0x4
	s_load_b32 s2, s[0:1], 0x5c
	s_load_b96 s[16:18], s[0:1], 0x0
	s_load_b64 s[12:13], s[0:1], 0x48
	s_load_b256 s[4:11], s[0:1], 0x20
	s_load_b32 s3, s[0:1], 0x40
	s_bfe_u32 s14, ttmp6, 0x40010
	s_bfe_u32 s15, ttmp6, 0x40004
	s_add_co_i32 s14, s14, 1
	s_getreg_b32 s20, hwreg(HW_REG_IB_STS2, 6, 4)
	s_mul_i32 s14, ttmp7, s14
	v_dual_add_nc_u32 v1, 1, v0 :: v_dual_lshlrev_b32 v2, 2, v0
	s_add_co_i32 s15, s15, s14
	s_wait_kmcnt 0x0
	s_and_b32 s19, s2, 0xffff
	s_cmp_eq_u32 s20, 0
	v_cmp_gt_i32_e64 s2, s18, v0
	s_cselect_b32 s20, ttmp7, s15
	s_delay_alu instid0(SALU_CYCLE_1) | instskip(NEXT) | instid1(SALU_CYCLE_1)
	s_ashr_i32 s21, s20, 31
	s_mul_u64 s[12:13], s[12:13], s[20:21]
	s_delay_alu instid0(SALU_CYCLE_1)
	s_lshl_b64 s[14:15], s[12:13], 2
	s_mov_b32 s12, 0
	s_add_nc_u64 s[10:11], s[10:11], s[14:15]
	s_and_saveexec_b32 s13, s2
	s_cbranch_execz .LBB12_12
; %bb.1:
	s_cmp_lg_u32 s3, 1
	v_dual_add_nc_u32 v3, 1, v0 :: v_dual_mov_b32 v5, v0
	s_cselect_b32 s15, -1, 0
	s_cmp_lg_u32 s18, 1
	s_cselect_b32 s22, -1, 0
	s_lshl_b32 s14, s18, 2
	s_or_b32 s22, s15, s22
	v_add3_u32 v4, 0, s14, v2
	s_lshl_b32 s15, s19, 2
	s_xor_b32 s22, s22, -1
	s_branch .LBB12_3
.LBB12_2:                               ;   in Loop: Header=BB12_3 Depth=1
	s_or_b32 exec_lo, exec_lo, s24
	v_dual_add_nc_u32 v5, s19, v5 :: v_dual_add_nc_u32 v3, s19, v3
	v_add_nc_u32_e32 v4, s15, v4
	s_delay_alu instid0(VALU_DEP_2) | instskip(SKIP_1) | instid1(SALU_CYCLE_1)
	v_cmp_le_i32_e32 vcc_lo, s18, v5
	s_or_b32 s12, vcc_lo, s12
	s_and_not1_b32 exec_lo, exec_lo, s12
	s_cbranch_execz .LBB12_12
.LBB12_3:                               ; =>This Loop Header: Depth=1
                                        ;     Child Loop BB12_6 Depth 2
                                        ;     Child Loop BB12_11 Depth 2
	v_cmp_gt_u32_e64 s23, 6, v3
	v_mov_b32_e32 v6, 0
	s_mov_b32 s24, exec_lo
	v_cmpx_lt_u32_e32 5, v3
	s_cbranch_execz .LBB12_9
; %bb.4:                                ;   in Loop: Header=BB12_3 Depth=1
	v_lshlrev_b32_e32 v6, 1, v5
	s_mov_b32 s26, -1
	s_delay_alu instid0(VALU_DEP_1) | instskip(SKIP_2) | instid1(SALU_CYCLE_1)
	v_cmp_ge_i32_e32 vcc_lo, v6, v5
	v_mov_b32_e32 v6, 0
	s_and_b32 s27, vcc_lo, s22
	s_and_saveexec_b32 s25, s27
	s_cbranch_execz .LBB12_8
; %bb.5:                                ;   in Loop: Header=BB12_3 Depth=1
	v_dual_mov_b32 v7, v4 :: v_dual_bitop2_b32 v6, -4, v3 bitop3:0x40
	s_mov_b32 s26, 0
	s_mov_b32 s27, 0
.LBB12_6:                               ;   Parent Loop BB12_3 Depth=1
                                        ; =>  This Inner Loop Header: Depth=2
	s_delay_alu instid0(SALU_CYCLE_1) | instskip(SKIP_1) | instid1(SALU_CYCLE_1)
	v_add_nc_u32_e32 v8, s27, v5
	s_add_co_i32 s27, s27, 4
	v_cmp_eq_u32_e32 vcc_lo, s27, v6
	s_delay_alu instid0(VALU_DEP_2) | instskip(SKIP_1) | instid1(VALU_DEP_1)
	v_ashrrev_i32_e32 v9, 31, v8
	s_or_b32 s26, vcc_lo, s26
	v_lshl_add_u64 v[8:9], v[8:9], 2, s[10:11]
	global_load_b128 v[8:11], v[8:9], off
	s_wait_loadcnt 0x0
	ds_store_2addr_b32 v7, v8, v9 offset1:1
	ds_store_2addr_b32 v7, v10, v11 offset0:2 offset1:3
	v_add_nc_u32_e32 v7, 16, v7
	s_wait_xcnt 0x0
	s_and_not1_b32 exec_lo, exec_lo, s26
	s_cbranch_execnz .LBB12_6
; %bb.7:                                ;   in Loop: Header=BB12_3 Depth=1
	s_or_b32 exec_lo, exec_lo, s26
	v_cmp_ne_u32_e32 vcc_lo, v3, v6
	s_or_not1_b32 s26, vcc_lo, exec_lo
.LBB12_8:                               ;   in Loop: Header=BB12_3 Depth=1
	s_or_b32 exec_lo, exec_lo, s25
	s_delay_alu instid0(SALU_CYCLE_1) | instskip(SKIP_1) | instid1(SALU_CYCLE_1)
	s_and_not1_b32 s23, s23, exec_lo
	s_and_b32 s25, s26, exec_lo
	s_or_b32 s23, s23, s25
.LBB12_9:                               ;   in Loop: Header=BB12_3 Depth=1
	s_or_b32 exec_lo, exec_lo, s24
	s_and_saveexec_b32 s24, s23
	s_cbranch_execz .LBB12_2
; %bb.10:                               ;   in Loop: Header=BB12_3 Depth=1
	v_mul_lo_u32 v7, s14, v6
	v_mad_u32 v8, s3, v6, v5
	s_mov_b32 s23, 0
.LBB12_11:                              ;   Parent Loop BB12_3 Depth=1
                                        ; =>  This Inner Loop Header: Depth=2
	global_load_b32 v9, v8, s[10:11] scale_offset
	v_dual_add_nc_u32 v6, 1, v6 :: v_dual_add_nc_u32 v10, v4, v7
	s_wait_xcnt 0x0
	v_dual_add_nc_u32 v7, s14, v7 :: v_dual_add_nc_u32 v8, s3, v8
	s_delay_alu instid0(VALU_DEP_2)
	v_cmp_eq_u32_e32 vcc_lo, v3, v6
	s_or_b32 s23, vcc_lo, s23
	s_wait_loadcnt 0x0
	ds_store_b32 v10, v9
	s_and_not1_b32 exec_lo, exec_lo, s23
	s_cbranch_execnz .LBB12_11
	s_branch .LBB12_2
.LBB12_12:
	s_or_b32 exec_lo, exec_lo, s13
	s_cmp_lt_i32 s18, 2
	s_wait_dscnt 0x0
	s_barrier_signal -1
	s_barrier_wait -1
	s_cbranch_scc1 .LBB12_37
; %bb.13:
	s_load_b128 s[12:15], s[0:1], 0x10
	s_wait_xcnt 0x0
	s_mul_u64 s[0:1], s[8:9], s[20:21]
	s_lshl_b32 s30, s18, 2
	s_lshl_b64 s[0:1], s[0:1], 2
	s_add_co_i32 s8, s18, -2
	s_sub_co_i32 s31, s17, s18
	s_add_co_i32 s33, s30, 0
	s_add_nc_u64 s[6:7], s[6:7], s[0:1]
	s_mov_b32 s9, 0
	s_mul_u64 s[20:21], s[4:5], s[20:21]
	v_mov_b32_e32 v3, 0
	s_mov_b32 s5, s9
	s_wait_kmcnt 0x0
	s_ashr_i32 s1, s14, 31
	s_mov_b32 s0, s14
	s_cmp_lg_u32 s16, 0xb5
	v_mul_lo_u32 v10, v0, s15
	s_cselect_b32 s14, -1, 0
	s_add_co_i32 s34, s17, -2
	s_lshl_b64 s[16:17], s[20:21], 2
	s_lshl_b64 s[0:1], s[0:1], 2
	;; [unrolled: 1-line block ×3, first 2 shown]
	s_add_nc_u64 s[0:1], s[16:17], s[0:1]
	s_add_nc_u64 s[16:17], s[12:13], s[20:21]
	s_add_co_i32 s24, s30, 4
	s_add_nc_u64 s[16:17], s[16:17], s[0:1]
	s_mov_b32 s22, s15
	v_add_nc_u64_e32 v[4:5], s[16:17], v[2:3]
	s_ashr_i32 s23, s15, 31
	s_mul_i32 s24, s18, s24
	s_lshl_b64 s[16:17], s[22:23], 2
	s_add_nc_u64 s[22:23], s[0:1], s[20:21]
	s_add_nc_u64 s[20:21], s[12:13], s[0:1]
	s_add_co_i32 s0, s24, 0
	v_add_nc_u64_e32 v[4:5], 4, v[4:5]
	v_add3_u32 v3, s0, v2, -4
	s_add_co_i32 s9, s18, -1
	s_lshl_b32 s4, s19, 2
	s_add_nc_u64 s[12:13], s[12:13], s[22:23]
	s_mul_i32 s22, s15, s9
	s_mul_i32 s9, s15, s19
	;; [unrolled: 1-line block ×3, first 2 shown]
	s_xor_b32 s35, s30, -4
	s_branch .LBB12_15
.LBB12_14:                              ;   in Loop: Header=BB12_15 Depth=1
	s_or_b32 exec_lo, exec_lo, s0
	v_add_nc_u64_e32 v[4:5], -4, v[4:5]
	v_add_nc_u32_e32 v3, s35, v3
	s_add_co_i32 s0, s8, -1
	s_add_co_i32 s34, s34, -1
	s_sub_co_i32 s22, s22, s15
	s_sub_co_i32 s24, s24, s15
	s_add_nc_u64 s[12:13], s[12:13], -4
	s_cmp_lt_i32 s8, 1
	s_mov_b32 s8, s0
	s_wait_dscnt 0x0
	s_barrier_signal -1
	s_barrier_wait -1
	s_cbranch_scc1 .LBB12_37
.LBB12_15:                              ; =>This Loop Header: Depth=1
                                        ;     Child Loop BB12_19 Depth 2
                                        ;       Child Loop BB12_21 Depth 3
                                        ;     Child Loop BB12_28 Depth 2
                                        ;       Child Loop BB12_30 Depth 3
	;; [unrolled: 2-line block ×3, first 2 shown]
	s_not_b32 s0, s8
	s_lshl_b32 s1, s8, 2
	s_add_co_i32 s36, s18, s0
	s_mul_i32 s0, s8, s18
	s_add_co_i32 s37, s33, s1
	s_lshl_b32 s0, s0, 2
	s_add_co_i32 s26, s8, s31
	s_add_co_i32 s37, s37, s0
	v_cmp_gt_i32_e64 s0, s36, v0
	s_and_b32 vcc_lo, exec_lo, s14
	s_mov_b32 s1, -1
	s_cbranch_vccz .LBB12_23
; %bb.16:                               ;   in Loop: Header=BB12_15 Depth=1
	s_and_saveexec_b32 s23, s0
	s_cbranch_execz .LBB12_22
; %bb.17:                               ;   in Loop: Header=BB12_15 Depth=1
	s_load_b32 s25, s[6:7], s8 offset:0x0 scale_offset
	v_mov_b64_e32 v[6:7], v[4:5]
	v_mov_b32_e32 v8, v0
	s_cmp_gt_i32 s26, 0
	s_mov_b32 s28, 0
	s_cselect_b32 s27, -1, 0
	s_branch .LBB12_19
.LBB12_18:                              ;   in Loop: Header=BB12_19 Depth=2
	v_dual_lshlrev_b32 v11, 2, v8 :: v_dual_add_nc_u32 v8, s19, v8
	v_add_nc_u64_e32 v[6:7], s[4:5], v[6:7]
	s_wait_xcnt 0x0
	s_delay_alu instid0(VALU_DEP_2) | instskip(NEXT) | instid1(VALU_DEP_3)
	v_add_nc_u32_e32 v12, s37, v11
	v_cmp_le_i32_e32 vcc_lo, s36, v8
	ds_load_b32 v12, v12 offset:4
	s_or_b32 s28, vcc_lo, s28
	s_wait_dscnt 0x0
	s_wait_kmcnt 0x0
	v_dual_fmac_f32 v12, s25, v9 :: v_dual_add_nc_u32 v9, 0, v11
	ds_store_b32 v9, v12
	s_and_not1_b32 exec_lo, exec_lo, s28
	s_cbranch_execz .LBB12_22
.LBB12_19:                              ;   Parent Loop BB12_15 Depth=1
                                        ; =>  This Loop Header: Depth=2
                                        ;       Child Loop BB12_21 Depth 3
	v_mov_b32_e32 v9, 0
	s_and_not1_b32 vcc_lo, exec_lo, s27
	s_cbranch_vccnz .LBB12_18
; %bb.20:                               ;   in Loop: Header=BB12_19 Depth=2
	s_mov_b32 s29, 0
	s_mov_b64 s[0:1], 0
.LBB12_21:                              ;   Parent Loop BB12_15 Depth=1
                                        ;     Parent Loop BB12_19 Depth=2
                                        ; =>    This Inner Loop Header: Depth=3
	s_wait_xcnt 0x0
	v_add_nc_u64_e32 v[12:13], s[0:1], v[6:7]
	s_add_nc_u64 s[38:39], s[12:13], s[0:1]
	s_add_co_i32 s29, s29, 1
	s_load_b32 s38, s[38:39], 0x0
	s_cmp_eq_u32 s34, s29
	s_add_nc_u64 s[0:1], s[0:1], s[16:17]
	global_load_b32 v11, v[12:13], off
	s_wait_loadcnt 0x0
	s_wait_kmcnt 0x0
	v_fmac_f32_e32 v9, s38, v11
	s_cbranch_scc0 .LBB12_21
	s_branch .LBB12_18
.LBB12_22:                              ;   in Loop: Header=BB12_15 Depth=1
	s_or_b32 exec_lo, exec_lo, s23
	s_mov_b32 s1, 0
.LBB12_23:                              ;   in Loop: Header=BB12_15 Depth=1
	s_delay_alu instid0(SALU_CYCLE_1)
	s_and_not1_b32 vcc_lo, exec_lo, s1
	s_cbranch_vccnz .LBB12_32
; %bb.24:                               ;   in Loop: Header=BB12_15 Depth=1
	s_mov_b32 s38, exec_lo
	v_cmpx_gt_i32_e64 s36, v0
	s_cbranch_execz .LBB12_31
; %bb.25:                               ;   in Loop: Header=BB12_15 Depth=1
	s_load_b32 s39, s[6:7], s8 offset:0x0 scale_offset
	s_ashr_i32 s23, s22, 31
	s_ashr_i32 s25, s24, 31
	s_lshl_b64 s[28:29], s[22:23], 2
	s_lshl_b64 s[0:1], s[24:25], 2
	v_dual_mov_b32 v6, v10 :: v_dual_mov_b32 v11, v0
	s_cmp_gt_i32 s26, 0
	s_add_nc_u64 s[0:1], s[20:21], s[0:1]
	s_cselect_b32 s23, -1, 0
	s_mov_b32 s25, 0
	s_add_nc_u64 s[26:27], s[20:21], s[28:29]
	s_branch .LBB12_28
.LBB12_26:                              ;   in Loop: Header=BB12_28 Depth=2
	v_mov_b32_e32 v7, 0
.LBB12_27:                              ;   in Loop: Header=BB12_28 Depth=2
	v_dual_lshlrev_b32 v8, 2, v11 :: v_dual_add_nc_u32 v11, s19, v11
	s_delay_alu instid0(VALU_DEP_1) | instskip(NEXT) | instid1(VALU_DEP_2)
	v_dual_add_nc_u32 v6, s9, v6 :: v_dual_add_nc_u32 v9, s37, v8
	v_cmp_le_i32_e32 vcc_lo, s36, v11
	ds_load_b32 v9, v9 offset:4
	s_or_b32 s25, vcc_lo, s25
	s_wait_dscnt 0x0
	s_wait_kmcnt 0x0
	v_dual_fmac_f32 v9, s39, v7 :: v_dual_add_nc_u32 v7, 0, v8
	ds_store_b32 v7, v9
	s_and_not1_b32 exec_lo, exec_lo, s25
	s_cbranch_execz .LBB12_31
.LBB12_28:                              ;   Parent Loop BB12_15 Depth=1
                                        ; =>  This Loop Header: Depth=2
                                        ;       Child Loop BB12_30 Depth 3
	s_and_not1_b32 vcc_lo, exec_lo, s23
	s_cbranch_vccnz .LBB12_26
; %bb.29:                               ;   in Loop: Header=BB12_28 Depth=2
	v_ashrrev_i32_e32 v7, 31, v6
	s_mov_b32 s40, 0
	s_mov_b64 s[28:29], s[0:1]
	s_delay_alu instid0(VALU_DEP_1)
	v_lshl_add_u64 v[8:9], v[6:7], 2, s[26:27]
	v_mov_b32_e32 v7, 0
.LBB12_30:                              ;   Parent Loop BB12_15 Depth=1
                                        ;     Parent Loop BB12_28 Depth=2
                                        ; =>    This Inner Loop Header: Depth=3
	global_load_b32 v12, v[8:9], off
	s_load_b32 s41, s[28:29], 0x0
	v_add_nc_u64_e32 v[8:9], 4, v[8:9]
	s_add_co_i32 s40, s40, 1
	s_wait_xcnt 0x0
	s_add_nc_u64 s[28:29], s[28:29], 4
	s_cmp_eq_u32 s34, s40
	s_wait_loadcnt 0x0
	s_wait_kmcnt 0x0
	v_fmac_f32_e32 v7, s41, v12
	s_cbranch_scc0 .LBB12_30
	s_branch .LBB12_27
.LBB12_31:                              ;   in Loop: Header=BB12_15 Depth=1
	s_or_b32 exec_lo, exec_lo, s38
.LBB12_32:                              ;   in Loop: Header=BB12_15 Depth=1
	s_delay_alu instid0(SALU_CYCLE_1)
	s_mov_b32 s0, exec_lo
	s_wait_dscnt 0x0
	s_barrier_signal -1
	s_barrier_wait -1
	v_cmpx_gt_i32_e64 s36, v0
	s_cbranch_execz .LBB12_14
; %bb.33:                               ;   in Loop: Header=BB12_15 Depth=1
	v_dual_mov_b32 v6, v3 :: v_dual_mov_b32 v7, v0
	s_mov_b32 s1, 0
.LBB12_34:                              ;   Parent Loop BB12_15 Depth=1
                                        ; =>  This Loop Header: Depth=2
                                        ;       Child Loop BB12_35 Depth 3
	s_delay_alu instid0(VALU_DEP_1)
	v_dual_mov_b32 v8, 0 :: v_dual_mov_b32 v9, v6
	s_mov_b32 s25, -1
	s_mov_b32 s23, 0
	s_mov_b32 s26, 0
.LBB12_35:                              ;   Parent Loop BB12_15 Depth=1
                                        ;     Parent Loop BB12_34 Depth=2
                                        ; =>    This Inner Loop Header: Depth=3
	s_delay_alu instid0(SALU_CYCLE_1)
	v_mov_b32_e32 v11, s26
	s_add_co_i32 s25, s25, 1
	s_add_co_i32 s26, s26, 4
	v_cmp_eq_u32_e32 vcc_lo, s25, v7
	ds_load_b32 v12, v9
	ds_load_b32 v11, v11
	v_add_nc_u32_e32 v9, s30, v9
	s_or_b32 s23, vcc_lo, s23
	s_wait_dscnt 0x0
	v_fmac_f32_e32 v8, v12, v11
	s_and_not1_b32 exec_lo, exec_lo, s23
	s_cbranch_execnz .LBB12_35
; %bb.36:                               ;   in Loop: Header=BB12_34 Depth=2
	s_or_b32 exec_lo, exec_lo, s23
	v_lshl_add_u32 v9, v7, 2, s37
	v_dual_add_nc_u32 v7, s19, v7 :: v_dual_add_nc_u32 v6, s4, v6
	ds_store_b32 v9, v8 offset:4
	v_cmp_le_i32_e32 vcc_lo, s36, v7
	s_or_b32 s1, vcc_lo, s1
	s_delay_alu instid0(SALU_CYCLE_1)
	s_and_not1_b32 exec_lo, exec_lo, s1
	s_cbranch_execnz .LBB12_34
	s_branch .LBB12_14
.LBB12_37:
	s_and_saveexec_b32 s0, s2
	s_cbranch_execz .LBB12_49
; %bb.38:
	s_cmp_lg_u32 s18, 1
	s_cselect_b32 s1, -1, 0
	s_cmp_lg_u32 s3, 1
	s_cselect_b32 s2, -1, 0
	s_lshl_b32 s0, s18, 2
	s_or_b32 s4, s1, s2
	v_add3_u32 v2, 0, s0, v2
	s_mov_b32 s1, 0
	s_lshl_b32 s2, s19, 2
	s_xor_b32 s4, s4, -1
	s_branch .LBB12_40
.LBB12_39:                              ;   in Loop: Header=BB12_40 Depth=1
	s_or_b32 exec_lo, exec_lo, s6
	v_dual_add_nc_u32 v0, s19, v0 :: v_dual_add_nc_u32 v1, s19, v1
	v_add_nc_u32_e32 v2, s2, v2
	s_delay_alu instid0(VALU_DEP_2) | instskip(SKIP_1) | instid1(SALU_CYCLE_1)
	v_cmp_le_i32_e32 vcc_lo, s18, v0
	s_or_b32 s1, vcc_lo, s1
	s_and_not1_b32 exec_lo, exec_lo, s1
	s_cbranch_execz .LBB12_49
.LBB12_40:                              ; =>This Loop Header: Depth=1
                                        ;     Child Loop BB12_43 Depth 2
                                        ;     Child Loop BB12_48 Depth 2
	v_cmp_gt_u32_e64 s5, 6, v1
	v_mov_b32_e32 v3, 0
	s_mov_b32 s6, exec_lo
	v_cmpx_lt_u32_e32 5, v1
	s_cbranch_execz .LBB12_46
; %bb.41:                               ;   in Loop: Header=BB12_40 Depth=1
	v_lshlrev_b32_e32 v3, 1, v0
	s_mov_b32 s8, -1
	s_delay_alu instid0(VALU_DEP_1) | instskip(SKIP_2) | instid1(SALU_CYCLE_1)
	v_cmp_ge_i32_e32 vcc_lo, v3, v0
	v_mov_b32_e32 v3, 0
	s_and_b32 s9, s4, vcc_lo
	s_and_saveexec_b32 s7, s9
	s_cbranch_execz .LBB12_45
; %bb.42:                               ;   in Loop: Header=BB12_40 Depth=1
	v_dual_mov_b32 v4, v2 :: v_dual_bitop2_b32 v3, -4, v1 bitop3:0x40
	s_mov_b32 s8, 0
	s_mov_b32 s9, 0
.LBB12_43:                              ;   Parent Loop BB12_40 Depth=1
                                        ; =>  This Inner Loop Header: Depth=2
	ds_load_2addr_b32 v[6:7], v4 offset1:1
	ds_load_2addr_b32 v[8:9], v4 offset0:2 offset1:3
	v_add_nc_u32_e32 v10, s9, v0
	s_add_co_i32 s9, s9, 4
	v_add_nc_u32_e32 v4, 16, v4
	v_cmp_eq_u32_e32 vcc_lo, s9, v3
	s_delay_alu instid0(VALU_DEP_3) | instskip(SKIP_1) | instid1(VALU_DEP_1)
	v_ashrrev_i32_e32 v11, 31, v10
	s_or_b32 s8, vcc_lo, s8
	v_lshl_add_u64 v[10:11], v[10:11], 2, s[10:11]
	s_wait_dscnt 0x0
	global_store_b128 v[10:11], v[6:9], off
	s_wait_xcnt 0x0
	s_and_not1_b32 exec_lo, exec_lo, s8
	s_cbranch_execnz .LBB12_43
; %bb.44:                               ;   in Loop: Header=BB12_40 Depth=1
	s_or_b32 exec_lo, exec_lo, s8
	v_cmp_ne_u32_e32 vcc_lo, v1, v3
	s_or_not1_b32 s8, vcc_lo, exec_lo
.LBB12_45:                              ;   in Loop: Header=BB12_40 Depth=1
	s_or_b32 exec_lo, exec_lo, s7
	s_delay_alu instid0(SALU_CYCLE_1) | instskip(SKIP_1) | instid1(SALU_CYCLE_1)
	s_and_not1_b32 s5, s5, exec_lo
	s_and_b32 s7, s8, exec_lo
	s_or_b32 s5, s5, s7
.LBB12_46:                              ;   in Loop: Header=BB12_40 Depth=1
	s_or_b32 exec_lo, exec_lo, s6
	s_and_saveexec_b32 s6, s5
	s_cbranch_execz .LBB12_39
; %bb.47:                               ;   in Loop: Header=BB12_40 Depth=1
	v_mad_u32 v4, s3, v3, v0
	v_mul_lo_u32 v5, s0, v3
	s_mov_b32 s5, 0
.LBB12_48:                              ;   Parent Loop BB12_40 Depth=1
                                        ; =>  This Inner Loop Header: Depth=2
	s_delay_alu instid0(VALU_DEP_1)
	v_dual_add_nc_u32 v6, v2, v5 :: v_dual_add_nc_u32 v3, 1, v3
	v_add_nc_u32_e32 v5, s0, v5
	ds_load_b32 v6, v6
	v_cmp_eq_u32_e32 vcc_lo, v1, v3
	s_or_b32 s5, vcc_lo, s5
	s_wait_dscnt 0x0
	global_store_b32 v4, v6, s[10:11] scale_offset
	s_wait_xcnt 0x0
	v_add_nc_u32_e32 v4, s3, v4
	s_and_not1_b32 exec_lo, exec_lo, s5
	s_cbranch_execnz .LBB12_48
	s_branch .LBB12_39
.LBB12_49:
	s_endpgm
	.section	.rodata,"a",@progbits
	.p2align	6, 0x0
	.amdhsa_kernel _ZN9rocsolver6v33100L21larft_kernel_backwardIfPfEEv15rocblas_storev_iiT0_iilPT_lS6_il
		.amdhsa_group_segment_fixed_size 0
		.amdhsa_private_segment_fixed_size 0
		.amdhsa_kernarg_size 336
		.amdhsa_user_sgpr_count 2
		.amdhsa_user_sgpr_dispatch_ptr 0
		.amdhsa_user_sgpr_queue_ptr 0
		.amdhsa_user_sgpr_kernarg_segment_ptr 1
		.amdhsa_user_sgpr_dispatch_id 0
		.amdhsa_user_sgpr_kernarg_preload_length 0
		.amdhsa_user_sgpr_kernarg_preload_offset 0
		.amdhsa_user_sgpr_private_segment_size 0
		.amdhsa_wavefront_size32 1
		.amdhsa_uses_dynamic_stack 0
		.amdhsa_enable_private_segment 0
		.amdhsa_system_sgpr_workgroup_id_x 1
		.amdhsa_system_sgpr_workgroup_id_y 1
		.amdhsa_system_sgpr_workgroup_id_z 0
		.amdhsa_system_sgpr_workgroup_info 0
		.amdhsa_system_vgpr_workitem_id 0
		.amdhsa_next_free_vgpr 14
		.amdhsa_next_free_sgpr 42
		.amdhsa_named_barrier_count 0
		.amdhsa_reserve_vcc 1
		.amdhsa_float_round_mode_32 0
		.amdhsa_float_round_mode_16_64 0
		.amdhsa_float_denorm_mode_32 3
		.amdhsa_float_denorm_mode_16_64 3
		.amdhsa_fp16_overflow 0
		.amdhsa_memory_ordered 1
		.amdhsa_forward_progress 1
		.amdhsa_inst_pref_size 16
		.amdhsa_round_robin_scheduling 0
		.amdhsa_exception_fp_ieee_invalid_op 0
		.amdhsa_exception_fp_denorm_src 0
		.amdhsa_exception_fp_ieee_div_zero 0
		.amdhsa_exception_fp_ieee_overflow 0
		.amdhsa_exception_fp_ieee_underflow 0
		.amdhsa_exception_fp_ieee_inexact 0
		.amdhsa_exception_int_div_zero 0
	.end_amdhsa_kernel
	.section	.text._ZN9rocsolver6v33100L21larft_kernel_backwardIfPfEEv15rocblas_storev_iiT0_iilPT_lS6_il,"axG",@progbits,_ZN9rocsolver6v33100L21larft_kernel_backwardIfPfEEv15rocblas_storev_iiT0_iilPT_lS6_il,comdat
.Lfunc_end12:
	.size	_ZN9rocsolver6v33100L21larft_kernel_backwardIfPfEEv15rocblas_storev_iiT0_iilPT_lS6_il, .Lfunc_end12-_ZN9rocsolver6v33100L21larft_kernel_backwardIfPfEEv15rocblas_storev_iiT0_iilPT_lS6_il
                                        ; -- End function
	.set _ZN9rocsolver6v33100L21larft_kernel_backwardIfPfEEv15rocblas_storev_iiT0_iilPT_lS6_il.num_vgpr, 14
	.set _ZN9rocsolver6v33100L21larft_kernel_backwardIfPfEEv15rocblas_storev_iiT0_iilPT_lS6_il.num_agpr, 0
	.set _ZN9rocsolver6v33100L21larft_kernel_backwardIfPfEEv15rocblas_storev_iiT0_iilPT_lS6_il.numbered_sgpr, 42
	.set _ZN9rocsolver6v33100L21larft_kernel_backwardIfPfEEv15rocblas_storev_iiT0_iilPT_lS6_il.num_named_barrier, 0
	.set _ZN9rocsolver6v33100L21larft_kernel_backwardIfPfEEv15rocblas_storev_iiT0_iilPT_lS6_il.private_seg_size, 0
	.set _ZN9rocsolver6v33100L21larft_kernel_backwardIfPfEEv15rocblas_storev_iiT0_iilPT_lS6_il.uses_vcc, 1
	.set _ZN9rocsolver6v33100L21larft_kernel_backwardIfPfEEv15rocblas_storev_iiT0_iilPT_lS6_il.uses_flat_scratch, 0
	.set _ZN9rocsolver6v33100L21larft_kernel_backwardIfPfEEv15rocblas_storev_iiT0_iilPT_lS6_il.has_dyn_sized_stack, 0
	.set _ZN9rocsolver6v33100L21larft_kernel_backwardIfPfEEv15rocblas_storev_iiT0_iilPT_lS6_il.has_recursion, 0
	.set _ZN9rocsolver6v33100L21larft_kernel_backwardIfPfEEv15rocblas_storev_iiT0_iilPT_lS6_il.has_indirect_call, 0
	.section	.AMDGPU.csdata,"",@progbits
; Kernel info:
; codeLenInByte = 1928
; TotalNumSgprs: 44
; NumVgprs: 14
; ScratchSize: 0
; MemoryBound: 0
; FloatMode: 240
; IeeeMode: 1
; LDSByteSize: 0 bytes/workgroup (compile time only)
; SGPRBlocks: 0
; VGPRBlocks: 0
; NumSGPRsForWavesPerEU: 44
; NumVGPRsForWavesPerEU: 14
; NamedBarCnt: 0
; Occupancy: 16
; WaveLimiterHint : 0
; COMPUTE_PGM_RSRC2:SCRATCH_EN: 0
; COMPUTE_PGM_RSRC2:USER_SGPR: 2
; COMPUTE_PGM_RSRC2:TRAP_HANDLER: 0
; COMPUTE_PGM_RSRC2:TGID_X_EN: 1
; COMPUTE_PGM_RSRC2:TGID_Y_EN: 1
; COMPUTE_PGM_RSRC2:TGID_Z_EN: 0
; COMPUTE_PGM_RSRC2:TIDIG_COMP_CNT: 0
	.section	.text._ZN9rocsolver6v33100L9copymatA1IfPfEEviiT0_iilPT_,"axG",@progbits,_ZN9rocsolver6v33100L9copymatA1IfPfEEviiT0_iilPT_,comdat
	.globl	_ZN9rocsolver6v33100L9copymatA1IfPfEEviiT0_iilPT_ ; -- Begin function _ZN9rocsolver6v33100L9copymatA1IfPfEEviiT0_iilPT_
	.p2align	8
	.type	_ZN9rocsolver6v33100L9copymatA1IfPfEEviiT0_iilPT_,@function
_ZN9rocsolver6v33100L9copymatA1IfPfEEviiT0_iilPT_: ; @_ZN9rocsolver6v33100L9copymatA1IfPfEEviiT0_iilPT_
; %bb.0:
	s_clause 0x1
	s_load_b32 s2, s[0:1], 0x34
	s_load_b64 s[12:13], s[0:1], 0x0
	s_bfe_u32 s4, ttmp6, 0x40010
	s_bfe_u32 s7, ttmp6, 0x4000c
	s_and_b32 s3, ttmp7, 0xffff
	s_add_co_i32 s4, s4, 1
	s_add_co_i32 s7, s7, 1
	s_bfe_u32 s5, ttmp6, 0x40004
	s_and_b32 s6, ttmp6, 15
	s_mul_i32 s4, s3, s4
	s_mul_i32 s7, ttmp9, s7
	s_getreg_b32 s14, hwreg(HW_REG_IB_STS2, 6, 4)
	v_and_b32_e32 v1, 0x3ff, v0
	v_bfe_u32 v0, v0, 10, 10
	s_add_co_i32 s5, s5, s4
	s_add_co_i32 s6, s6, s7
	s_wait_kmcnt 0x0
	s_lshr_b32 s4, s2, 16
	s_and_b32 s2, s2, 0xffff
	s_cmp_eq_u32 s14, 0
	s_cselect_b32 s3, s3, s5
	s_cselect_b32 s5, ttmp9, s6
	v_mad_u32 v0, s3, s4, v0
	v_mad_u32 v1, s5, s2, v1
	s_mov_b32 s3, 0
	s_delay_alu instid0(VALU_DEP_2) | instskip(NEXT) | instid1(VALU_DEP_2)
	v_cmp_gt_u32_e32 vcc_lo, s12, v0
	v_cmp_gt_u32_e64 s2, s13, v1
	s_and_b32 s2, s2, vcc_lo
	s_delay_alu instid0(SALU_CYCLE_1)
	s_and_saveexec_b32 s4, s2
	s_cbranch_execz .LBB13_2
; %bb.1:
	s_load_b256 s[4:11], s[0:1], 0x8
	s_wait_xcnt 0x0
	s_bfe_u32 s0, ttmp6, 0x40014
	s_lshr_b32 s2, ttmp7, 16
	s_add_co_i32 s0, s0, 1
	s_bfe_u32 s16, ttmp6, 0x40008
	s_mul_i32 s0, s2, s0
	s_ashr_i32 s1, s12, 31
	s_ashr_i32 s15, s13, 31
	s_add_co_i32 s16, s16, s0
	s_cmp_eq_u32 s14, 0
	s_mov_b32 s0, s12
	s_cselect_b32 s2, s2, s16
	s_mov_b32 s14, s13
	s_mul_u64 s[0:1], s[0:1], s[2:3]
	s_delay_alu instid0(SALU_CYCLE_1) | instskip(NEXT) | instid1(SALU_CYCLE_1)
	s_mul_u64 s[0:1], s[0:1], s[14:15]
	s_lshl_b64 s[0:1], s[0:1], 2
	s_wait_kmcnt 0x0
	v_mad_u32 v2, v1, s7, v0
	s_mul_u64 s[8:9], s[8:9], s[2:3]
	s_ashr_i32 s7, s6, 31
	s_lshl_b64 s[8:9], s[8:9], 2
	s_lshl_b64 s[6:7], s[6:7], 2
	s_add_nc_u64 s[4:5], s[4:5], s[8:9]
	v_mad_u32 v0, v1, s12, v0
	s_add_nc_u64 s[4:5], s[4:5], s[6:7]
	s_add_nc_u64 s[0:1], s[10:11], s[0:1]
	global_load_b32 v2, v2, s[4:5] scale_offset
	s_wait_loadcnt 0x0
	global_store_b32 v0, v2, s[0:1] scale_offset
.LBB13_2:
	s_endpgm
	.section	.rodata,"a",@progbits
	.p2align	6, 0x0
	.amdhsa_kernel _ZN9rocsolver6v33100L9copymatA1IfPfEEviiT0_iilPT_
		.amdhsa_group_segment_fixed_size 0
		.amdhsa_private_segment_fixed_size 0
		.amdhsa_kernarg_size 296
		.amdhsa_user_sgpr_count 2
		.amdhsa_user_sgpr_dispatch_ptr 0
		.amdhsa_user_sgpr_queue_ptr 0
		.amdhsa_user_sgpr_kernarg_segment_ptr 1
		.amdhsa_user_sgpr_dispatch_id 0
		.amdhsa_user_sgpr_kernarg_preload_length 0
		.amdhsa_user_sgpr_kernarg_preload_offset 0
		.amdhsa_user_sgpr_private_segment_size 0
		.amdhsa_wavefront_size32 1
		.amdhsa_uses_dynamic_stack 0
		.amdhsa_enable_private_segment 0
		.amdhsa_system_sgpr_workgroup_id_x 1
		.amdhsa_system_sgpr_workgroup_id_y 1
		.amdhsa_system_sgpr_workgroup_id_z 1
		.amdhsa_system_sgpr_workgroup_info 0
		.amdhsa_system_vgpr_workitem_id 1
		.amdhsa_next_free_vgpr 3
		.amdhsa_next_free_sgpr 17
		.amdhsa_named_barrier_count 0
		.amdhsa_reserve_vcc 1
		.amdhsa_float_round_mode_32 0
		.amdhsa_float_round_mode_16_64 0
		.amdhsa_float_denorm_mode_32 3
		.amdhsa_float_denorm_mode_16_64 3
		.amdhsa_fp16_overflow 0
		.amdhsa_memory_ordered 1
		.amdhsa_forward_progress 1
		.amdhsa_inst_pref_size 3
		.amdhsa_round_robin_scheduling 0
		.amdhsa_exception_fp_ieee_invalid_op 0
		.amdhsa_exception_fp_denorm_src 0
		.amdhsa_exception_fp_ieee_div_zero 0
		.amdhsa_exception_fp_ieee_overflow 0
		.amdhsa_exception_fp_ieee_underflow 0
		.amdhsa_exception_fp_ieee_inexact 0
		.amdhsa_exception_int_div_zero 0
	.end_amdhsa_kernel
	.section	.text._ZN9rocsolver6v33100L9copymatA1IfPfEEviiT0_iilPT_,"axG",@progbits,_ZN9rocsolver6v33100L9copymatA1IfPfEEviiT0_iilPT_,comdat
.Lfunc_end13:
	.size	_ZN9rocsolver6v33100L9copymatA1IfPfEEviiT0_iilPT_, .Lfunc_end13-_ZN9rocsolver6v33100L9copymatA1IfPfEEviiT0_iilPT_
                                        ; -- End function
	.set _ZN9rocsolver6v33100L9copymatA1IfPfEEviiT0_iilPT_.num_vgpr, 3
	.set _ZN9rocsolver6v33100L9copymatA1IfPfEEviiT0_iilPT_.num_agpr, 0
	.set _ZN9rocsolver6v33100L9copymatA1IfPfEEviiT0_iilPT_.numbered_sgpr, 17
	.set _ZN9rocsolver6v33100L9copymatA1IfPfEEviiT0_iilPT_.num_named_barrier, 0
	.set _ZN9rocsolver6v33100L9copymatA1IfPfEEviiT0_iilPT_.private_seg_size, 0
	.set _ZN9rocsolver6v33100L9copymatA1IfPfEEviiT0_iilPT_.uses_vcc, 1
	.set _ZN9rocsolver6v33100L9copymatA1IfPfEEviiT0_iilPT_.uses_flat_scratch, 0
	.set _ZN9rocsolver6v33100L9copymatA1IfPfEEviiT0_iilPT_.has_dyn_sized_stack, 0
	.set _ZN9rocsolver6v33100L9copymatA1IfPfEEviiT0_iilPT_.has_recursion, 0
	.set _ZN9rocsolver6v33100L9copymatA1IfPfEEviiT0_iilPT_.has_indirect_call, 0
	.section	.AMDGPU.csdata,"",@progbits
; Kernel info:
; codeLenInByte = 344
; TotalNumSgprs: 19
; NumVgprs: 3
; ScratchSize: 0
; MemoryBound: 0
; FloatMode: 240
; IeeeMode: 1
; LDSByteSize: 0 bytes/workgroup (compile time only)
; SGPRBlocks: 0
; VGPRBlocks: 0
; NumSGPRsForWavesPerEU: 19
; NumVGPRsForWavesPerEU: 3
; NamedBarCnt: 0
; Occupancy: 16
; WaveLimiterHint : 0
; COMPUTE_PGM_RSRC2:SCRATCH_EN: 0
; COMPUTE_PGM_RSRC2:USER_SGPR: 2
; COMPUTE_PGM_RSRC2:TRAP_HANDLER: 0
; COMPUTE_PGM_RSRC2:TGID_X_EN: 1
; COMPUTE_PGM_RSRC2:TGID_Y_EN: 1
; COMPUTE_PGM_RSRC2:TGID_Z_EN: 1
; COMPUTE_PGM_RSRC2:TIDIG_COMP_CNT: 1
	.section	.text._ZN9rocsolver6v33100L8addmatA1IfPfEEviiT0_iilPT_,"axG",@progbits,_ZN9rocsolver6v33100L8addmatA1IfPfEEviiT0_iilPT_,comdat
	.globl	_ZN9rocsolver6v33100L8addmatA1IfPfEEviiT0_iilPT_ ; -- Begin function _ZN9rocsolver6v33100L8addmatA1IfPfEEviiT0_iilPT_
	.p2align	8
	.type	_ZN9rocsolver6v33100L8addmatA1IfPfEEviiT0_iilPT_,@function
_ZN9rocsolver6v33100L8addmatA1IfPfEEviiT0_iilPT_: ; @_ZN9rocsolver6v33100L8addmatA1IfPfEEviiT0_iilPT_
; %bb.0:
	s_clause 0x1
	s_load_b32 s2, s[0:1], 0x34
	s_load_b64 s[12:13], s[0:1], 0x0
	s_bfe_u32 s4, ttmp6, 0x40010
	s_bfe_u32 s7, ttmp6, 0x4000c
	s_and_b32 s3, ttmp7, 0xffff
	s_add_co_i32 s4, s4, 1
	s_add_co_i32 s7, s7, 1
	s_bfe_u32 s5, ttmp6, 0x40004
	s_and_b32 s6, ttmp6, 15
	s_mul_i32 s4, s3, s4
	s_mul_i32 s7, ttmp9, s7
	s_getreg_b32 s14, hwreg(HW_REG_IB_STS2, 6, 4)
	v_and_b32_e32 v1, 0x3ff, v0
	v_bfe_u32 v0, v0, 10, 10
	s_add_co_i32 s5, s5, s4
	s_add_co_i32 s6, s6, s7
	s_wait_kmcnt 0x0
	s_lshr_b32 s4, s2, 16
	s_and_b32 s2, s2, 0xffff
	s_cmp_eq_u32 s14, 0
	s_cselect_b32 s3, s3, s5
	s_cselect_b32 s5, ttmp9, s6
	v_mad_u32 v0, s3, s4, v0
	v_mad_u32 v1, s5, s2, v1
	s_mov_b32 s3, 0
	s_delay_alu instid0(VALU_DEP_2) | instskip(NEXT) | instid1(VALU_DEP_2)
	v_cmp_gt_u32_e32 vcc_lo, s12, v0
	v_cmp_gt_u32_e64 s2, s13, v1
	s_and_b32 s2, s2, vcc_lo
	s_delay_alu instid0(SALU_CYCLE_1)
	s_and_saveexec_b32 s4, s2
	s_cbranch_execz .LBB14_2
; %bb.1:
	s_load_b256 s[4:11], s[0:1], 0x8
	s_wait_xcnt 0x0
	s_bfe_u32 s0, ttmp6, 0x40014
	s_lshr_b32 s2, ttmp7, 16
	s_add_co_i32 s0, s0, 1
	s_bfe_u32 s16, ttmp6, 0x40008
	s_mul_i32 s0, s2, s0
	s_ashr_i32 s1, s12, 31
	s_ashr_i32 s15, s13, 31
	s_add_co_i32 s16, s16, s0
	s_cmp_eq_u32 s14, 0
	v_mad_u32 v2, v1, s12, v0
	s_mov_b32 s0, s12
	s_cselect_b32 s2, s2, s16
	s_mov_b32 s14, s13
	s_mul_u64 s[0:1], s[0:1], s[2:3]
	s_delay_alu instid0(SALU_CYCLE_1) | instskip(NEXT) | instid1(SALU_CYCLE_1)
	s_mul_u64 s[0:1], s[0:1], s[14:15]
	s_lshl_b64 s[0:1], s[0:1], 2
	s_wait_kmcnt 0x0
	v_mad_u32 v0, v1, s7, v0
	s_mul_u64 s[2:3], s[8:9], s[2:3]
	s_ashr_i32 s7, s6, 31
	s_lshl_b64 s[2:3], s[2:3], 2
	s_add_nc_u64 s[0:1], s[10:11], s[0:1]
	s_add_nc_u64 s[2:3], s[4:5], s[2:3]
	s_lshl_b64 s[4:5], s[6:7], 2
	s_delay_alu instid0(SALU_CYCLE_1)
	s_add_nc_u64 s[2:3], s[2:3], s[4:5]
	global_load_b32 v1, v2, s[0:1] scale_offset
	global_load_b32 v3, v0, s[2:3] scale_offset
	s_wait_loadcnt 0x0
	v_sub_f32_e32 v1, v3, v1
	global_store_b32 v0, v1, s[2:3] scale_offset
.LBB14_2:
	s_endpgm
	.section	.rodata,"a",@progbits
	.p2align	6, 0x0
	.amdhsa_kernel _ZN9rocsolver6v33100L8addmatA1IfPfEEviiT0_iilPT_
		.amdhsa_group_segment_fixed_size 0
		.amdhsa_private_segment_fixed_size 0
		.amdhsa_kernarg_size 296
		.amdhsa_user_sgpr_count 2
		.amdhsa_user_sgpr_dispatch_ptr 0
		.amdhsa_user_sgpr_queue_ptr 0
		.amdhsa_user_sgpr_kernarg_segment_ptr 1
		.amdhsa_user_sgpr_dispatch_id 0
		.amdhsa_user_sgpr_kernarg_preload_length 0
		.amdhsa_user_sgpr_kernarg_preload_offset 0
		.amdhsa_user_sgpr_private_segment_size 0
		.amdhsa_wavefront_size32 1
		.amdhsa_uses_dynamic_stack 0
		.amdhsa_enable_private_segment 0
		.amdhsa_system_sgpr_workgroup_id_x 1
		.amdhsa_system_sgpr_workgroup_id_y 1
		.amdhsa_system_sgpr_workgroup_id_z 1
		.amdhsa_system_sgpr_workgroup_info 0
		.amdhsa_system_vgpr_workitem_id 1
		.amdhsa_next_free_vgpr 4
		.amdhsa_next_free_sgpr 17
		.amdhsa_named_barrier_count 0
		.amdhsa_reserve_vcc 1
		.amdhsa_float_round_mode_32 0
		.amdhsa_float_round_mode_16_64 0
		.amdhsa_float_denorm_mode_32 3
		.amdhsa_float_denorm_mode_16_64 3
		.amdhsa_fp16_overflow 0
		.amdhsa_memory_ordered 1
		.amdhsa_forward_progress 1
		.amdhsa_inst_pref_size 3
		.amdhsa_round_robin_scheduling 0
		.amdhsa_exception_fp_ieee_invalid_op 0
		.amdhsa_exception_fp_denorm_src 0
		.amdhsa_exception_fp_ieee_div_zero 0
		.amdhsa_exception_fp_ieee_overflow 0
		.amdhsa_exception_fp_ieee_underflow 0
		.amdhsa_exception_fp_ieee_inexact 0
		.amdhsa_exception_int_div_zero 0
	.end_amdhsa_kernel
	.section	.text._ZN9rocsolver6v33100L8addmatA1IfPfEEviiT0_iilPT_,"axG",@progbits,_ZN9rocsolver6v33100L8addmatA1IfPfEEviiT0_iilPT_,comdat
.Lfunc_end14:
	.size	_ZN9rocsolver6v33100L8addmatA1IfPfEEviiT0_iilPT_, .Lfunc_end14-_ZN9rocsolver6v33100L8addmatA1IfPfEEviiT0_iilPT_
                                        ; -- End function
	.set _ZN9rocsolver6v33100L8addmatA1IfPfEEviiT0_iilPT_.num_vgpr, 4
	.set _ZN9rocsolver6v33100L8addmatA1IfPfEEviiT0_iilPT_.num_agpr, 0
	.set _ZN9rocsolver6v33100L8addmatA1IfPfEEviiT0_iilPT_.numbered_sgpr, 17
	.set _ZN9rocsolver6v33100L8addmatA1IfPfEEviiT0_iilPT_.num_named_barrier, 0
	.set _ZN9rocsolver6v33100L8addmatA1IfPfEEviiT0_iilPT_.private_seg_size, 0
	.set _ZN9rocsolver6v33100L8addmatA1IfPfEEviiT0_iilPT_.uses_vcc, 1
	.set _ZN9rocsolver6v33100L8addmatA1IfPfEEviiT0_iilPT_.uses_flat_scratch, 0
	.set _ZN9rocsolver6v33100L8addmatA1IfPfEEviiT0_iilPT_.has_dyn_sized_stack, 0
	.set _ZN9rocsolver6v33100L8addmatA1IfPfEEviiT0_iilPT_.has_recursion, 0
	.set _ZN9rocsolver6v33100L8addmatA1IfPfEEviiT0_iilPT_.has_indirect_call, 0
	.section	.AMDGPU.csdata,"",@progbits
; Kernel info:
; codeLenInByte = 364
; TotalNumSgprs: 19
; NumVgprs: 4
; ScratchSize: 0
; MemoryBound: 0
; FloatMode: 240
; IeeeMode: 1
; LDSByteSize: 0 bytes/workgroup (compile time only)
; SGPRBlocks: 0
; VGPRBlocks: 0
; NumSGPRsForWavesPerEU: 19
; NumVGPRsForWavesPerEU: 4
; NamedBarCnt: 0
; Occupancy: 16
; WaveLimiterHint : 0
; COMPUTE_PGM_RSRC2:SCRATCH_EN: 0
; COMPUTE_PGM_RSRC2:USER_SGPR: 2
; COMPUTE_PGM_RSRC2:TRAP_HANDLER: 0
; COMPUTE_PGM_RSRC2:TGID_X_EN: 1
; COMPUTE_PGM_RSRC2:TGID_Y_EN: 1
; COMPUTE_PGM_RSRC2:TGID_Z_EN: 1
; COMPUTE_PGM_RSRC2:TIDIG_COMP_CNT: 1
	.section	.text._ZN9rocsolver6v33100L8set_zeroIfPfEEviiT0_iil13rocblas_fill_,"axG",@progbits,_ZN9rocsolver6v33100L8set_zeroIfPfEEviiT0_iil13rocblas_fill_,comdat
	.globl	_ZN9rocsolver6v33100L8set_zeroIfPfEEviiT0_iil13rocblas_fill_ ; -- Begin function _ZN9rocsolver6v33100L8set_zeroIfPfEEviiT0_iil13rocblas_fill_
	.p2align	8
	.type	_ZN9rocsolver6v33100L8set_zeroIfPfEEviiT0_iil13rocblas_fill_,@function
_ZN9rocsolver6v33100L8set_zeroIfPfEEviiT0_iil13rocblas_fill_: ; @_ZN9rocsolver6v33100L8set_zeroIfPfEEviiT0_iil13rocblas_fill_
; %bb.0:
	s_clause 0x1
	s_load_b32 s2, s[0:1], 0x34
	s_load_b64 s[4:5], s[0:1], 0x0
	s_bfe_u32 s7, ttmp6, 0x40010
	s_bfe_u32 s10, ttmp6, 0x4000c
	s_and_b32 s6, ttmp7, 0xffff
	s_add_co_i32 s7, s7, 1
	s_add_co_i32 s10, s10, 1
	s_bfe_u32 s8, ttmp6, 0x40004
	s_and_b32 s9, ttmp6, 15
	s_mul_i32 s7, s6, s7
	s_mul_i32 s10, ttmp9, s10
	s_getreg_b32 s3, hwreg(HW_REG_IB_STS2, 6, 4)
	v_and_b32_e32 v1, 0x3ff, v0
	v_bfe_u32 v2, v0, 10, 10
	s_add_co_i32 s8, s8, s7
	s_add_co_i32 s9, s9, s10
	s_wait_kmcnt 0x0
	s_lshr_b32 s7, s2, 16
	s_and_b32 s2, s2, 0xffff
	s_cmp_eq_u32 s3, 0
	s_cselect_b32 s9, ttmp9, s9
	s_cselect_b32 s6, s6, s8
	v_mad_u32 v0, s9, s2, v1
	v_mad_u32 v1, s6, s7, v2
	s_delay_alu instid0(VALU_DEP_2) | instskip(NEXT) | instid1(VALU_DEP_2)
	v_cmp_gt_u32_e32 vcc_lo, s4, v0
	v_cmp_gt_u32_e64 s2, s5, v1
	s_and_b32 s2, vcc_lo, s2
	s_delay_alu instid0(SALU_CYCLE_1)
	s_and_saveexec_b32 s4, s2
	s_cbranch_execz .LBB15_12
; %bb.1:
	s_load_b32 s4, s[0:1], 0x20
	s_wait_kmcnt 0x0
	s_cmp_lt_i32 s4, 0x7a
	s_cbranch_scc1 .LBB15_4
; %bb.2:
	s_cmp_gt_i32 s4, 0x7a
	s_cbranch_scc0 .LBB15_5
; %bb.3:
	s_cmp_eq_u32 s4, 0x7b
	s_cselect_b32 s2, -1, 0
	s_cbranch_execz .LBB15_6
	s_branch .LBB15_7
.LBB15_4:
	s_mov_b32 s2, 0
	s_cbranch_execnz .LBB15_8
	s_branch .LBB15_10
.LBB15_5:
	s_mov_b32 s2, 0
.LBB15_6:
	v_cmp_gt_u32_e32 vcc_lo, v1, v0
	s_and_not1_b32 s2, s2, exec_lo
	s_and_b32 s5, vcc_lo, exec_lo
	s_delay_alu instid0(SALU_CYCLE_1)
	s_or_b32 s2, s2, s5
.LBB15_7:
	s_branch .LBB15_10
.LBB15_8:
	s_cmp_eq_u32 s4, 0x79
	s_cbranch_scc0 .LBB15_10
; %bb.9:
	v_cmp_gt_u32_e32 vcc_lo, v0, v1
	s_and_not1_b32 s2, s2, exec_lo
	s_and_b32 s4, vcc_lo, exec_lo
	s_delay_alu instid0(SALU_CYCLE_1)
	s_or_b32 s2, s2, s4
.LBB15_10:
	s_delay_alu instid0(SALU_CYCLE_1)
	s_and_b32 exec_lo, exec_lo, s2
	s_cbranch_execz .LBB15_12
; %bb.11:
	s_clause 0x1
	s_load_b128 s[4:7], s[0:1], 0x8
	s_load_b64 s[8:9], s[0:1], 0x18
	s_wait_xcnt 0x0
	s_bfe_u32 s0, ttmp6, 0x40014
	s_lshr_b32 s2, ttmp7, 16
	s_add_co_i32 s0, s0, 1
	s_bfe_u32 s10, ttmp6, 0x40008
	s_mul_i32 s0, s2, s0
	s_mov_b32 s1, 0
	s_add_co_i32 s10, s10, s0
	s_wait_kmcnt 0x0
	s_ashr_i32 s11, s6, 31
	s_cmp_eq_u32 s3, 0
	v_mad_u32 v0, v1, s7, v0
	s_cselect_b32 s0, s2, s10
	s_mov_b32 s10, s6
	s_mul_u64 s[0:1], s[8:9], s[0:1]
	v_mov_b32_e32 v1, 0
	s_lshl_b64 s[0:1], s[0:1], 2
	s_lshl_b64 s[2:3], s[10:11], 2
	s_add_nc_u64 s[0:1], s[4:5], s[0:1]
	s_delay_alu instid0(SALU_CYCLE_1)
	s_add_nc_u64 s[0:1], s[0:1], s[2:3]
	global_store_b32 v0, v1, s[0:1] scale_offset
.LBB15_12:
	s_endpgm
	.section	.rodata,"a",@progbits
	.p2align	6, 0x0
	.amdhsa_kernel _ZN9rocsolver6v33100L8set_zeroIfPfEEviiT0_iil13rocblas_fill_
		.amdhsa_group_segment_fixed_size 0
		.amdhsa_private_segment_fixed_size 0
		.amdhsa_kernarg_size 296
		.amdhsa_user_sgpr_count 2
		.amdhsa_user_sgpr_dispatch_ptr 0
		.amdhsa_user_sgpr_queue_ptr 0
		.amdhsa_user_sgpr_kernarg_segment_ptr 1
		.amdhsa_user_sgpr_dispatch_id 0
		.amdhsa_user_sgpr_kernarg_preload_length 0
		.amdhsa_user_sgpr_kernarg_preload_offset 0
		.amdhsa_user_sgpr_private_segment_size 0
		.amdhsa_wavefront_size32 1
		.amdhsa_uses_dynamic_stack 0
		.amdhsa_enable_private_segment 0
		.amdhsa_system_sgpr_workgroup_id_x 1
		.amdhsa_system_sgpr_workgroup_id_y 1
		.amdhsa_system_sgpr_workgroup_id_z 1
		.amdhsa_system_sgpr_workgroup_info 0
		.amdhsa_system_vgpr_workitem_id 1
		.amdhsa_next_free_vgpr 3
		.amdhsa_next_free_sgpr 12
		.amdhsa_named_barrier_count 0
		.amdhsa_reserve_vcc 1
		.amdhsa_float_round_mode_32 0
		.amdhsa_float_round_mode_16_64 0
		.amdhsa_float_denorm_mode_32 3
		.amdhsa_float_denorm_mode_16_64 3
		.amdhsa_fp16_overflow 0
		.amdhsa_memory_ordered 1
		.amdhsa_forward_progress 1
		.amdhsa_inst_pref_size 4
		.amdhsa_round_robin_scheduling 0
		.amdhsa_exception_fp_ieee_invalid_op 0
		.amdhsa_exception_fp_denorm_src 0
		.amdhsa_exception_fp_ieee_div_zero 0
		.amdhsa_exception_fp_ieee_overflow 0
		.amdhsa_exception_fp_ieee_underflow 0
		.amdhsa_exception_fp_ieee_inexact 0
		.amdhsa_exception_int_div_zero 0
	.end_amdhsa_kernel
	.section	.text._ZN9rocsolver6v33100L8set_zeroIfPfEEviiT0_iil13rocblas_fill_,"axG",@progbits,_ZN9rocsolver6v33100L8set_zeroIfPfEEviiT0_iil13rocblas_fill_,comdat
.Lfunc_end15:
	.size	_ZN9rocsolver6v33100L8set_zeroIfPfEEviiT0_iil13rocblas_fill_, .Lfunc_end15-_ZN9rocsolver6v33100L8set_zeroIfPfEEviiT0_iil13rocblas_fill_
                                        ; -- End function
	.set _ZN9rocsolver6v33100L8set_zeroIfPfEEviiT0_iil13rocblas_fill_.num_vgpr, 3
	.set _ZN9rocsolver6v33100L8set_zeroIfPfEEviiT0_iil13rocblas_fill_.num_agpr, 0
	.set _ZN9rocsolver6v33100L8set_zeroIfPfEEviiT0_iil13rocblas_fill_.numbered_sgpr, 12
	.set _ZN9rocsolver6v33100L8set_zeroIfPfEEviiT0_iil13rocblas_fill_.num_named_barrier, 0
	.set _ZN9rocsolver6v33100L8set_zeroIfPfEEviiT0_iil13rocblas_fill_.private_seg_size, 0
	.set _ZN9rocsolver6v33100L8set_zeroIfPfEEviiT0_iil13rocblas_fill_.uses_vcc, 1
	.set _ZN9rocsolver6v33100L8set_zeroIfPfEEviiT0_iil13rocblas_fill_.uses_flat_scratch, 0
	.set _ZN9rocsolver6v33100L8set_zeroIfPfEEviiT0_iil13rocblas_fill_.has_dyn_sized_stack, 0
	.set _ZN9rocsolver6v33100L8set_zeroIfPfEEviiT0_iil13rocblas_fill_.has_recursion, 0
	.set _ZN9rocsolver6v33100L8set_zeroIfPfEEviiT0_iil13rocblas_fill_.has_indirect_call, 0
	.section	.AMDGPU.csdata,"",@progbits
; Kernel info:
; codeLenInByte = 448
; TotalNumSgprs: 14
; NumVgprs: 3
; ScratchSize: 0
; MemoryBound: 0
; FloatMode: 240
; IeeeMode: 1
; LDSByteSize: 0 bytes/workgroup (compile time only)
; SGPRBlocks: 0
; VGPRBlocks: 0
; NumSGPRsForWavesPerEU: 14
; NumVGPRsForWavesPerEU: 3
; NamedBarCnt: 0
; Occupancy: 16
; WaveLimiterHint : 0
; COMPUTE_PGM_RSRC2:SCRATCH_EN: 0
; COMPUTE_PGM_RSRC2:USER_SGPR: 2
; COMPUTE_PGM_RSRC2:TRAP_HANDLER: 0
; COMPUTE_PGM_RSRC2:TGID_X_EN: 1
; COMPUTE_PGM_RSRC2:TGID_Y_EN: 1
; COMPUTE_PGM_RSRC2:TGID_Z_EN: 1
; COMPUTE_PGM_RSRC2:TIDIG_COMP_CNT: 1
	.section	.text._ZN9rocsolver6v33100L16org2r_init_identIfPfEEviiiT0_iil,"axG",@progbits,_ZN9rocsolver6v33100L16org2r_init_identIfPfEEviiiT0_iil,comdat
	.globl	_ZN9rocsolver6v33100L16org2r_init_identIfPfEEviiiT0_iil ; -- Begin function _ZN9rocsolver6v33100L16org2r_init_identIfPfEEviiiT0_iil
	.p2align	8
	.type	_ZN9rocsolver6v33100L16org2r_init_identIfPfEEviiiT0_iil,@function
_ZN9rocsolver6v33100L16org2r_init_identIfPfEEviiiT0_iil: ; @_ZN9rocsolver6v33100L16org2r_init_identIfPfEEviiiT0_iil
; %bb.0:
	s_clause 0x1
	s_load_b32 s2, s[0:1], 0x34
	s_load_b96 s[4:6], s[0:1], 0x0
	s_bfe_u32 s8, ttmp6, 0x4000c
	s_bfe_u32 s10, ttmp6, 0x40010
	s_and_b32 s9, ttmp7, 0xffff
	s_add_co_i32 s8, s8, 1
	s_add_co_i32 s10, s10, 1
	s_and_b32 s3, ttmp6, 15
	s_bfe_u32 s11, ttmp6, 0x40004
	s_mul_i32 s8, ttmp9, s8
	s_mul_i32 s10, s9, s10
	s_getreg_b32 s7, hwreg(HW_REG_IB_STS2, 6, 4)
	v_bfe_u32 v1, v0, 10, 10
	v_and_b32_e32 v0, 0x3ff, v0
	s_add_co_i32 s3, s3, s8
	s_add_co_i32 s11, s11, s10
	s_wait_kmcnt 0x0
	s_lshr_b32 s8, s2, 16
	s_and_b32 s2, s2, 0xffff
	s_cmp_eq_u32 s7, 0
	s_cselect_b32 s3, ttmp9, s3
	s_cselect_b32 s9, s9, s11
	v_mad_u32 v2, s3, s2, v0
	v_mad_u32 v1, s9, s8, v1
	s_delay_alu instid0(VALU_DEP_2) | instskip(NEXT) | instid1(VALU_DEP_2)
	v_cmp_gt_u32_e32 vcc_lo, s4, v2
	v_cmp_gt_u32_e64 s2, s5, v1
	s_mov_b32 s5, 0
	s_and_b32 s2, vcc_lo, s2
	s_delay_alu instid0(SALU_CYCLE_1)
	s_and_saveexec_b32 s3, s2
	s_cbranch_execz .LBB16_5
; %bb.1:
	s_load_b64 s[2:3], s[0:1], 0x18
	s_mov_b32 s4, exec_lo
                                        ; implicit-def: $vgpr0
	v_cmpx_ne_u32_e64 v2, v1
	s_xor_b32 s4, exec_lo, s4
	s_cbranch_execnz .LBB16_6
; %bb.2:
	s_or_saveexec_b32 s4, s4
	v_mov_b32_e32 v2, 0
	s_xor_b32 exec_lo, exec_lo, s4
	s_cbranch_execnz .LBB16_13
.LBB16_3:
	s_or_b32 exec_lo, exec_lo, s4
	s_delay_alu instid0(SALU_CYCLE_1)
	s_and_b32 exec_lo, exec_lo, s5
	s_cbranch_execz .LBB16_5
.LBB16_4:
	s_clause 0x1
	s_load_b64 s[4:5], s[0:1], 0x20
	s_load_b64 s[8:9], s[0:1], 0x10
	s_wait_xcnt 0x0
	s_bfe_u32 s0, ttmp6, 0x40014
	s_lshr_b32 s6, ttmp7, 16
	s_add_co_i32 s0, s0, 1
	s_bfe_u32 s1, ttmp6, 0x40008
	s_mul_i32 s0, s6, s0
	s_wait_kmcnt 0x0
	s_ashr_i32 s3, s2, 31
	s_add_co_i32 s0, s1, s0
	s_cmp_eq_u32 s7, 0
	s_mov_b32 s1, 0
	s_cselect_b32 s0, s6, s0
	s_lshl_b64 s[2:3], s[2:3], 2
	s_mul_u64 s[0:1], s[4:5], s[0:1]
	s_delay_alu instid0(SALU_CYCLE_1) | instskip(NEXT) | instid1(SALU_CYCLE_1)
	s_lshl_b64 s[0:1], s[0:1], 2
	s_add_nc_u64 s[0:1], s[8:9], s[0:1]
	s_delay_alu instid0(SALU_CYCLE_1)
	s_add_nc_u64 s[0:1], s[0:1], s[2:3]
	global_store_b32 v0, v2, s[0:1] scale_offset
.LBB16_5:
	s_endpgm
.LBB16_6:
	s_mov_b32 s8, exec_lo
                                        ; implicit-def: $vgpr0
	v_cmpx_le_u32_e64 v1, v2
	s_xor_b32 s8, exec_lo, s8
	s_cbranch_execz .LBB16_10
; %bb.7:
	v_cmp_le_u32_e32 vcc_lo, s6, v1
                                        ; implicit-def: $vgpr0
	s_and_saveexec_b32 s6, vcc_lo
	s_delay_alu instid0(SALU_CYCLE_1)
	s_xor_b32 s6, exec_lo, s6
	s_cbranch_execz .LBB16_9
; %bb.8:
	s_wait_kmcnt 0x0
	v_mad_u32 v0, v1, s3, v2
	s_mov_b32 s5, exec_lo
.LBB16_9:
	s_or_b32 exec_lo, exec_lo, s6
	s_delay_alu instid0(SALU_CYCLE_1)
	s_and_b32 s5, s5, exec_lo
                                        ; implicit-def: $vgpr1
                                        ; implicit-def: $vgpr2
.LBB16_10:
	s_and_not1_saveexec_b32 s6, s8
	s_cbranch_execz .LBB16_12
; %bb.11:
	s_wait_kmcnt 0x0
	v_mad_u32 v0, v1, s3, v2
	s_or_b32 s5, s5, exec_lo
.LBB16_12:
	s_or_b32 exec_lo, exec_lo, s6
	s_delay_alu instid0(SALU_CYCLE_1)
	s_and_b32 s5, s5, exec_lo
                                        ; implicit-def: $vgpr1
	s_or_saveexec_b32 s4, s4
	v_mov_b32_e32 v2, 0
	s_xor_b32 exec_lo, exec_lo, s4
	s_cbranch_execz .LBB16_3
.LBB16_13:
	s_wait_kmcnt 0x0
	v_mad_u32 v0, v1, s3, v1
	v_mov_b32_e32 v2, 1.0
	s_or_b32 s5, s5, exec_lo
	s_or_b32 exec_lo, exec_lo, s4
	s_delay_alu instid0(SALU_CYCLE_1)
	s_and_b32 exec_lo, exec_lo, s5
	s_cbranch_execnz .LBB16_4
	s_branch .LBB16_5
	.section	.rodata,"a",@progbits
	.p2align	6, 0x0
	.amdhsa_kernel _ZN9rocsolver6v33100L16org2r_init_identIfPfEEviiiT0_iil
		.amdhsa_group_segment_fixed_size 0
		.amdhsa_private_segment_fixed_size 0
		.amdhsa_kernarg_size 296
		.amdhsa_user_sgpr_count 2
		.amdhsa_user_sgpr_dispatch_ptr 0
		.amdhsa_user_sgpr_queue_ptr 0
		.amdhsa_user_sgpr_kernarg_segment_ptr 1
		.amdhsa_user_sgpr_dispatch_id 0
		.amdhsa_user_sgpr_kernarg_preload_length 0
		.amdhsa_user_sgpr_kernarg_preload_offset 0
		.amdhsa_user_sgpr_private_segment_size 0
		.amdhsa_wavefront_size32 1
		.amdhsa_uses_dynamic_stack 0
		.amdhsa_enable_private_segment 0
		.amdhsa_system_sgpr_workgroup_id_x 1
		.amdhsa_system_sgpr_workgroup_id_y 1
		.amdhsa_system_sgpr_workgroup_id_z 1
		.amdhsa_system_sgpr_workgroup_info 0
		.amdhsa_system_vgpr_workitem_id 1
		.amdhsa_next_free_vgpr 3
		.amdhsa_next_free_sgpr 12
		.amdhsa_named_barrier_count 0
		.amdhsa_reserve_vcc 1
		.amdhsa_float_round_mode_32 0
		.amdhsa_float_round_mode_16_64 0
		.amdhsa_float_denorm_mode_32 3
		.amdhsa_float_denorm_mode_16_64 3
		.amdhsa_fp16_overflow 0
		.amdhsa_memory_ordered 1
		.amdhsa_forward_progress 1
		.amdhsa_inst_pref_size 5
		.amdhsa_round_robin_scheduling 0
		.amdhsa_exception_fp_ieee_invalid_op 0
		.amdhsa_exception_fp_denorm_src 0
		.amdhsa_exception_fp_ieee_div_zero 0
		.amdhsa_exception_fp_ieee_overflow 0
		.amdhsa_exception_fp_ieee_underflow 0
		.amdhsa_exception_fp_ieee_inexact 0
		.amdhsa_exception_int_div_zero 0
	.end_amdhsa_kernel
	.section	.text._ZN9rocsolver6v33100L16org2r_init_identIfPfEEviiiT0_iil,"axG",@progbits,_ZN9rocsolver6v33100L16org2r_init_identIfPfEEviiiT0_iil,comdat
.Lfunc_end16:
	.size	_ZN9rocsolver6v33100L16org2r_init_identIfPfEEviiiT0_iil, .Lfunc_end16-_ZN9rocsolver6v33100L16org2r_init_identIfPfEEviiiT0_iil
                                        ; -- End function
	.set _ZN9rocsolver6v33100L16org2r_init_identIfPfEEviiiT0_iil.num_vgpr, 3
	.set _ZN9rocsolver6v33100L16org2r_init_identIfPfEEviiiT0_iil.num_agpr, 0
	.set _ZN9rocsolver6v33100L16org2r_init_identIfPfEEviiiT0_iil.numbered_sgpr, 12
	.set _ZN9rocsolver6v33100L16org2r_init_identIfPfEEviiiT0_iil.num_named_barrier, 0
	.set _ZN9rocsolver6v33100L16org2r_init_identIfPfEEviiiT0_iil.private_seg_size, 0
	.set _ZN9rocsolver6v33100L16org2r_init_identIfPfEEviiiT0_iil.uses_vcc, 1
	.set _ZN9rocsolver6v33100L16org2r_init_identIfPfEEviiiT0_iil.uses_flat_scratch, 0
	.set _ZN9rocsolver6v33100L16org2r_init_identIfPfEEviiiT0_iil.has_dyn_sized_stack, 0
	.set _ZN9rocsolver6v33100L16org2r_init_identIfPfEEviiiT0_iil.has_recursion, 0
	.set _ZN9rocsolver6v33100L16org2r_init_identIfPfEEviiiT0_iil.has_indirect_call, 0
	.section	.AMDGPU.csdata,"",@progbits
; Kernel info:
; codeLenInByte = 520
; TotalNumSgprs: 14
; NumVgprs: 3
; ScratchSize: 0
; MemoryBound: 0
; FloatMode: 240
; IeeeMode: 1
; LDSByteSize: 0 bytes/workgroup (compile time only)
; SGPRBlocks: 0
; VGPRBlocks: 0
; NumSGPRsForWavesPerEU: 14
; NumVGPRsForWavesPerEU: 3
; NamedBarCnt: 0
; Occupancy: 16
; WaveLimiterHint : 0
; COMPUTE_PGM_RSRC2:SCRATCH_EN: 0
; COMPUTE_PGM_RSRC2:USER_SGPR: 2
; COMPUTE_PGM_RSRC2:TRAP_HANDLER: 0
; COMPUTE_PGM_RSRC2:TGID_X_EN: 1
; COMPUTE_PGM_RSRC2:TGID_Y_EN: 1
; COMPUTE_PGM_RSRC2:TGID_Z_EN: 1
; COMPUTE_PGM_RSRC2:TIDIG_COMP_CNT: 1
	.section	.text._ZN9rocsolver6v33100L12subtract_tauIfPfEEviiT0_iilPT_l,"axG",@progbits,_ZN9rocsolver6v33100L12subtract_tauIfPfEEviiT0_iilPT_l,comdat
	.globl	_ZN9rocsolver6v33100L12subtract_tauIfPfEEviiT0_iilPT_l ; -- Begin function _ZN9rocsolver6v33100L12subtract_tauIfPfEEviiT0_iilPT_l
	.p2align	8
	.type	_ZN9rocsolver6v33100L12subtract_tauIfPfEEviiT0_iilPT_l,@function
_ZN9rocsolver6v33100L12subtract_tauIfPfEEviiT0_iilPT_l: ; @_ZN9rocsolver6v33100L12subtract_tauIfPfEEviiT0_iilPT_l
; %bb.0:
	s_clause 0x2
	s_load_b64 s[8:9], s[0:1], 0x10
	s_load_b64 s[2:3], s[0:1], 0x28
	s_load_b128 s[4:7], s[0:1], 0x18
	s_bfe_u32 s10, ttmp6, 0x4000c
	s_and_b32 s11, ttmp6, 15
	s_add_co_i32 s10, s10, 1
	s_getreg_b32 s12, hwreg(HW_REG_IB_STS2, 6, 4)
	s_mul_i32 s10, ttmp9, s10
	s_mov_b32 s13, 0
	s_add_co_i32 s10, s11, s10
	s_wait_kmcnt 0x0
	s_ashr_i32 s11, s8, 31
	s_cmp_eq_u32 s12, 0
	s_cselect_b32 s12, ttmp9, s10
	s_mov_b32 s10, s8
	s_mul_u64 s[2:3], s[2:3], s[12:13]
	s_mul_u64 s[4:5], s[4:5], s[12:13]
	s_lshl_b64 s[14:15], s[2:3], 2
	s_load_b128 s[0:3], s[0:1], 0x0
	s_add_nc_u64 s[6:7], s[6:7], s[14:15]
	s_lshl_b64 s[4:5], s[4:5], 2
	s_load_b32 s14, s[6:7], 0x0
	s_wait_kmcnt 0x0
	s_mul_i32 s1, s9, s1
	s_add_nc_u64 s[2:3], s[2:3], s[4:5]
	s_add_co_i32 s0, s1, s0
	s_sub_f32 s5, 1.0, s14
	s_xor_b32 s4, s14, 0x80000000
	s_delay_alu instid0(SALU_CYCLE_1) | instskip(NEXT) | instid1(SALU_CYCLE_1)
	v_dual_mov_b32 v0, 0 :: v_dual_mov_b32 v1, s4
	v_dual_mov_b32 v2, s0 :: v_dual_mov_b32 v3, s5
	s_lshl_b64 s[0:1], s[10:11], 2
	s_delay_alu instid0(SALU_CYCLE_1)
	s_add_nc_u64 s[0:1], s[2:3], s[0:1]
	global_store_b32 v0, v1, s[6:7]
	global_store_b32 v2, v3, s[0:1] scale_offset
	s_endpgm
	.section	.rodata,"a",@progbits
	.p2align	6, 0x0
	.amdhsa_kernel _ZN9rocsolver6v33100L12subtract_tauIfPfEEviiT0_iilPT_l
		.amdhsa_group_segment_fixed_size 0
		.amdhsa_private_segment_fixed_size 0
		.amdhsa_kernarg_size 48
		.amdhsa_user_sgpr_count 2
		.amdhsa_user_sgpr_dispatch_ptr 0
		.amdhsa_user_sgpr_queue_ptr 0
		.amdhsa_user_sgpr_kernarg_segment_ptr 1
		.amdhsa_user_sgpr_dispatch_id 0
		.amdhsa_user_sgpr_kernarg_preload_length 0
		.amdhsa_user_sgpr_kernarg_preload_offset 0
		.amdhsa_user_sgpr_private_segment_size 0
		.amdhsa_wavefront_size32 1
		.amdhsa_uses_dynamic_stack 0
		.amdhsa_enable_private_segment 0
		.amdhsa_system_sgpr_workgroup_id_x 1
		.amdhsa_system_sgpr_workgroup_id_y 0
		.amdhsa_system_sgpr_workgroup_id_z 0
		.amdhsa_system_sgpr_workgroup_info 0
		.amdhsa_system_vgpr_workitem_id 0
		.amdhsa_next_free_vgpr 4
		.amdhsa_next_free_sgpr 16
		.amdhsa_named_barrier_count 0
		.amdhsa_reserve_vcc 0
		.amdhsa_float_round_mode_32 0
		.amdhsa_float_round_mode_16_64 0
		.amdhsa_float_denorm_mode_32 3
		.amdhsa_float_denorm_mode_16_64 3
		.amdhsa_fp16_overflow 0
		.amdhsa_memory_ordered 1
		.amdhsa_forward_progress 1
		.amdhsa_inst_pref_size 2
		.amdhsa_round_robin_scheduling 0
		.amdhsa_exception_fp_ieee_invalid_op 0
		.amdhsa_exception_fp_denorm_src 0
		.amdhsa_exception_fp_ieee_div_zero 0
		.amdhsa_exception_fp_ieee_overflow 0
		.amdhsa_exception_fp_ieee_underflow 0
		.amdhsa_exception_fp_ieee_inexact 0
		.amdhsa_exception_int_div_zero 0
	.end_amdhsa_kernel
	.section	.text._ZN9rocsolver6v33100L12subtract_tauIfPfEEviiT0_iilPT_l,"axG",@progbits,_ZN9rocsolver6v33100L12subtract_tauIfPfEEviiT0_iilPT_l,comdat
.Lfunc_end17:
	.size	_ZN9rocsolver6v33100L12subtract_tauIfPfEEviiT0_iilPT_l, .Lfunc_end17-_ZN9rocsolver6v33100L12subtract_tauIfPfEEviiT0_iilPT_l
                                        ; -- End function
	.set _ZN9rocsolver6v33100L12subtract_tauIfPfEEviiT0_iilPT_l.num_vgpr, 4
	.set _ZN9rocsolver6v33100L12subtract_tauIfPfEEviiT0_iilPT_l.num_agpr, 0
	.set _ZN9rocsolver6v33100L12subtract_tauIfPfEEviiT0_iilPT_l.numbered_sgpr, 16
	.set _ZN9rocsolver6v33100L12subtract_tauIfPfEEviiT0_iilPT_l.num_named_barrier, 0
	.set _ZN9rocsolver6v33100L12subtract_tauIfPfEEviiT0_iilPT_l.private_seg_size, 0
	.set _ZN9rocsolver6v33100L12subtract_tauIfPfEEviiT0_iilPT_l.uses_vcc, 0
	.set _ZN9rocsolver6v33100L12subtract_tauIfPfEEviiT0_iilPT_l.uses_flat_scratch, 0
	.set _ZN9rocsolver6v33100L12subtract_tauIfPfEEviiT0_iilPT_l.has_dyn_sized_stack, 0
	.set _ZN9rocsolver6v33100L12subtract_tauIfPfEEviiT0_iilPT_l.has_recursion, 0
	.set _ZN9rocsolver6v33100L12subtract_tauIfPfEEviiT0_iilPT_l.has_indirect_call, 0
	.section	.AMDGPU.csdata,"",@progbits
; Kernel info:
; codeLenInByte = 204
; TotalNumSgprs: 16
; NumVgprs: 4
; ScratchSize: 0
; MemoryBound: 0
; FloatMode: 240
; IeeeMode: 1
; LDSByteSize: 0 bytes/workgroup (compile time only)
; SGPRBlocks: 0
; VGPRBlocks: 0
; NumSGPRsForWavesPerEU: 16
; NumVGPRsForWavesPerEU: 4
; NamedBarCnt: 0
; Occupancy: 16
; WaveLimiterHint : 0
; COMPUTE_PGM_RSRC2:SCRATCH_EN: 0
; COMPUTE_PGM_RSRC2:USER_SGPR: 2
; COMPUTE_PGM_RSRC2:TRAP_HANDLER: 0
; COMPUTE_PGM_RSRC2:TGID_X_EN: 1
; COMPUTE_PGM_RSRC2:TGID_Y_EN: 0
; COMPUTE_PGM_RSRC2:TGID_Z_EN: 0
; COMPUTE_PGM_RSRC2:TIDIG_COMP_CNT: 0
	.section	.text._ZN9rocsolver6v33100L6restauIfEEviPT_l,"axG",@progbits,_ZN9rocsolver6v33100L6restauIfEEviPT_l,comdat
	.globl	_ZN9rocsolver6v33100L6restauIfEEviPT_l ; -- Begin function _ZN9rocsolver6v33100L6restauIfEEviPT_l
	.p2align	8
	.type	_ZN9rocsolver6v33100L6restauIfEEviPT_l,@function
_ZN9rocsolver6v33100L6restauIfEEviPT_l: ; @_ZN9rocsolver6v33100L6restauIfEEviPT_l
; %bb.0:
	s_clause 0x1
	s_load_b32 s3, s[0:1], 0x24
	s_load_b32 s4, s[0:1], 0x0
	s_bfe_u32 s2, ttmp6, 0x4000c
	s_and_b32 s5, ttmp6, 15
	s_add_co_i32 s6, s2, 1
	s_getreg_b32 s2, hwreg(HW_REG_IB_STS2, 6, 4)
	s_mul_i32 s6, ttmp9, s6
	s_delay_alu instid0(SALU_CYCLE_1) | instskip(SKIP_4) | instid1(SALU_CYCLE_1)
	s_add_co_i32 s5, s5, s6
	s_wait_kmcnt 0x0
	s_and_b32 s3, s3, 0xffff
	s_cmp_eq_u32 s2, 0
	s_cselect_b32 s5, ttmp9, s5
	v_mad_u32 v0, s5, s3, v0
	s_mov_b32 s3, 0
	s_delay_alu instid0(VALU_DEP_1)
	v_cmp_gt_u32_e32 vcc_lo, s4, v0
	s_and_saveexec_b32 s4, vcc_lo
	s_cbranch_execz .LBB18_2
; %bb.1:
	s_load_b128 s[4:7], s[0:1], 0x8
	s_wait_xcnt 0x0
	s_bfe_u32 s0, ttmp6, 0x40010
	s_bfe_u32 s1, ttmp6, 0x40004
	s_add_co_i32 s0, s0, 1
	s_delay_alu instid0(SALU_CYCLE_1) | instskip(NEXT) | instid1(SALU_CYCLE_1)
	s_mul_i32 s0, ttmp7, s0
	s_add_co_i32 s1, s1, s0
	s_cmp_eq_u32 s2, 0
	s_cselect_b32 s2, ttmp7, s1
	s_wait_kmcnt 0x0
	s_mul_u64 s[0:1], s[6:7], s[2:3]
	s_delay_alu instid0(SALU_CYCLE_1) | instskip(NEXT) | instid1(SALU_CYCLE_1)
	s_lshl_b64 s[0:1], s[0:1], 2
	s_add_nc_u64 s[0:1], s[4:5], s[0:1]
	global_load_b32 v1, v0, s[0:1] scale_offset
	s_wait_loadcnt 0x0
	v_xor_b32_e32 v1, 0x80000000, v1
	global_store_b32 v0, v1, s[0:1] scale_offset
.LBB18_2:
	s_endpgm
	.section	.rodata,"a",@progbits
	.p2align	6, 0x0
	.amdhsa_kernel _ZN9rocsolver6v33100L6restauIfEEviPT_l
		.amdhsa_group_segment_fixed_size 0
		.amdhsa_private_segment_fixed_size 0
		.amdhsa_kernarg_size 280
		.amdhsa_user_sgpr_count 2
		.amdhsa_user_sgpr_dispatch_ptr 0
		.amdhsa_user_sgpr_queue_ptr 0
		.amdhsa_user_sgpr_kernarg_segment_ptr 1
		.amdhsa_user_sgpr_dispatch_id 0
		.amdhsa_user_sgpr_kernarg_preload_length 0
		.amdhsa_user_sgpr_kernarg_preload_offset 0
		.amdhsa_user_sgpr_private_segment_size 0
		.amdhsa_wavefront_size32 1
		.amdhsa_uses_dynamic_stack 0
		.amdhsa_enable_private_segment 0
		.amdhsa_system_sgpr_workgroup_id_x 1
		.amdhsa_system_sgpr_workgroup_id_y 1
		.amdhsa_system_sgpr_workgroup_id_z 0
		.amdhsa_system_sgpr_workgroup_info 0
		.amdhsa_system_vgpr_workitem_id 0
		.amdhsa_next_free_vgpr 2
		.amdhsa_next_free_sgpr 8
		.amdhsa_named_barrier_count 0
		.amdhsa_reserve_vcc 1
		.amdhsa_float_round_mode_32 0
		.amdhsa_float_round_mode_16_64 0
		.amdhsa_float_denorm_mode_32 3
		.amdhsa_float_denorm_mode_16_64 3
		.amdhsa_fp16_overflow 0
		.amdhsa_memory_ordered 1
		.amdhsa_forward_progress 1
		.amdhsa_inst_pref_size 2
		.amdhsa_round_robin_scheduling 0
		.amdhsa_exception_fp_ieee_invalid_op 0
		.amdhsa_exception_fp_denorm_src 0
		.amdhsa_exception_fp_ieee_div_zero 0
		.amdhsa_exception_fp_ieee_overflow 0
		.amdhsa_exception_fp_ieee_underflow 0
		.amdhsa_exception_fp_ieee_inexact 0
		.amdhsa_exception_int_div_zero 0
	.end_amdhsa_kernel
	.section	.text._ZN9rocsolver6v33100L6restauIfEEviPT_l,"axG",@progbits,_ZN9rocsolver6v33100L6restauIfEEviPT_l,comdat
.Lfunc_end18:
	.size	_ZN9rocsolver6v33100L6restauIfEEviPT_l, .Lfunc_end18-_ZN9rocsolver6v33100L6restauIfEEviPT_l
                                        ; -- End function
	.set _ZN9rocsolver6v33100L6restauIfEEviPT_l.num_vgpr, 2
	.set _ZN9rocsolver6v33100L6restauIfEEviPT_l.num_agpr, 0
	.set _ZN9rocsolver6v33100L6restauIfEEviPT_l.numbered_sgpr, 8
	.set _ZN9rocsolver6v33100L6restauIfEEviPT_l.num_named_barrier, 0
	.set _ZN9rocsolver6v33100L6restauIfEEviPT_l.private_seg_size, 0
	.set _ZN9rocsolver6v33100L6restauIfEEviPT_l.uses_vcc, 1
	.set _ZN9rocsolver6v33100L6restauIfEEviPT_l.uses_flat_scratch, 0
	.set _ZN9rocsolver6v33100L6restauIfEEviPT_l.has_dyn_sized_stack, 0
	.set _ZN9rocsolver6v33100L6restauIfEEviPT_l.has_recursion, 0
	.set _ZN9rocsolver6v33100L6restauIfEEviPT_l.has_indirect_call, 0
	.section	.AMDGPU.csdata,"",@progbits
; Kernel info:
; codeLenInByte = 212
; TotalNumSgprs: 10
; NumVgprs: 2
; ScratchSize: 0
; MemoryBound: 0
; FloatMode: 240
; IeeeMode: 1
; LDSByteSize: 0 bytes/workgroup (compile time only)
; SGPRBlocks: 0
; VGPRBlocks: 0
; NumSGPRsForWavesPerEU: 10
; NumVGPRsForWavesPerEU: 2
; NamedBarCnt: 0
; Occupancy: 16
; WaveLimiterHint : 0
; COMPUTE_PGM_RSRC2:SCRATCH_EN: 0
; COMPUTE_PGM_RSRC2:USER_SGPR: 2
; COMPUTE_PGM_RSRC2:TRAP_HANDLER: 0
; COMPUTE_PGM_RSRC2:TGID_X_EN: 1
; COMPUTE_PGM_RSRC2:TGID_Y_EN: 1
; COMPUTE_PGM_RSRC2:TGID_Z_EN: 0
; COMPUTE_PGM_RSRC2:TIDIG_COMP_CNT: 0
	.section	.text._ZN9rocsolver6v33100L15copyshift_rightIfPfEEvbiT0_iilPT_iil,"axG",@progbits,_ZN9rocsolver6v33100L15copyshift_rightIfPfEEvbiT0_iilPT_iil,comdat
	.globl	_ZN9rocsolver6v33100L15copyshift_rightIfPfEEvbiT0_iilPT_iil ; -- Begin function _ZN9rocsolver6v33100L15copyshift_rightIfPfEEvbiT0_iilPT_iil
	.p2align	8
	.type	_ZN9rocsolver6v33100L15copyshift_rightIfPfEEvbiT0_iilPT_iil,@function
_ZN9rocsolver6v33100L15copyshift_rightIfPfEEvbiT0_iilPT_iil: ; @_ZN9rocsolver6v33100L15copyshift_rightIfPfEEvbiT0_iilPT_iil
; %bb.0:
	s_clause 0x3
	s_load_b128 s[8:11], s[0:1], 0x0
	s_load_b32 s12, s[0:1], 0x44
	s_load_b64 s[2:3], s[0:1], 0x10
	s_load_b128 s[4:7], s[0:1], 0x18
	s_getreg_b32 s13, hwreg(HW_REG_IB_STS2, 6, 4)
	v_bfe_u32 v1, v0, 10, 10
	v_and_b32_e32 v0, 0x3ff, v0
	s_wait_kmcnt 0x0
	s_bitcmp1_b32 s8, 0
	s_cselect_b32 s8, -1, 0
	s_bfe_u32 s17, ttmp6, 0x40014
	s_bfe_u32 s20, ttmp6, 0x4000c
	;; [unrolled: 1-line block ×3, first 2 shown]
	s_lshr_b32 s16, ttmp7, 16
	s_and_b32 s21, ttmp7, 0xffff
	s_add_co_i32 s17, s17, 1
	s_add_co_i32 s20, s20, 1
	;; [unrolled: 1-line block ×3, first 2 shown]
	s_bfe_u32 s18, ttmp6, 0x40008
	s_and_b32 s19, ttmp6, 15
	s_bfe_u32 s23, ttmp6, 0x40004
	s_mul_i32 s17, s16, s17
	s_mul_i32 s20, ttmp9, s20
	s_mul_i32 s22, s21, s22
	s_and_b32 s14, s12, 0xffff
	s_lshr_b32 s12, s12, 16
	s_ashr_i32 s15, s2, 31
	s_xor_b32 s8, s8, -1
	s_add_co_i32 s18, s18, s17
	s_add_co_i32 s19, s19, s20
	;; [unrolled: 1-line block ×3, first 2 shown]
	s_cmp_eq_u32 s13, 0
	s_cselect_b32 s13, s21, s23
	s_cselect_b32 s17, ttmp9, s19
	v_mad_u32 v1, s13, s12, v1
	v_mad_u32 v0, s17, s14, v0
	s_mov_b32 s13, 0
	s_cselect_b32 s12, s16, s18
	s_mov_b32 s14, s2
	s_mul_u64 s[4:5], s[4:5], s[12:13]
	s_delay_alu instid0(SALU_CYCLE_1) | instskip(NEXT) | instid1(SALU_CYCLE_1)
	s_lshl_b64 s[4:5], s[4:5], 2
	s_add_nc_u64 s[4:5], s[10:11], s[4:5]
	s_lshl_b64 s[10:11], s[14:15], 2
	s_delay_alu instid0(VALU_DEP_1) | instskip(SKIP_1) | instid1(VALU_DEP_1)
	v_or_b32_e32 v2, v0, v1
	s_add_nc_u64 s[4:5], s[4:5], s[10:11]
	v_cmp_eq_u32_e32 vcc_lo, 0, v2
	s_and_b32 s10, s8, vcc_lo
	s_delay_alu instid0(SALU_CYCLE_1)
	s_and_saveexec_b32 s2, s10
	s_cbranch_execz .LBB19_2
; %bb.1:
	v_dual_mov_b32 v2, 0 :: v_dual_mov_b32 v3, 1.0
	global_store_b32 v2, v3, s[4:5]
.LBB19_2:
	s_wait_xcnt 0x0
	s_or_b32 exec_lo, exec_lo, s2
	v_max_u32_e32 v2, v1, v0
	v_cmp_le_u32_e64 s2, v1, v0
	s_delay_alu instid0(VALU_DEP_2) | instskip(SKIP_1) | instid1(SALU_CYCLE_1)
	v_cmp_gt_u32_e32 vcc_lo, s9, v2
	s_and_b32 s2, s2, vcc_lo
	s_and_saveexec_b32 s9, s2
	s_cbranch_execz .LBB19_13
; %bb.3:
	s_load_b128 s[16:19], s[0:1], 0x28
	v_mad_u32 v2, v1, v1, v1
	s_and_b32 vcc_lo, exec_lo, s8
	s_delay_alu instid0(VALU_DEP_1)
	v_lshrrev_b32_e32 v4, 1, v2
	s_wait_kmcnt 0x0
	v_mad_u32 v3, v1, s17, v0
	s_mul_u64 s[0:1], s[18:19], s[12:13]
	s_ashr_i32 s11, s16, 31
	s_lshl_b64 s[0:1], s[0:1], 2
	s_mov_b32 s10, s16
	s_add_nc_u64 s[0:1], s[6:7], s[0:1]
	s_lshl_b64 s[6:7], s[10:11], 2
	s_delay_alu instid0(SALU_CYCLE_1) | instskip(NEXT) | instid1(VALU_DEP_1)
	s_add_nc_u64 s[0:1], s[0:1], s[6:7]
	v_sub_nc_u32_e32 v2, v3, v4
	s_cbranch_vccz .LBB19_8
; %bb.4:
	v_sub_nc_u32_e32 v3, v3, v4
	s_mov_b32 s6, 0
	s_mov_b32 s2, 0
	s_mov_b32 s7, exec_lo
	global_load_b32 v4, v3, s[0:1] scale_offset
	s_wait_xcnt 0x0
	v_mul_lo_u32 v3, v1, s3
	s_delay_alu instid0(VALU_DEP_1)
	v_add3_u32 v5, v0, v3, 1
	s_wait_loadcnt 0x0
	global_store_b32 v5, v4, s[4:5] scale_offset
                                        ; implicit-def: $vgpr4
	s_wait_xcnt 0x0
	v_cmpx_eq_u32_e64 v0, v1
	s_xor_b32 s7, exec_lo, s7
; %bb.5:
	s_mov_b32 s2, exec_lo
	v_add_nc_u32_e32 v4, s3, v3
; %bb.6:
	s_or_b32 exec_lo, exec_lo, s7
	v_mov_b32_e32 v3, 0
	s_and_b32 vcc_lo, exec_lo, s6
	s_cbranch_vccnz .LBB19_9
.LBB19_7:
	v_mov_b32_e32 v2, v4
	s_mov_b64 s[0:1], s[4:5]
	s_and_b32 exec_lo, exec_lo, s2
	s_cbranch_execnz .LBB19_12
	s_branch .LBB19_13
.LBB19_8:
	s_mov_b32 s2, 0
                                        ; implicit-def: $vgpr4
	v_mov_b32_e32 v3, 0
	s_cbranch_execz .LBB19_7
.LBB19_9:
	v_mov_b32_e32 v3, 0
	s_mov_b32 s2, exec_lo
	v_cmpx_ne_u32_e32 0, v1
	s_cbranch_execz .LBB19_11
; %bb.10:
	v_add_nc_u32_e32 v1, -1, v1
	s_delay_alu instid0(VALU_DEP_1) | instskip(NEXT) | instid1(VALU_DEP_1)
	v_mul_lo_u32 v1, v1, s3
	v_add3_u32 v0, v0, v1, 1
	global_load_b32 v3, v0, s[4:5] scale_offset
.LBB19_11:
	s_wait_xcnt 0x0
	s_or_b32 exec_lo, exec_lo, s2
	s_mov_b32 s2, -1
	s_delay_alu instid0(SALU_CYCLE_1)
	s_and_b32 exec_lo, exec_lo, s2
	s_cbranch_execz .LBB19_13
.LBB19_12:
	s_wait_loadcnt 0x0
	global_store_b32 v2, v3, s[0:1] scale_offset
.LBB19_13:
	s_endpgm
	.section	.rodata,"a",@progbits
	.p2align	6, 0x0
	.amdhsa_kernel _ZN9rocsolver6v33100L15copyshift_rightIfPfEEvbiT0_iilPT_iil
		.amdhsa_group_segment_fixed_size 0
		.amdhsa_private_segment_fixed_size 0
		.amdhsa_kernarg_size 312
		.amdhsa_user_sgpr_count 2
		.amdhsa_user_sgpr_dispatch_ptr 0
		.amdhsa_user_sgpr_queue_ptr 0
		.amdhsa_user_sgpr_kernarg_segment_ptr 1
		.amdhsa_user_sgpr_dispatch_id 0
		.amdhsa_user_sgpr_kernarg_preload_length 0
		.amdhsa_user_sgpr_kernarg_preload_offset 0
		.amdhsa_user_sgpr_private_segment_size 0
		.amdhsa_wavefront_size32 1
		.amdhsa_uses_dynamic_stack 0
		.amdhsa_enable_private_segment 0
		.amdhsa_system_sgpr_workgroup_id_x 1
		.amdhsa_system_sgpr_workgroup_id_y 1
		.amdhsa_system_sgpr_workgroup_id_z 1
		.amdhsa_system_sgpr_workgroup_info 0
		.amdhsa_system_vgpr_workitem_id 1
		.amdhsa_next_free_vgpr 6
		.amdhsa_next_free_sgpr 24
		.amdhsa_named_barrier_count 0
		.amdhsa_reserve_vcc 1
		.amdhsa_float_round_mode_32 0
		.amdhsa_float_round_mode_16_64 0
		.amdhsa_float_denorm_mode_32 3
		.amdhsa_float_denorm_mode_16_64 3
		.amdhsa_fp16_overflow 0
		.amdhsa_memory_ordered 1
		.amdhsa_forward_progress 1
		.amdhsa_inst_pref_size 6
		.amdhsa_round_robin_scheduling 0
		.amdhsa_exception_fp_ieee_invalid_op 0
		.amdhsa_exception_fp_denorm_src 0
		.amdhsa_exception_fp_ieee_div_zero 0
		.amdhsa_exception_fp_ieee_overflow 0
		.amdhsa_exception_fp_ieee_underflow 0
		.amdhsa_exception_fp_ieee_inexact 0
		.amdhsa_exception_int_div_zero 0
	.end_amdhsa_kernel
	.section	.text._ZN9rocsolver6v33100L15copyshift_rightIfPfEEvbiT0_iilPT_iil,"axG",@progbits,_ZN9rocsolver6v33100L15copyshift_rightIfPfEEvbiT0_iilPT_iil,comdat
.Lfunc_end19:
	.size	_ZN9rocsolver6v33100L15copyshift_rightIfPfEEvbiT0_iilPT_iil, .Lfunc_end19-_ZN9rocsolver6v33100L15copyshift_rightIfPfEEvbiT0_iilPT_iil
                                        ; -- End function
	.set _ZN9rocsolver6v33100L15copyshift_rightIfPfEEvbiT0_iilPT_iil.num_vgpr, 6
	.set _ZN9rocsolver6v33100L15copyshift_rightIfPfEEvbiT0_iilPT_iil.num_agpr, 0
	.set _ZN9rocsolver6v33100L15copyshift_rightIfPfEEvbiT0_iilPT_iil.numbered_sgpr, 24
	.set _ZN9rocsolver6v33100L15copyshift_rightIfPfEEvbiT0_iilPT_iil.num_named_barrier, 0
	.set _ZN9rocsolver6v33100L15copyshift_rightIfPfEEvbiT0_iilPT_iil.private_seg_size, 0
	.set _ZN9rocsolver6v33100L15copyshift_rightIfPfEEvbiT0_iilPT_iil.uses_vcc, 1
	.set _ZN9rocsolver6v33100L15copyshift_rightIfPfEEvbiT0_iilPT_iil.uses_flat_scratch, 0
	.set _ZN9rocsolver6v33100L15copyshift_rightIfPfEEvbiT0_iilPT_iil.has_dyn_sized_stack, 0
	.set _ZN9rocsolver6v33100L15copyshift_rightIfPfEEvbiT0_iilPT_iil.has_recursion, 0
	.set _ZN9rocsolver6v33100L15copyshift_rightIfPfEEvbiT0_iilPT_iil.has_indirect_call, 0
	.section	.AMDGPU.csdata,"",@progbits
; Kernel info:
; codeLenInByte = 648
; TotalNumSgprs: 26
; NumVgprs: 6
; ScratchSize: 0
; MemoryBound: 0
; FloatMode: 240
; IeeeMode: 1
; LDSByteSize: 0 bytes/workgroup (compile time only)
; SGPRBlocks: 0
; VGPRBlocks: 0
; NumSGPRsForWavesPerEU: 26
; NumVGPRsForWavesPerEU: 6
; NamedBarCnt: 0
; Occupancy: 16
; WaveLimiterHint : 0
; COMPUTE_PGM_RSRC2:SCRATCH_EN: 0
; COMPUTE_PGM_RSRC2:USER_SGPR: 2
; COMPUTE_PGM_RSRC2:TRAP_HANDLER: 0
; COMPUTE_PGM_RSRC2:TGID_X_EN: 1
; COMPUTE_PGM_RSRC2:TGID_Y_EN: 1
; COMPUTE_PGM_RSRC2:TGID_Z_EN: 1
; COMPUTE_PGM_RSRC2:TIDIG_COMP_CNT: 1
	.section	.text._ZN9rocsolver6v33100L16orgl2_init_identIfPfEEviiiT0_iil,"axG",@progbits,_ZN9rocsolver6v33100L16orgl2_init_identIfPfEEviiiT0_iil,comdat
	.globl	_ZN9rocsolver6v33100L16orgl2_init_identIfPfEEviiiT0_iil ; -- Begin function _ZN9rocsolver6v33100L16orgl2_init_identIfPfEEviiiT0_iil
	.p2align	8
	.type	_ZN9rocsolver6v33100L16orgl2_init_identIfPfEEviiiT0_iil,@function
_ZN9rocsolver6v33100L16orgl2_init_identIfPfEEviiiT0_iil: ; @_ZN9rocsolver6v33100L16orgl2_init_identIfPfEEviiiT0_iil
; %bb.0:
	s_clause 0x1
	s_load_b32 s2, s[0:1], 0x34
	s_load_b96 s[4:6], s[0:1], 0x0
	s_bfe_u32 s8, ttmp6, 0x4000c
	s_bfe_u32 s10, ttmp6, 0x40010
	s_and_b32 s9, ttmp7, 0xffff
	s_add_co_i32 s8, s8, 1
	s_add_co_i32 s10, s10, 1
	s_and_b32 s3, ttmp6, 15
	s_bfe_u32 s11, ttmp6, 0x40004
	s_mul_i32 s8, ttmp9, s8
	s_mul_i32 s10, s9, s10
	s_getreg_b32 s7, hwreg(HW_REG_IB_STS2, 6, 4)
	v_bfe_u32 v1, v0, 10, 10
	v_and_b32_e32 v0, 0x3ff, v0
	s_add_co_i32 s3, s3, s8
	s_add_co_i32 s11, s11, s10
	s_wait_kmcnt 0x0
	s_lshr_b32 s8, s2, 16
	s_and_b32 s2, s2, 0xffff
	s_cmp_eq_u32 s7, 0
	s_cselect_b32 s3, ttmp9, s3
	s_cselect_b32 s9, s9, s11
	v_mad_u32 v2, s3, s2, v0
	v_mad_u32 v1, s9, s8, v1
	s_delay_alu instid0(VALU_DEP_2) | instskip(NEXT) | instid1(VALU_DEP_2)
	v_cmp_gt_u32_e32 vcc_lo, s4, v2
	v_cmp_gt_u32_e64 s2, s5, v1
	s_mov_b32 s5, 0
	s_and_b32 s2, vcc_lo, s2
	s_delay_alu instid0(SALU_CYCLE_1)
	s_and_saveexec_b32 s3, s2
	s_cbranch_execz .LBB20_5
; %bb.1:
	s_load_b64 s[2:3], s[0:1], 0x18
	s_mov_b32 s4, exec_lo
                                        ; implicit-def: $vgpr0
	v_cmpx_ne_u32_e64 v2, v1
	s_xor_b32 s4, exec_lo, s4
	s_cbranch_execnz .LBB20_6
; %bb.2:
	s_or_saveexec_b32 s4, s4
	v_mov_b32_e32 v2, 0
	s_xor_b32 exec_lo, exec_lo, s4
	s_cbranch_execnz .LBB20_13
.LBB20_3:
	s_or_b32 exec_lo, exec_lo, s4
	s_delay_alu instid0(SALU_CYCLE_1)
	s_and_b32 exec_lo, exec_lo, s5
	s_cbranch_execz .LBB20_5
.LBB20_4:
	s_clause 0x1
	s_load_b64 s[4:5], s[0:1], 0x20
	s_load_b64 s[8:9], s[0:1], 0x10
	s_wait_xcnt 0x0
	s_bfe_u32 s0, ttmp6, 0x40014
	s_lshr_b32 s6, ttmp7, 16
	s_add_co_i32 s0, s0, 1
	s_bfe_u32 s1, ttmp6, 0x40008
	s_mul_i32 s0, s6, s0
	s_wait_kmcnt 0x0
	s_ashr_i32 s3, s2, 31
	s_add_co_i32 s0, s1, s0
	s_cmp_eq_u32 s7, 0
	s_mov_b32 s1, 0
	s_cselect_b32 s0, s6, s0
	s_lshl_b64 s[2:3], s[2:3], 2
	s_mul_u64 s[0:1], s[4:5], s[0:1]
	s_delay_alu instid0(SALU_CYCLE_1) | instskip(NEXT) | instid1(SALU_CYCLE_1)
	s_lshl_b64 s[0:1], s[0:1], 2
	s_add_nc_u64 s[0:1], s[8:9], s[0:1]
	s_delay_alu instid0(SALU_CYCLE_1)
	s_add_nc_u64 s[0:1], s[0:1], s[2:3]
	global_store_b32 v0, v2, s[0:1] scale_offset
.LBB20_5:
	s_endpgm
.LBB20_6:
	s_mov_b32 s8, exec_lo
                                        ; implicit-def: $vgpr0
	v_cmpx_ge_u32_e64 v1, v2
	s_xor_b32 s8, exec_lo, s8
	s_cbranch_execz .LBB20_10
; %bb.7:
	v_cmp_le_u32_e32 vcc_lo, s6, v2
                                        ; implicit-def: $vgpr0
	s_and_saveexec_b32 s6, vcc_lo
	s_delay_alu instid0(SALU_CYCLE_1)
	s_xor_b32 s6, exec_lo, s6
	s_cbranch_execz .LBB20_9
; %bb.8:
	s_wait_kmcnt 0x0
	v_mad_u32 v0, v1, s3, v2
	s_mov_b32 s5, exec_lo
.LBB20_9:
	s_or_b32 exec_lo, exec_lo, s6
	s_delay_alu instid0(SALU_CYCLE_1)
	s_and_b32 s5, s5, exec_lo
                                        ; implicit-def: $vgpr1
                                        ; implicit-def: $vgpr2
.LBB20_10:
	s_and_not1_saveexec_b32 s6, s8
	s_cbranch_execz .LBB20_12
; %bb.11:
	s_wait_kmcnt 0x0
	v_mad_u32 v0, v1, s3, v2
	s_or_b32 s5, s5, exec_lo
.LBB20_12:
	s_or_b32 exec_lo, exec_lo, s6
	s_delay_alu instid0(SALU_CYCLE_1)
	s_and_b32 s5, s5, exec_lo
                                        ; implicit-def: $vgpr1
	s_or_saveexec_b32 s4, s4
	v_mov_b32_e32 v2, 0
	s_xor_b32 exec_lo, exec_lo, s4
	s_cbranch_execz .LBB20_3
.LBB20_13:
	s_wait_kmcnt 0x0
	v_mad_u32 v0, v1, s3, v1
	v_mov_b32_e32 v2, 1.0
	s_or_b32 s5, s5, exec_lo
	s_or_b32 exec_lo, exec_lo, s4
	s_delay_alu instid0(SALU_CYCLE_1)
	s_and_b32 exec_lo, exec_lo, s5
	s_cbranch_execnz .LBB20_4
	s_branch .LBB20_5
	.section	.rodata,"a",@progbits
	.p2align	6, 0x0
	.amdhsa_kernel _ZN9rocsolver6v33100L16orgl2_init_identIfPfEEviiiT0_iil
		.amdhsa_group_segment_fixed_size 0
		.amdhsa_private_segment_fixed_size 0
		.amdhsa_kernarg_size 296
		.amdhsa_user_sgpr_count 2
		.amdhsa_user_sgpr_dispatch_ptr 0
		.amdhsa_user_sgpr_queue_ptr 0
		.amdhsa_user_sgpr_kernarg_segment_ptr 1
		.amdhsa_user_sgpr_dispatch_id 0
		.amdhsa_user_sgpr_kernarg_preload_length 0
		.amdhsa_user_sgpr_kernarg_preload_offset 0
		.amdhsa_user_sgpr_private_segment_size 0
		.amdhsa_wavefront_size32 1
		.amdhsa_uses_dynamic_stack 0
		.amdhsa_enable_private_segment 0
		.amdhsa_system_sgpr_workgroup_id_x 1
		.amdhsa_system_sgpr_workgroup_id_y 1
		.amdhsa_system_sgpr_workgroup_id_z 1
		.amdhsa_system_sgpr_workgroup_info 0
		.amdhsa_system_vgpr_workitem_id 1
		.amdhsa_next_free_vgpr 3
		.amdhsa_next_free_sgpr 12
		.amdhsa_named_barrier_count 0
		.amdhsa_reserve_vcc 1
		.amdhsa_float_round_mode_32 0
		.amdhsa_float_round_mode_16_64 0
		.amdhsa_float_denorm_mode_32 3
		.amdhsa_float_denorm_mode_16_64 3
		.amdhsa_fp16_overflow 0
		.amdhsa_memory_ordered 1
		.amdhsa_forward_progress 1
		.amdhsa_inst_pref_size 5
		.amdhsa_round_robin_scheduling 0
		.amdhsa_exception_fp_ieee_invalid_op 0
		.amdhsa_exception_fp_denorm_src 0
		.amdhsa_exception_fp_ieee_div_zero 0
		.amdhsa_exception_fp_ieee_overflow 0
		.amdhsa_exception_fp_ieee_underflow 0
		.amdhsa_exception_fp_ieee_inexact 0
		.amdhsa_exception_int_div_zero 0
	.end_amdhsa_kernel
	.section	.text._ZN9rocsolver6v33100L16orgl2_init_identIfPfEEviiiT0_iil,"axG",@progbits,_ZN9rocsolver6v33100L16orgl2_init_identIfPfEEviiiT0_iil,comdat
.Lfunc_end20:
	.size	_ZN9rocsolver6v33100L16orgl2_init_identIfPfEEviiiT0_iil, .Lfunc_end20-_ZN9rocsolver6v33100L16orgl2_init_identIfPfEEviiiT0_iil
                                        ; -- End function
	.set _ZN9rocsolver6v33100L16orgl2_init_identIfPfEEviiiT0_iil.num_vgpr, 3
	.set _ZN9rocsolver6v33100L16orgl2_init_identIfPfEEviiiT0_iil.num_agpr, 0
	.set _ZN9rocsolver6v33100L16orgl2_init_identIfPfEEviiiT0_iil.numbered_sgpr, 12
	.set _ZN9rocsolver6v33100L16orgl2_init_identIfPfEEviiiT0_iil.num_named_barrier, 0
	.set _ZN9rocsolver6v33100L16orgl2_init_identIfPfEEviiiT0_iil.private_seg_size, 0
	.set _ZN9rocsolver6v33100L16orgl2_init_identIfPfEEviiiT0_iil.uses_vcc, 1
	.set _ZN9rocsolver6v33100L16orgl2_init_identIfPfEEviiiT0_iil.uses_flat_scratch, 0
	.set _ZN9rocsolver6v33100L16orgl2_init_identIfPfEEviiiT0_iil.has_dyn_sized_stack, 0
	.set _ZN9rocsolver6v33100L16orgl2_init_identIfPfEEviiiT0_iil.has_recursion, 0
	.set _ZN9rocsolver6v33100L16orgl2_init_identIfPfEEviiiT0_iil.has_indirect_call, 0
	.section	.AMDGPU.csdata,"",@progbits
; Kernel info:
; codeLenInByte = 520
; TotalNumSgprs: 14
; NumVgprs: 3
; ScratchSize: 0
; MemoryBound: 0
; FloatMode: 240
; IeeeMode: 1
; LDSByteSize: 0 bytes/workgroup (compile time only)
; SGPRBlocks: 0
; VGPRBlocks: 0
; NumSGPRsForWavesPerEU: 14
; NumVGPRsForWavesPerEU: 3
; NamedBarCnt: 0
; Occupancy: 16
; WaveLimiterHint : 0
; COMPUTE_PGM_RSRC2:SCRATCH_EN: 0
; COMPUTE_PGM_RSRC2:USER_SGPR: 2
; COMPUTE_PGM_RSRC2:TRAP_HANDLER: 0
; COMPUTE_PGM_RSRC2:TGID_X_EN: 1
; COMPUTE_PGM_RSRC2:TGID_Y_EN: 1
; COMPUTE_PGM_RSRC2:TGID_Z_EN: 1
; COMPUTE_PGM_RSRC2:TIDIG_COMP_CNT: 1
	.section	.text._ZN9rocsolver6v33100L14copyshift_downIfPfEEvbiT0_iilPT_iil,"axG",@progbits,_ZN9rocsolver6v33100L14copyshift_downIfPfEEvbiT0_iilPT_iil,comdat
	.globl	_ZN9rocsolver6v33100L14copyshift_downIfPfEEvbiT0_iilPT_iil ; -- Begin function _ZN9rocsolver6v33100L14copyshift_downIfPfEEvbiT0_iilPT_iil
	.p2align	8
	.type	_ZN9rocsolver6v33100L14copyshift_downIfPfEEvbiT0_iilPT_iil,@function
_ZN9rocsolver6v33100L14copyshift_downIfPfEEvbiT0_iilPT_iil: ; @_ZN9rocsolver6v33100L14copyshift_downIfPfEEvbiT0_iilPT_iil
; %bb.0:
	s_clause 0x3
	s_load_b128 s[8:11], s[0:1], 0x0
	s_load_b32 s12, s[0:1], 0x44
	s_load_b64 s[2:3], s[0:1], 0x10
	s_load_b128 s[4:7], s[0:1], 0x18
	s_getreg_b32 s13, hwreg(HW_REG_IB_STS2, 6, 4)
	v_and_b32_e32 v1, 0x3ff, v0
	v_bfe_u32 v2, v0, 10, 10
	s_wait_kmcnt 0x0
	s_bitcmp1_b32 s8, 0
	s_cselect_b32 s8, -1, 0
	s_bfe_u32 s17, ttmp6, 0x40014
	s_bfe_u32 s20, ttmp6, 0x40010
	;; [unrolled: 1-line block ×3, first 2 shown]
	s_lshr_b32 s16, ttmp7, 16
	s_and_b32 s19, ttmp7, 0xffff
	s_add_co_i32 s17, s17, 1
	s_add_co_i32 s20, s20, 1
	;; [unrolled: 1-line block ×3, first 2 shown]
	s_bfe_u32 s18, ttmp6, 0x40008
	s_bfe_u32 s21, ttmp6, 0x40004
	s_and_b32 s22, ttmp6, 15
	s_mul_i32 s17, s16, s17
	s_mul_i32 s20, s19, s20
	s_mul_i32 s23, ttmp9, s23
	s_lshr_b32 s14, s12, 16
	s_and_b32 s12, s12, 0xffff
	s_ashr_i32 s15, s2, 31
	s_xor_b32 s8, s8, -1
	s_add_co_i32 s18, s18, s17
	s_add_co_i32 s21, s21, s20
	;; [unrolled: 1-line block ×3, first 2 shown]
	s_cmp_eq_u32 s13, 0
	s_cselect_b32 s13, ttmp9, s22
	s_cselect_b32 s17, s19, s21
	v_mad_u32 v0, s13, s12, v1
	v_mad_u32 v1, s17, s14, v2
	s_mov_b32 s13, 0
	s_cselect_b32 s12, s16, s18
	s_mov_b32 s14, s2
	s_mul_u64 s[4:5], s[4:5], s[12:13]
	s_delay_alu instid0(SALU_CYCLE_1) | instskip(NEXT) | instid1(SALU_CYCLE_1)
	s_lshl_b64 s[4:5], s[4:5], 2
	s_add_nc_u64 s[4:5], s[10:11], s[4:5]
	s_lshl_b64 s[10:11], s[14:15], 2
	s_delay_alu instid0(VALU_DEP_1) | instskip(SKIP_1) | instid1(VALU_DEP_1)
	v_or_b32_e32 v2, v0, v1
	s_add_nc_u64 s[4:5], s[4:5], s[10:11]
	v_cmp_eq_u32_e32 vcc_lo, 0, v2
	s_and_b32 s10, s8, vcc_lo
	s_delay_alu instid0(SALU_CYCLE_1)
	s_and_saveexec_b32 s2, s10
	s_cbranch_execz .LBB21_2
; %bb.1:
	v_dual_mov_b32 v2, 0 :: v_dual_mov_b32 v3, 1.0
	global_store_b32 v2, v3, s[4:5]
.LBB21_2:
	s_wait_xcnt 0x0
	s_or_b32 exec_lo, exec_lo, s2
	v_max_u32_e32 v2, v1, v0
	v_cmp_le_u32_e64 s2, v0, v1
	s_delay_alu instid0(VALU_DEP_2) | instskip(SKIP_1) | instid1(SALU_CYCLE_1)
	v_cmp_gt_u32_e32 vcc_lo, s9, v2
	s_and_b32 s2, s2, vcc_lo
	s_and_saveexec_b32 s9, s2
	s_cbranch_execz .LBB21_11
; %bb.3:
	s_clause 0x1
	s_load_b64 s[10:11], s[0:1], 0x30
	s_load_b32 s14, s[0:1], 0x28
	v_add_nc_u32_e32 v3, 1, v1
	s_and_b32 vcc_lo, exec_lo, s8
	s_delay_alu instid0(VALU_DEP_1) | instskip(NEXT) | instid1(VALU_DEP_1)
	v_mul_lo_u32 v2, v3, v1
	v_lshrrev_b32_e32 v4, 1, v2
	s_wait_kmcnt 0x0
	s_mul_u64 s[0:1], s[10:11], s[12:13]
	s_ashr_i32 s15, s14, 31
	s_lshl_b64 s[0:1], s[0:1], 2
	v_add_nc_u32_e32 v2, v0, v4
	s_lshl_b64 s[8:9], s[14:15], 2
	s_add_nc_u64 s[0:1], s[6:7], s[0:1]
	s_delay_alu instid0(SALU_CYCLE_1)
	s_add_nc_u64 s[0:1], s[0:1], s[8:9]
	s_cbranch_vccz .LBB21_6
; %bb.4:
	v_add_nc_u32_e32 v4, v0, v4
	v_mad_u32 v5, v3, s3, v0
	v_cmp_eq_u32_e32 vcc_lo, v0, v1
	global_load_b32 v4, v4, s[0:1] scale_offset
	s_and_b32 s2, vcc_lo, exec_lo
	s_wait_loadcnt 0x0
	global_store_b32 v5, v4, s[4:5] scale_offset
	v_mov_b32_e32 v1, 0
	s_cbranch_execz .LBB21_7
; %bb.5:
	v_mov_b32_e32 v2, v3
	s_wait_xcnt 0x1
	s_mov_b64 s[0:1], s[4:5]
	s_wait_xcnt 0x0
	s_and_b32 exec_lo, exec_lo, s2
	s_cbranch_execnz .LBB21_10
	s_branch .LBB21_11
.LBB21_6:
	s_mov_b32 s2, 0
	v_mov_b32_e32 v1, 0
.LBB21_7:
	v_mov_b32_e32 v1, 0
	s_mov_b32 s2, exec_lo
	s_wait_xcnt 0x0
	v_cmpx_ne_u32_e32 0, v0
	s_cbranch_execz .LBB21_9
; %bb.8:
	v_mul_lo_u32 v1, v3, s3
	s_delay_alu instid0(VALU_DEP_1)
	v_add3_u32 v0, v0, v1, -1
	global_load_b32 v1, v0, s[4:5] scale_offset
.LBB21_9:
	s_wait_xcnt 0x0
	s_or_b32 exec_lo, exec_lo, s2
	s_mov_b32 s2, -1
	s_delay_alu instid0(SALU_CYCLE_1)
	s_and_b32 exec_lo, exec_lo, s2
	s_cbranch_execz .LBB21_11
.LBB21_10:
	s_wait_loadcnt 0x0
	global_store_b32 v2, v1, s[0:1] scale_offset
.LBB21_11:
	s_endpgm
	.section	.rodata,"a",@progbits
	.p2align	6, 0x0
	.amdhsa_kernel _ZN9rocsolver6v33100L14copyshift_downIfPfEEvbiT0_iilPT_iil
		.amdhsa_group_segment_fixed_size 0
		.amdhsa_private_segment_fixed_size 0
		.amdhsa_kernarg_size 312
		.amdhsa_user_sgpr_count 2
		.amdhsa_user_sgpr_dispatch_ptr 0
		.amdhsa_user_sgpr_queue_ptr 0
		.amdhsa_user_sgpr_kernarg_segment_ptr 1
		.amdhsa_user_sgpr_dispatch_id 0
		.amdhsa_user_sgpr_kernarg_preload_length 0
		.amdhsa_user_sgpr_kernarg_preload_offset 0
		.amdhsa_user_sgpr_private_segment_size 0
		.amdhsa_wavefront_size32 1
		.amdhsa_uses_dynamic_stack 0
		.amdhsa_enable_private_segment 0
		.amdhsa_system_sgpr_workgroup_id_x 1
		.amdhsa_system_sgpr_workgroup_id_y 1
		.amdhsa_system_sgpr_workgroup_id_z 1
		.amdhsa_system_sgpr_workgroup_info 0
		.amdhsa_system_vgpr_workitem_id 1
		.amdhsa_next_free_vgpr 6
		.amdhsa_next_free_sgpr 24
		.amdhsa_named_barrier_count 0
		.amdhsa_reserve_vcc 1
		.amdhsa_float_round_mode_32 0
		.amdhsa_float_round_mode_16_64 0
		.amdhsa_float_denorm_mode_32 3
		.amdhsa_float_denorm_mode_16_64 3
		.amdhsa_fp16_overflow 0
		.amdhsa_memory_ordered 1
		.amdhsa_forward_progress 1
		.amdhsa_inst_pref_size 5
		.amdhsa_round_robin_scheduling 0
		.amdhsa_exception_fp_ieee_invalid_op 0
		.amdhsa_exception_fp_denorm_src 0
		.amdhsa_exception_fp_ieee_div_zero 0
		.amdhsa_exception_fp_ieee_overflow 0
		.amdhsa_exception_fp_ieee_underflow 0
		.amdhsa_exception_fp_ieee_inexact 0
		.amdhsa_exception_int_div_zero 0
	.end_amdhsa_kernel
	.section	.text._ZN9rocsolver6v33100L14copyshift_downIfPfEEvbiT0_iilPT_iil,"axG",@progbits,_ZN9rocsolver6v33100L14copyshift_downIfPfEEvbiT0_iilPT_iil,comdat
.Lfunc_end21:
	.size	_ZN9rocsolver6v33100L14copyshift_downIfPfEEvbiT0_iilPT_iil, .Lfunc_end21-_ZN9rocsolver6v33100L14copyshift_downIfPfEEvbiT0_iilPT_iil
                                        ; -- End function
	.set _ZN9rocsolver6v33100L14copyshift_downIfPfEEvbiT0_iilPT_iil.num_vgpr, 6
	.set _ZN9rocsolver6v33100L14copyshift_downIfPfEEvbiT0_iilPT_iil.num_agpr, 0
	.set _ZN9rocsolver6v33100L14copyshift_downIfPfEEvbiT0_iilPT_iil.numbered_sgpr, 24
	.set _ZN9rocsolver6v33100L14copyshift_downIfPfEEvbiT0_iilPT_iil.num_named_barrier, 0
	.set _ZN9rocsolver6v33100L14copyshift_downIfPfEEvbiT0_iilPT_iil.private_seg_size, 0
	.set _ZN9rocsolver6v33100L14copyshift_downIfPfEEvbiT0_iilPT_iil.uses_vcc, 1
	.set _ZN9rocsolver6v33100L14copyshift_downIfPfEEvbiT0_iilPT_iil.uses_flat_scratch, 0
	.set _ZN9rocsolver6v33100L14copyshift_downIfPfEEvbiT0_iilPT_iil.has_dyn_sized_stack, 0
	.set _ZN9rocsolver6v33100L14copyshift_downIfPfEEvbiT0_iilPT_iil.has_recursion, 0
	.set _ZN9rocsolver6v33100L14copyshift_downIfPfEEvbiT0_iilPT_iil.has_indirect_call, 0
	.section	.AMDGPU.csdata,"",@progbits
; Kernel info:
; codeLenInByte = 604
; TotalNumSgprs: 26
; NumVgprs: 6
; ScratchSize: 0
; MemoryBound: 0
; FloatMode: 240
; IeeeMode: 1
; LDSByteSize: 0 bytes/workgroup (compile time only)
; SGPRBlocks: 0
; VGPRBlocks: 0
; NumSGPRsForWavesPerEU: 26
; NumVGPRsForWavesPerEU: 6
; NamedBarCnt: 0
; Occupancy: 16
; WaveLimiterHint : 0
; COMPUTE_PGM_RSRC2:SCRATCH_EN: 0
; COMPUTE_PGM_RSRC2:USER_SGPR: 2
; COMPUTE_PGM_RSRC2:TRAP_HANDLER: 0
; COMPUTE_PGM_RSRC2:TGID_X_EN: 1
; COMPUTE_PGM_RSRC2:TGID_Y_EN: 1
; COMPUTE_PGM_RSRC2:TGID_Z_EN: 1
; COMPUTE_PGM_RSRC2:TIDIG_COMP_CNT: 1
	.section	.text._ZN9rocsolver6v33100L10reset_infoIiiiEEvPT_T0_T1_S4_,"axG",@progbits,_ZN9rocsolver6v33100L10reset_infoIiiiEEvPT_T0_T1_S4_,comdat
	.globl	_ZN9rocsolver6v33100L10reset_infoIiiiEEvPT_T0_T1_S4_ ; -- Begin function _ZN9rocsolver6v33100L10reset_infoIiiiEEvPT_T0_T1_S4_
	.p2align	8
	.type	_ZN9rocsolver6v33100L10reset_infoIiiiEEvPT_T0_T1_S4_,@function
_ZN9rocsolver6v33100L10reset_infoIiiiEEvPT_T0_T1_S4_: ; @_ZN9rocsolver6v33100L10reset_infoIiiiEEvPT_T0_T1_S4_
; %bb.0:
	s_clause 0x1
	s_load_b32 s2, s[0:1], 0x24
	s_load_b96 s[4:6], s[0:1], 0x8
	s_bfe_u32 s3, ttmp6, 0x4000c
	s_and_b32 s7, ttmp6, 15
	s_add_co_i32 s3, s3, 1
	s_getreg_b32 s8, hwreg(HW_REG_IB_STS2, 6, 4)
	s_mul_i32 s3, ttmp9, s3
	s_delay_alu instid0(SALU_CYCLE_1) | instskip(SKIP_4) | instid1(SALU_CYCLE_1)
	s_add_co_i32 s7, s7, s3
	s_wait_kmcnt 0x0
	s_and_b32 s2, s2, 0xffff
	s_cmp_eq_u32 s8, 0
	s_cselect_b32 s3, ttmp9, s7
	v_mad_u32 v0, s3, s2, v0
	s_mov_b32 s2, exec_lo
	s_delay_alu instid0(VALU_DEP_1)
	v_cmpx_gt_i32_e64 s4, v0
	s_cbranch_execz .LBB22_2
; %bb.1:
	s_load_b64 s[0:1], s[0:1], 0x0
	v_mad_u32 v1, v0, s6, s5
	s_wait_kmcnt 0x0
	global_store_b32 v0, v1, s[0:1] scale_offset
.LBB22_2:
	s_endpgm
	.section	.rodata,"a",@progbits
	.p2align	6, 0x0
	.amdhsa_kernel _ZN9rocsolver6v33100L10reset_infoIiiiEEvPT_T0_T1_S4_
		.amdhsa_group_segment_fixed_size 0
		.amdhsa_private_segment_fixed_size 0
		.amdhsa_kernarg_size 280
		.amdhsa_user_sgpr_count 2
		.amdhsa_user_sgpr_dispatch_ptr 0
		.amdhsa_user_sgpr_queue_ptr 0
		.amdhsa_user_sgpr_kernarg_segment_ptr 1
		.amdhsa_user_sgpr_dispatch_id 0
		.amdhsa_user_sgpr_kernarg_preload_length 0
		.amdhsa_user_sgpr_kernarg_preload_offset 0
		.amdhsa_user_sgpr_private_segment_size 0
		.amdhsa_wavefront_size32 1
		.amdhsa_uses_dynamic_stack 0
		.amdhsa_enable_private_segment 0
		.amdhsa_system_sgpr_workgroup_id_x 1
		.amdhsa_system_sgpr_workgroup_id_y 0
		.amdhsa_system_sgpr_workgroup_id_z 0
		.amdhsa_system_sgpr_workgroup_info 0
		.amdhsa_system_vgpr_workitem_id 0
		.amdhsa_next_free_vgpr 2
		.amdhsa_next_free_sgpr 9
		.amdhsa_named_barrier_count 0
		.amdhsa_reserve_vcc 0
		.amdhsa_float_round_mode_32 0
		.amdhsa_float_round_mode_16_64 0
		.amdhsa_float_denorm_mode_32 3
		.amdhsa_float_denorm_mode_16_64 3
		.amdhsa_fp16_overflow 0
		.amdhsa_memory_ordered 1
		.amdhsa_forward_progress 1
		.amdhsa_inst_pref_size 2
		.amdhsa_round_robin_scheduling 0
		.amdhsa_exception_fp_ieee_invalid_op 0
		.amdhsa_exception_fp_denorm_src 0
		.amdhsa_exception_fp_ieee_div_zero 0
		.amdhsa_exception_fp_ieee_overflow 0
		.amdhsa_exception_fp_ieee_underflow 0
		.amdhsa_exception_fp_ieee_inexact 0
		.amdhsa_exception_int_div_zero 0
	.end_amdhsa_kernel
	.section	.text._ZN9rocsolver6v33100L10reset_infoIiiiEEvPT_T0_T1_S4_,"axG",@progbits,_ZN9rocsolver6v33100L10reset_infoIiiiEEvPT_T0_T1_S4_,comdat
.Lfunc_end22:
	.size	_ZN9rocsolver6v33100L10reset_infoIiiiEEvPT_T0_T1_S4_, .Lfunc_end22-_ZN9rocsolver6v33100L10reset_infoIiiiEEvPT_T0_T1_S4_
                                        ; -- End function
	.set _ZN9rocsolver6v33100L10reset_infoIiiiEEvPT_T0_T1_S4_.num_vgpr, 2
	.set _ZN9rocsolver6v33100L10reset_infoIiiiEEvPT_T0_T1_S4_.num_agpr, 0
	.set _ZN9rocsolver6v33100L10reset_infoIiiiEEvPT_T0_T1_S4_.numbered_sgpr, 9
	.set _ZN9rocsolver6v33100L10reset_infoIiiiEEvPT_T0_T1_S4_.num_named_barrier, 0
	.set _ZN9rocsolver6v33100L10reset_infoIiiiEEvPT_T0_T1_S4_.private_seg_size, 0
	.set _ZN9rocsolver6v33100L10reset_infoIiiiEEvPT_T0_T1_S4_.uses_vcc, 0
	.set _ZN9rocsolver6v33100L10reset_infoIiiiEEvPT_T0_T1_S4_.uses_flat_scratch, 0
	.set _ZN9rocsolver6v33100L10reset_infoIiiiEEvPT_T0_T1_S4_.has_dyn_sized_stack, 0
	.set _ZN9rocsolver6v33100L10reset_infoIiiiEEvPT_T0_T1_S4_.has_recursion, 0
	.set _ZN9rocsolver6v33100L10reset_infoIiiiEEvPT_T0_T1_S4_.has_indirect_call, 0
	.section	.AMDGPU.csdata,"",@progbits
; Kernel info:
; codeLenInByte = 136
; TotalNumSgprs: 9
; NumVgprs: 2
; ScratchSize: 0
; MemoryBound: 0
; FloatMode: 240
; IeeeMode: 1
; LDSByteSize: 0 bytes/workgroup (compile time only)
; SGPRBlocks: 0
; VGPRBlocks: 0
; NumSGPRsForWavesPerEU: 9
; NumVGPRsForWavesPerEU: 2
; NamedBarCnt: 0
; Occupancy: 16
; WaveLimiterHint : 0
; COMPUTE_PGM_RSRC2:SCRATCH_EN: 0
; COMPUTE_PGM_RSRC2:USER_SGPR: 2
; COMPUTE_PGM_RSRC2:TRAP_HANDLER: 0
; COMPUTE_PGM_RSRC2:TGID_X_EN: 1
; COMPUTE_PGM_RSRC2:TGID_Y_EN: 0
; COMPUTE_PGM_RSRC2:TGID_Z_EN: 0
; COMPUTE_PGM_RSRC2:TIDIG_COMP_CNT: 0
	.section	.text._ZN9rocsolver6v33100L10bdsqr_initIffEEviPT0_lS3_lPiiS2_S2_S4_S3_lS4_,"axG",@progbits,_ZN9rocsolver6v33100L10bdsqr_initIffEEviPT0_lS3_lPiiS2_S2_S4_S3_lS4_,comdat
	.globl	_ZN9rocsolver6v33100L10bdsqr_initIffEEviPT0_lS3_lPiiS2_S2_S4_S3_lS4_ ; -- Begin function _ZN9rocsolver6v33100L10bdsqr_initIffEEviPT0_lS3_lPiiS2_S2_S4_S3_lS4_
	.p2align	8
	.type	_ZN9rocsolver6v33100L10bdsqr_initIffEEviPT0_lS3_lPiiS2_S2_S4_S3_lS4_,@function
_ZN9rocsolver6v33100L10bdsqr_initIffEEviPT0_lS3_lPiiS2_S2_S4_S3_lS4_: ; @_ZN9rocsolver6v33100L10bdsqr_initIffEEviPT0_lS3_lPiiS2_S2_S4_S3_lS4_
; %bb.0:
	s_clause 0x1
	s_load_b32 s2, s[0:1], 0x0
	s_load_b256 s[4:11], s[0:1], 0x8
	s_bfe_u32 s3, ttmp6, 0x40010
	s_bfe_u32 s12, ttmp6, 0x40004
	s_add_co_i32 s3, s3, 1
	s_getreg_b32 s13, hwreg(HW_REG_IB_STS2, 6, 4)
	s_mul_i32 s3, ttmp7, s3
	s_delay_alu instid0(SALU_CYCLE_1)
	s_add_co_i32 s12, s12, s3
	s_wait_kmcnt 0x0
	s_ashr_i32 s3, s2, 31
	s_cmp_eq_u32 s13, 0
	v_cmp_gt_i64_e64 s22, s[2:3], 1
	s_cselect_b32 s14, ttmp7, s12
	s_lshl_b64 s[12:13], s[2:3], 2
	s_ashr_i32 s15, s14, 31
	s_delay_alu instid0(SALU_CYCLE_1) | instskip(NEXT) | instid1(SALU_CYCLE_1)
	s_mul_u64 s[6:7], s[6:7], s[14:15]
	s_lshl_b64 s[6:7], s[6:7], 2
	s_delay_alu instid0(SALU_CYCLE_1) | instskip(NEXT) | instid1(SALU_CYCLE_1)
	s_add_nc_u64 s[18:19], s[4:5], s[6:7]
	s_add_nc_u64 s[12:13], s[18:19], s[12:13]
	s_delay_alu instid0(SALU_CYCLE_1)
	s_add_nc_u64 s[4:5], s[12:13], -4
	s_clause 0x1
	s_load_b32 s23, s[18:19], 0x0
	s_load_b32 s24, s[4:5], 0x0
	s_load_b64 s[16:17], s[0:1], 0x28
	s_wait_xcnt 0x0
	s_mul_u64 s[4:5], s[10:11], s[14:15]
	s_delay_alu instid0(SALU_CYCLE_1)
	s_lshl_b64 s[6:7], s[4:5], 2
	v_cmp_lt_i64_e64 s5, s[2:3], 2
	s_add_nc_u64 s[20:21], s[8:9], s[6:7]
	s_mov_b32 s4, 1
	s_wait_kmcnt 0x0
	s_cmp_ge_f32 s23, s24
	s_cselect_b32 s3, -1, 0
	s_delay_alu instid0(SALU_CYCLE_1)
	s_and_b32 s6, s3, exec_lo
	s_cselect_b32 s6, s23, s24
	s_and_b32 vcc_lo, exec_lo, s5
	s_and_b32 s23, s6, 0x7fffffff
	s_cbranch_vccnz .LBB23_3
; %bb.1:
	s_add_co_i32 s5, s2, -2
	s_mov_b32 s6, s23
.LBB23_2:                               ; =>This Inner Loop Header: Depth=1
	s_and_b32 s7, s3, exec_lo
	s_cselect_b32 s8, s4, s5
	s_add_co_i32 s7, s4, -1
	s_and_b32 s9, s3, exec_lo
	s_cselect_b32 s10, s7, s5
	s_ashr_i32 s9, s8, 31
	s_ashr_i32 s11, s10, 31
	s_lshl_b64 s[8:9], s[8:9], 2
	s_lshl_b64 s[10:11], s[10:11], 2
	s_add_nc_u64 s[8:9], s[18:19], s[8:9]
	s_add_nc_u64 s[10:11], s[20:21], s[10:11]
	s_load_b32 s8, s[8:9], 0x0
	s_wait_kmcnt 0x0
	s_bitset0_b32 s8, 31
	s_load_b32 s7, s[10:11], 0x0
	s_wait_kmcnt 0x0
	s_bitset0_b32 s7, 31
	s_delay_alu instid0(SALU_CYCLE_1) | instskip(NEXT) | instid1(SALU_CYCLE_3)
	s_add_f32 s7, s6, s7
	v_div_scale_f32 v0, null, s7, s7, s6
	v_div_scale_f32 v3, vcc_lo, s6, s7, s6
	s_delay_alu instid0(VALU_DEP_2)
	v_rcp_f32_e32 v1, v0
	v_nop
	v_xor_b32_e32 v0, 0x80000000, v0
	s_delay_alu instid0(TRANS32_DEP_1) | instid1(VALU_DEP_1)
	v_fma_f32 v2, v0, v1, 1.0
	s_delay_alu instid0(VALU_DEP_1) | instskip(NEXT) | instid1(VALU_DEP_1)
	v_fmac_f32_e32 v1, v2, v1
	v_mul_f32_e32 v2, v3, v1
	s_delay_alu instid0(VALU_DEP_1) | instskip(NEXT) | instid1(VALU_DEP_1)
	v_fma_f32 v4, v0, v2, v3
	v_fmac_f32_e32 v2, v4, v1
	s_delay_alu instid0(VALU_DEP_1) | instskip(NEXT) | instid1(VALU_DEP_1)
	v_fmac_f32_e32 v3, v0, v2
	v_div_fmas_f32 v0, v3, v1, v2
	s_delay_alu instid0(VALU_DEP_1) | instskip(NEXT) | instid1(VALU_DEP_1)
	v_div_fixup_f32 v0, v0, s7, s6
	v_readfirstlane_b32 s6, v0
	s_mul_f32 s6, s8, s6
	s_delay_alu instid0(SALU_CYCLE_3)
	s_cmp_lt_f32 s6, s23
	s_cselect_b32 s23, s6, s23
	s_add_co_i32 s4, s4, 1
	s_add_co_i32 s5, s5, -1
	s_cmp_lg_u32 s4, s2
	s_cbranch_scc1 .LBB23_2
.LBB23_3:
	v_cvt_f64_i32_e32 v[0:1], s2
	s_load_b256 s[4:11], s[0:1], 0x40
	s_lshl_b32 s25, s2, 1
	s_add_co_i32 s3, s2, -1
	s_mul_i32 s26, s25, s14
	s_load_b96 s[28:30], s[0:1], 0x30
	s_ashr_i32 s27, s26, 31
	s_mov_b32 s24, 0
	s_lshl_b64 s[26:27], s[26:27], 2
	s_wait_kmcnt 0x0
	s_mul_u64 s[8:9], s[8:9], s[14:15]
	s_delay_alu instid0(SALU_CYCLE_1) | instskip(SKIP_2) | instid1(VALU_DEP_1)
	s_lshl_b64 s[34:35], s[8:9], 2
	s_mul_f32 s0, s30, s23
	s_cvt_f32_i32 s1, s28
	v_cmp_gt_f64_e32 vcc_lo, 0x10000000, v[0:1]
	s_and_b32 s8, vcc_lo, exec_lo
	s_cselect_b32 s8, 0x100, 0
	s_delay_alu instid0(SALU_CYCLE_1) | instskip(SKIP_1) | instid1(VALU_DEP_1)
	v_ldexp_f64 v[0:1], v[0:1], s8
	s_cselect_b32 s8, 0xffffff80, 0
	v_rsq_f64_e32 v[2:3], v[0:1]
	v_cmp_class_f64_e64 vcc_lo, v[0:1], 0x260
	s_delay_alu instid0(TRANS32_DEP_1) | instskip(SKIP_1) | instid1(VALU_DEP_1)
	v_mul_f64_e32 v[4:5], v[0:1], v[2:3]
	v_mul_f64_e32 v[2:3], 0.5, v[2:3]
	v_fma_f64 v[6:7], -v[2:3], v[4:5], 0.5
	s_delay_alu instid0(VALU_DEP_1) | instskip(SKIP_1) | instid1(VALU_DEP_2)
	v_fmac_f64_e32 v[4:5], v[4:5], v[6:7]
	v_fmac_f64_e32 v[2:3], v[2:3], v[6:7]
	v_fma_f64 v[6:7], -v[4:5], v[4:5], v[0:1]
	s_delay_alu instid0(VALU_DEP_1) | instskip(NEXT) | instid1(VALU_DEP_1)
	v_fmac_f64_e32 v[4:5], v[6:7], v[2:3]
	v_fma_f64 v[6:7], -v[4:5], v[4:5], v[0:1]
	s_delay_alu instid0(VALU_DEP_1) | instskip(SKIP_1) | instid1(VALU_DEP_2)
	v_fmac_f64_e32 v[4:5], v[6:7], v[2:3]
	v_cndmask_b32_e64 v6, 0, 1, s22
	v_ldexp_f64 v[2:3], v[4:5], s8
	s_add_nc_u64 s[8:9], s[4:5], s[26:27]
	s_add_nc_u64 s[4:5], s[6:7], s[34:35]
	s_mov_b32 s26, 0
	s_mov_b32 s6, 0
	s_delay_alu instid0(VALU_DEP_1) | instskip(NEXT) | instid1(VALU_DEP_1)
	v_dual_cndmask_b32 v1, v3, v1 :: v_dual_cndmask_b32 v0, v2, v0
	v_cvt_f32_f64_e32 v1, v[0:1]
	s_delay_alu instid0(VALU_DEP_1) | instskip(SKIP_1) | instid1(VALU_DEP_2)
	v_div_scale_f32 v0, null, v1, v1, s0
	v_div_scale_f32 v4, vcc_lo, s0, v1, s0
	v_rcp_f32_e32 v2, v0
	v_nop
	v_xor_b32_e32 v0, 0x80000000, v0
	s_delay_alu instid0(TRANS32_DEP_1) | instid1(VALU_DEP_1)
	v_fma_f32 v3, v0, v2, 1.0
	s_delay_alu instid0(VALU_DEP_1) | instskip(NEXT) | instid1(VALU_DEP_1)
	v_fmac_f32_e32 v2, v3, v2
	v_mul_f32_e32 v3, v4, v2
	s_delay_alu instid0(VALU_DEP_1) | instskip(NEXT) | instid1(VALU_DEP_1)
	v_fma_f32 v5, v0, v3, v4
	v_fmac_f32_e32 v3, v5, v2
	s_delay_alu instid0(VALU_DEP_1) | instskip(NEXT) | instid1(VALU_DEP_1)
	v_dual_fmac_f32 v4, v0, v3 :: v_dual_mov_b32 v0, 0
	v_div_fmas_f32 v2, v4, v2, v3
	v_mov_b32_e32 v4, s23
	s_delay_alu instid0(VALU_DEP_2)
	v_div_fixup_f32 v1, v2, v1, s0
	s_mul_f32 s0, s29, s1
	s_delay_alu instid0(VALU_DEP_1) | instid1(SALU_CYCLE_3)
	v_cmp_gt_f32_e32 vcc_lo, s0, v1
	v_cndmask_b32_e64 v5, v1, s0, vcc_lo
	s_and_not1_b32 vcc_lo, exec_lo, s22
	global_store_b64 v0, v[4:5], s[4:5]
	s_cbranch_vccnz .LBB23_15
; %bb.4:
	s_mov_b32 s23, 0
	s_delay_alu instid0(SALU_CYCLE_1)
	s_mov_b32 s6, s23
	s_mov_b32 s22, s23
	s_branch .LBB23_7
.LBB23_5:                               ;   in Loop: Header=BB23_7 Depth=1
	s_mov_b32 s22, s0
.LBB23_6:                               ;   in Loop: Header=BB23_7 Depth=1
	s_wait_loadcnt 0x0
	v_and_b32_e32 v1, 0x7fffffff, v1
	s_wait_xcnt 0x0
	v_cmp_nlg_f32_e64 s0, 0x7f800000, v2
	s_delay_alu instid0(VALU_DEP_2) | instskip(SKIP_1) | instid1(SALU_CYCLE_1)
	v_cmp_nlg_f32_e32 vcc_lo, 0x7f800000, v1
	s_or_b32 s0, vcc_lo, s0
	s_or_b32 s26, s0, s26
	s_cmp_eq_u32 s22, s3
	s_cbranch_scc1 .LBB23_15
.LBB23_7:                               ; =>This Inner Loop Header: Depth=1
	s_lshl_b32 s0, s22, 2
	s_delay_alu instid0(SALU_CYCLE_1) | instskip(NEXT) | instid1(SALU_CYCLE_1)
	s_or_b32 s1, s0, 3
	s_cmp_ge_i32 s1, s25
	s_cbranch_scc1 .LBB23_9
; %bb.8:                                ;   in Loop: Header=BB23_7 Depth=1
	s_mov_b32 s1, s23
	v_dual_mov_b32 v1, v0 :: v_dual_mov_b32 v2, v0
	v_mov_b32_e32 v3, v0
	s_lshl_b64 s[0:1], s[0:1], 2
	s_delay_alu instid0(SALU_CYCLE_1)
	s_add_nc_u64 s[0:1], s[8:9], s[0:1]
	global_store_b128 v0, v[0:3], s[0:1]
	global_wb scope:SCOPE_DEV
	s_wait_storecnt 0x0
	global_inv scope:SCOPE_DEV
.LBB23_9:                               ;   in Loop: Header=BB23_7 Depth=1
	s_wait_xcnt 0x0
	v_mov_b32_e32 v2, s22
	s_mov_b32 s1, -1
                                        ; implicit-def: $sgpr0
	s_clause 0x1
	global_load_b32 v3, v2, s[20:21] scale_offset
	global_load_b32 v1, v2, s[18:19] scale_offset
	s_wait_loadcnt 0x1
	s_wait_xcnt 0x0
	v_and_b32_e32 v2, 0x7fffffff, v3
	s_delay_alu instid0(VALU_DEP_1)
	v_cmp_lt_f32_e32 vcc_lo, v2, v5
	s_cbranch_vccnz .LBB23_11
; %bb.10:                               ;   in Loop: Header=BB23_7 Depth=1
	s_add_co_i32 s0, s22, 1
	s_mov_b32 s1, 0
.LBB23_11:                              ;   in Loop: Header=BB23_7 Depth=1
	s_delay_alu instid0(SALU_CYCLE_1)
	s_and_not1_b32 vcc_lo, exec_lo, s1
	s_cbranch_vccnz .LBB23_5
; %bb.12:                               ;   in Loop: Header=BB23_7 Depth=1
	s_lshl_b64 s[0:1], s[22:23], 2
	s_cmp_ge_i32 s6, s22
	s_add_nc_u64 s[0:1], s[20:21], s[0:1]
	global_store_b32 v0, v0, s[0:1]
	s_cbranch_scc1 .LBB23_14
; %bb.13:                               ;   in Loop: Header=BB23_7 Depth=1
	s_mov_b32 s7, s22
	s_wait_xcnt 0x0
	s_lshl_b32 s0, s24, 2
	v_mov_b64_e32 v[8:9], s[6:7]
	s_ashr_i32 s1, s0, 31
	s_add_co_i32 s24, s24, 1
	s_lshl_b64 s[0:1], s[0:1], 2
	s_delay_alu instid0(SALU_CYCLE_1)
	s_add_nc_u64 s[0:1], s[8:9], s[0:1]
	global_store_b64 v0, v[8:9], s[0:1] offset:4
.LBB23_14:                              ;   in Loop: Header=BB23_7 Depth=1
	s_add_co_i32 s22, s22, 1
	s_delay_alu instid0(SALU_CYCLE_1)
	s_mov_b32 s6, s22
	s_branch .LBB23_6
.LBB23_15:
	v_mov_b32_e32 v1, 0
	s_cmp_lt_i32 s6, s3
	global_load_b32 v0, v1, s[12:13] offset:-4
	s_cbranch_scc0 .LBB23_17
; %bb.16:
	s_lshl_b32 s0, s24, 2
	v_dual_mov_b32 v2, s6 :: v_dual_mov_b32 v3, s3
	s_ashr_i32 s1, s0, 31
	s_delay_alu instid0(SALU_CYCLE_1) | instskip(NEXT) | instid1(SALU_CYCLE_1)
	s_lshl_b64 s[0:1], s[0:1], 2
	s_add_nc_u64 s[0:1], s[8:9], s[0:1]
	global_store_b64 v1, v[2:3], s[0:1] offset:4
.LBB23_17:
	s_wait_loadcnt 0x0
	v_and_b32_e32 v0, 0x7fffffff, v0
	s_delay_alu instid0(VALU_DEP_1) | instskip(SKIP_2) | instid1(SALU_CYCLE_1)
	v_cmp_nlg_f32_e32 vcc_lo, 0x7f800000, v0
	s_wait_xcnt 0x0
	s_or_b32 s0, vcc_lo, s26
	s_and_not1_b32 vcc_lo, exec_lo, s0
	s_mov_b32 s0, -1
	s_cbranch_vccz .LBB23_22
; %bb.18:
	s_add_co_i32 s1, s24, 1
	s_lshl_b64 s[6:7], s[14:15], 2
	s_cvt_f32_i32 s0, s1
	v_mov_b32_e32 v1, 0
	s_cmp_lt_i32 s24, 0
	s_add_nc_u64 s[6:7], s[16:17], s[6:7]
	v_mov_b32_e32 v0, s0
	s_mov_b32 s0, 0
	s_clause 0x1
	global_store_b64 v1, v[0:1], s[4:5] offset:8
	global_store_b32 v1, v1, s[6:7]
	s_cbranch_scc1 .LBB23_22
; %bb.19:
	v_mov_b32_e32 v3, 0
	s_wait_xcnt 0x1
	s_mov_b32 s4, 0
.LBB23_20:                              ; =>This Inner Loop Header: Depth=1
	v_mov_b32_e32 v2, s1
	s_wait_xcnt 0x0
	global_atomic_cmpswap_b32 v3, v1, v[2:3], s[10:11] offset:4 th:TH_ATOMIC_RETURN scope:SCOPE_DEV
	s_wait_loadcnt 0x0
	v_cmp_lt_i32_e32 vcc_lo, s24, v3
	s_or_b32 s4, vcc_lo, s4
	s_wait_xcnt 0x0
	s_and_not1_b32 exec_lo, exec_lo, s4
	s_cbranch_execnz .LBB23_20
; %bb.21:
	s_or_b32 exec_lo, exec_lo, s4
.LBB23_22:
	s_delay_alu instid0(SALU_CYCLE_1)
	s_and_not1_b32 vcc_lo, exec_lo, s0
	s_cbranch_vccnz .LBB23_28
; %bb.23:
	v_cmp_ne_u32_e32 vcc_lo, 1, v6
	s_cbranch_vccnz .LBB23_26
; %bb.24:
	s_wait_xcnt 0x0
	v_dual_mov_b32 v0, 0 :: v_dual_mov_b32 v1, 0x7fc00000
.LBB23_25:                              ; =>This Inner Loop Header: Depth=1
	s_add_co_i32 s3, s3, -1
	s_clause 0x1
	global_store_b32 v0, v1, s[18:19]
	global_store_b32 v0, v1, s[20:21]
	s_wait_xcnt 0x1
	s_add_nc_u64 s[18:19], s[18:19], 4
	s_cmp_eq_u32 s3, 0
	s_wait_xcnt 0x0
	s_add_nc_u64 s[20:21], s[20:21], 4
	s_cbranch_scc0 .LBB23_25
.LBB23_26:
	s_mov_b32 s0, exec_lo
	s_wait_xcnt 0x1
	v_dual_mov_b32 v0, 0 :: v_dual_mov_b32 v3, s2
	s_wait_xcnt 0x0
	v_mbcnt_lo_u32_b32 v1, s0, 0
	v_mov_b32_e32 v2, 0x7fc00000
	s_lshl_b64 s[4:5], s[14:15], 2
	v_mov_b32_e32 v4, 2
	s_add_nc_u64 s[6:7], s[16:17], s[4:5]
	s_add_nc_u64 s[2:3], s[10:11], s[4:5]
	s_clause 0x2
	global_store_b32 v0, v2, s[12:13] offset:-4
	global_store_b32 v0, v3, s[6:7]
	global_store_b32 v0, v4, s[2:3] offset:8
	s_mov_b32 s1, exec_lo
	s_wait_xcnt 0x0
	v_cmpx_eq_u32_e32 0, v1
	s_cbranch_execz .LBB23_28
; %bb.27:
	s_bcnt1_i32_b32 s0, s0
	s_delay_alu instid0(SALU_CYCLE_1)
	v_mov_b32_e32 v1, s0
	global_atomic_add_u32 v0, v1, s[10:11] scope:SCOPE_DEV
.LBB23_28:
	s_endpgm
	.section	.rodata,"a",@progbits
	.p2align	6, 0x0
	.amdhsa_kernel _ZN9rocsolver6v33100L10bdsqr_initIffEEviPT0_lS3_lPiiS2_S2_S4_S3_lS4_
		.amdhsa_group_segment_fixed_size 0
		.amdhsa_private_segment_fixed_size 0
		.amdhsa_kernarg_size 96
		.amdhsa_user_sgpr_count 2
		.amdhsa_user_sgpr_dispatch_ptr 0
		.amdhsa_user_sgpr_queue_ptr 0
		.amdhsa_user_sgpr_kernarg_segment_ptr 1
		.amdhsa_user_sgpr_dispatch_id 0
		.amdhsa_user_sgpr_kernarg_preload_length 0
		.amdhsa_user_sgpr_kernarg_preload_offset 0
		.amdhsa_user_sgpr_private_segment_size 0
		.amdhsa_wavefront_size32 1
		.amdhsa_uses_dynamic_stack 0
		.amdhsa_enable_private_segment 0
		.amdhsa_system_sgpr_workgroup_id_x 1
		.amdhsa_system_sgpr_workgroup_id_y 1
		.amdhsa_system_sgpr_workgroup_id_z 0
		.amdhsa_system_sgpr_workgroup_info 0
		.amdhsa_system_vgpr_workitem_id 0
		.amdhsa_next_free_vgpr 10
		.amdhsa_next_free_sgpr 36
		.amdhsa_named_barrier_count 0
		.amdhsa_reserve_vcc 1
		.amdhsa_float_round_mode_32 0
		.amdhsa_float_round_mode_16_64 0
		.amdhsa_float_denorm_mode_32 3
		.amdhsa_float_denorm_mode_16_64 3
		.amdhsa_fp16_overflow 0
		.amdhsa_memory_ordered 1
		.amdhsa_forward_progress 1
		.amdhsa_inst_pref_size 13
		.amdhsa_round_robin_scheduling 0
		.amdhsa_exception_fp_ieee_invalid_op 0
		.amdhsa_exception_fp_denorm_src 0
		.amdhsa_exception_fp_ieee_div_zero 0
		.amdhsa_exception_fp_ieee_overflow 0
		.amdhsa_exception_fp_ieee_underflow 0
		.amdhsa_exception_fp_ieee_inexact 0
		.amdhsa_exception_int_div_zero 0
	.end_amdhsa_kernel
	.section	.text._ZN9rocsolver6v33100L10bdsqr_initIffEEviPT0_lS3_lPiiS2_S2_S4_S3_lS4_,"axG",@progbits,_ZN9rocsolver6v33100L10bdsqr_initIffEEviPT0_lS3_lPiiS2_S2_S4_S3_lS4_,comdat
.Lfunc_end23:
	.size	_ZN9rocsolver6v33100L10bdsqr_initIffEEviPT0_lS3_lPiiS2_S2_S4_S3_lS4_, .Lfunc_end23-_ZN9rocsolver6v33100L10bdsqr_initIffEEviPT0_lS3_lPiiS2_S2_S4_S3_lS4_
                                        ; -- End function
	.set _ZN9rocsolver6v33100L10bdsqr_initIffEEviPT0_lS3_lPiiS2_S2_S4_S3_lS4_.num_vgpr, 10
	.set _ZN9rocsolver6v33100L10bdsqr_initIffEEviPT0_lS3_lPiiS2_S2_S4_S3_lS4_.num_agpr, 0
	.set _ZN9rocsolver6v33100L10bdsqr_initIffEEviPT0_lS3_lPiiS2_S2_S4_S3_lS4_.numbered_sgpr, 36
	.set _ZN9rocsolver6v33100L10bdsqr_initIffEEviPT0_lS3_lPiiS2_S2_S4_S3_lS4_.num_named_barrier, 0
	.set _ZN9rocsolver6v33100L10bdsqr_initIffEEviPT0_lS3_lPiiS2_S2_S4_S3_lS4_.private_seg_size, 0
	.set _ZN9rocsolver6v33100L10bdsqr_initIffEEviPT0_lS3_lPiiS2_S2_S4_S3_lS4_.uses_vcc, 1
	.set _ZN9rocsolver6v33100L10bdsqr_initIffEEviPT0_lS3_lPiiS2_S2_S4_S3_lS4_.uses_flat_scratch, 0
	.set _ZN9rocsolver6v33100L10bdsqr_initIffEEviPT0_lS3_lPiiS2_S2_S4_S3_lS4_.has_dyn_sized_stack, 0
	.set _ZN9rocsolver6v33100L10bdsqr_initIffEEviPT0_lS3_lPiiS2_S2_S4_S3_lS4_.has_recursion, 0
	.set _ZN9rocsolver6v33100L10bdsqr_initIffEEviPT0_lS3_lPiiS2_S2_S4_S3_lS4_.has_indirect_call, 0
	.section	.AMDGPU.csdata,"",@progbits
; Kernel info:
; codeLenInByte = 1652
; TotalNumSgprs: 38
; NumVgprs: 10
; ScratchSize: 0
; MemoryBound: 0
; FloatMode: 240
; IeeeMode: 1
; LDSByteSize: 0 bytes/workgroup (compile time only)
; SGPRBlocks: 0
; VGPRBlocks: 0
; NumSGPRsForWavesPerEU: 38
; NumVGPRsForWavesPerEU: 10
; NamedBarCnt: 0
; Occupancy: 16
; WaveLimiterHint : 0
; COMPUTE_PGM_RSRC2:SCRATCH_EN: 0
; COMPUTE_PGM_RSRC2:USER_SGPR: 2
; COMPUTE_PGM_RSRC2:TRAP_HANDLER: 0
; COMPUTE_PGM_RSRC2:TGID_X_EN: 1
; COMPUTE_PGM_RSRC2:TGID_Y_EN: 1
; COMPUTE_PGM_RSRC2:TGID_Z_EN: 0
; COMPUTE_PGM_RSRC2:TIDIG_COMP_CNT: 0
	.section	.text._ZN9rocsolver6v33100L11swap_kernelIfiEEvT0_PT_S2_S4_S2_,"axG",@progbits,_ZN9rocsolver6v33100L11swap_kernelIfiEEvT0_PT_S2_S4_S2_,comdat
	.globl	_ZN9rocsolver6v33100L11swap_kernelIfiEEvT0_PT_S2_S4_S2_ ; -- Begin function _ZN9rocsolver6v33100L11swap_kernelIfiEEvT0_PT_S2_S4_S2_
	.p2align	8
	.type	_ZN9rocsolver6v33100L11swap_kernelIfiEEvT0_PT_S2_S4_S2_,@function
_ZN9rocsolver6v33100L11swap_kernelIfiEEvT0_PT_S2_S4_S2_: ; @_ZN9rocsolver6v33100L11swap_kernelIfiEEvT0_PT_S2_S4_S2_
; %bb.0:
	s_load_b32 s12, s[0:1], 0x0
	s_wait_kmcnt 0x0
	s_cmp_lt_i32 s12, 1
	s_cbranch_scc1 .LBB24_10
; %bb.1:
	s_clause 0x2
	s_load_b32 s2, s[0:1], 0x34
	s_load_b96 s[4:6], s[0:1], 0x8
	s_load_b96 s[8:10], s[0:1], 0x18
	s_bfe_u32 s3, ttmp6, 0x4000c
	s_wait_xcnt 0x0
	s_load_b32 s0, s[0:1], 0x28
	s_add_co_i32 s3, s3, 1
	s_wait_xcnt 0x0
	s_and_b32 s1, ttmp6, 15
	s_mul_i32 s3, ttmp9, s3
	s_getreg_b32 s7, hwreg(HW_REG_IB_STS2, 6, 4)
	s_add_co_i32 s1, s1, s3
	s_wait_kmcnt 0x0
	s_and_b32 s2, s2, 0xffff
	s_cmp_eq_u32 s7, 0
	s_cselect_b32 s1, ttmp9, s1
	s_cmp_eq_u32 s6, 1
	v_mad_u32 v0, s1, s2, v0
	s_cselect_b32 s1, -1, 0
	s_cmp_eq_u32 s10, 1
	s_mul_i32 s2, s0, s2
	s_cselect_b32 s3, -1, 0
	s_delay_alu instid0(SALU_CYCLE_1) | instskip(NEXT) | instid1(SALU_CYCLE_1)
	s_and_b32 s1, s1, s3
	s_and_b32 vcc_lo, exec_lo, s1
	s_mov_b32 s1, -1
	s_delay_alu instid0(VALU_DEP_1)
	v_cmp_gt_i32_e64 s0, s12, v0
	s_cbranch_vccnz .LBB24_6
; %bb.2:
	s_and_saveexec_b32 s1, s0
	s_cbranch_execz .LBB24_5
; %bb.3:
	v_ashrrev_i32_e32 v1, 31, v0
	s_ashr_i32 s7, s6, 31
	s_ashr_i32 s11, s10, 31
	;; [unrolled: 1-line block ×3, first 2 shown]
	s_delay_alu instid0(SALU_CYCLE_1)
	s_mul_u64 s[14:15], s[6:7], s[2:3]
	v_mul_u64_e32 v[2:3], s[10:11], v[0:1]
	v_mul_u64_e32 v[4:5], s[6:7], v[0:1]
	v_mov_b32_e32 v1, v0
	s_mul_u64 s[10:11], s[10:11], s[2:3]
	s_mov_b32 s3, 0
	s_lshl_b64 s[6:7], s[10:11], 2
	s_lshl_b64 s[10:11], s[14:15], 2
	s_delay_alu instid0(VALU_DEP_3) | instskip(NEXT) | instid1(VALU_DEP_3)
	v_lshl_add_u64 v[2:3], v[2:3], 2, s[8:9]
	v_lshl_add_u64 v[4:5], v[4:5], 2, s[4:5]
.LBB24_4:                               ; =>This Inner Loop Header: Depth=1
	global_load_b32 v6, v[4:5], off
	global_load_b32 v7, v[2:3], off
	v_add_nc_u32_e32 v1, s2, v1
	s_wait_loadcnt 0x1
	global_store_b32 v[2:3], v6, off
	s_wait_loadcnt 0x0
	global_store_b32 v[4:5], v7, off
	v_cmp_le_i32_e32 vcc_lo, s12, v1
	s_wait_xcnt 0x1
	v_add_nc_u64_e32 v[2:3], s[6:7], v[2:3]
	s_wait_xcnt 0x0
	v_add_nc_u64_e32 v[4:5], s[10:11], v[4:5]
	s_or_b32 s3, vcc_lo, s3
	s_delay_alu instid0(SALU_CYCLE_1)
	s_and_not1_b32 exec_lo, exec_lo, s3
	s_cbranch_execnz .LBB24_4
.LBB24_5:
	s_or_b32 exec_lo, exec_lo, s1
	s_mov_b32 s1, 0
.LBB24_6:
	s_delay_alu instid0(SALU_CYCLE_1)
	s_and_not1_b32 vcc_lo, exec_lo, s1
	s_cbranch_vccnz .LBB24_10
; %bb.7:
	s_and_saveexec_b32 s1, s0
	s_cbranch_execz .LBB24_10
; %bb.8:
	v_ashrrev_i32_e32 v1, 31, v0
	s_ashr_i32 s3, s2, 31
	s_delay_alu instid0(SALU_CYCLE_1) | instskip(SKIP_1) | instid1(VALU_DEP_1)
	s_lshl_b64 s[0:1], s[2:3], 2
	s_mov_b32 s3, 0
	v_lshlrev_b64_e32 v[2:3], 2, v[0:1]
.LBB24_9:                               ; =>This Inner Loop Header: Depth=1
	s_delay_alu instid0(VALU_DEP_1)
	v_add_nc_u64_e32 v[4:5], s[4:5], v[2:3]
	v_add_nc_u64_e32 v[6:7], s[8:9], v[2:3]
	v_add_nc_u32_e32 v0, s2, v0
	v_add_nc_u64_e32 v[2:3], s[0:1], v[2:3]
	global_load_b32 v1, v[4:5], off
	global_load_b32 v8, v[6:7], off
	v_cmp_le_i32_e32 vcc_lo, s12, v0
	s_wait_loadcnt 0x1
	global_store_b32 v[6:7], v1, off
	s_wait_loadcnt 0x0
	global_store_b32 v[4:5], v8, off
	s_or_b32 s3, vcc_lo, s3
	s_wait_xcnt 0x0
	s_and_not1_b32 exec_lo, exec_lo, s3
	s_cbranch_execnz .LBB24_9
.LBB24_10:
	s_endpgm
	.section	.rodata,"a",@progbits
	.p2align	6, 0x0
	.amdhsa_kernel _ZN9rocsolver6v33100L11swap_kernelIfiEEvT0_PT_S2_S4_S2_
		.amdhsa_group_segment_fixed_size 0
		.amdhsa_private_segment_fixed_size 0
		.amdhsa_kernarg_size 296
		.amdhsa_user_sgpr_count 2
		.amdhsa_user_sgpr_dispatch_ptr 0
		.amdhsa_user_sgpr_queue_ptr 0
		.amdhsa_user_sgpr_kernarg_segment_ptr 1
		.amdhsa_user_sgpr_dispatch_id 0
		.amdhsa_user_sgpr_kernarg_preload_length 0
		.amdhsa_user_sgpr_kernarg_preload_offset 0
		.amdhsa_user_sgpr_private_segment_size 0
		.amdhsa_wavefront_size32 1
		.amdhsa_uses_dynamic_stack 0
		.amdhsa_enable_private_segment 0
		.amdhsa_system_sgpr_workgroup_id_x 1
		.amdhsa_system_sgpr_workgroup_id_y 0
		.amdhsa_system_sgpr_workgroup_id_z 0
		.amdhsa_system_sgpr_workgroup_info 0
		.amdhsa_system_vgpr_workitem_id 0
		.amdhsa_next_free_vgpr 9
		.amdhsa_next_free_sgpr 16
		.amdhsa_named_barrier_count 0
		.amdhsa_reserve_vcc 1
		.amdhsa_float_round_mode_32 0
		.amdhsa_float_round_mode_16_64 0
		.amdhsa_float_denorm_mode_32 3
		.amdhsa_float_denorm_mode_16_64 3
		.amdhsa_fp16_overflow 0
		.amdhsa_memory_ordered 1
		.amdhsa_forward_progress 1
		.amdhsa_inst_pref_size 4
		.amdhsa_round_robin_scheduling 0
		.amdhsa_exception_fp_ieee_invalid_op 0
		.amdhsa_exception_fp_denorm_src 0
		.amdhsa_exception_fp_ieee_div_zero 0
		.amdhsa_exception_fp_ieee_overflow 0
		.amdhsa_exception_fp_ieee_underflow 0
		.amdhsa_exception_fp_ieee_inexact 0
		.amdhsa_exception_int_div_zero 0
	.end_amdhsa_kernel
	.section	.text._ZN9rocsolver6v33100L11swap_kernelIfiEEvT0_PT_S2_S4_S2_,"axG",@progbits,_ZN9rocsolver6v33100L11swap_kernelIfiEEvT0_PT_S2_S4_S2_,comdat
.Lfunc_end24:
	.size	_ZN9rocsolver6v33100L11swap_kernelIfiEEvT0_PT_S2_S4_S2_, .Lfunc_end24-_ZN9rocsolver6v33100L11swap_kernelIfiEEvT0_PT_S2_S4_S2_
                                        ; -- End function
	.set _ZN9rocsolver6v33100L11swap_kernelIfiEEvT0_PT_S2_S4_S2_.num_vgpr, 9
	.set _ZN9rocsolver6v33100L11swap_kernelIfiEEvT0_PT_S2_S4_S2_.num_agpr, 0
	.set _ZN9rocsolver6v33100L11swap_kernelIfiEEvT0_PT_S2_S4_S2_.numbered_sgpr, 16
	.set _ZN9rocsolver6v33100L11swap_kernelIfiEEvT0_PT_S2_S4_S2_.num_named_barrier, 0
	.set _ZN9rocsolver6v33100L11swap_kernelIfiEEvT0_PT_S2_S4_S2_.private_seg_size, 0
	.set _ZN9rocsolver6v33100L11swap_kernelIfiEEvT0_PT_S2_S4_S2_.uses_vcc, 1
	.set _ZN9rocsolver6v33100L11swap_kernelIfiEEvT0_PT_S2_S4_S2_.uses_flat_scratch, 0
	.set _ZN9rocsolver6v33100L11swap_kernelIfiEEvT0_PT_S2_S4_S2_.has_dyn_sized_stack, 0
	.set _ZN9rocsolver6v33100L11swap_kernelIfiEEvT0_PT_S2_S4_S2_.has_recursion, 0
	.set _ZN9rocsolver6v33100L11swap_kernelIfiEEvT0_PT_S2_S4_S2_.has_indirect_call, 0
	.section	.AMDGPU.csdata,"",@progbits
; Kernel info:
; codeLenInByte = 500
; TotalNumSgprs: 18
; NumVgprs: 9
; ScratchSize: 0
; MemoryBound: 0
; FloatMode: 240
; IeeeMode: 1
; LDSByteSize: 0 bytes/workgroup (compile time only)
; SGPRBlocks: 0
; VGPRBlocks: 0
; NumSGPRsForWavesPerEU: 18
; NumVGPRsForWavesPerEU: 9
; NamedBarCnt: 0
; Occupancy: 16
; WaveLimiterHint : 0
; COMPUTE_PGM_RSRC2:SCRATCH_EN: 0
; COMPUTE_PGM_RSRC2:USER_SGPR: 2
; COMPUTE_PGM_RSRC2:TRAP_HANDLER: 0
; COMPUTE_PGM_RSRC2:TGID_X_EN: 1
; COMPUTE_PGM_RSRC2:TGID_Y_EN: 0
; COMPUTE_PGM_RSRC2:TGID_Z_EN: 0
; COMPUTE_PGM_RSRC2:TIDIG_COMP_CNT: 0
	.section	.text._ZN9rocsolver6v33100L10rot_kernelIffiEEvT1_PT0_S2_S4_S2_T_S5_,"axG",@progbits,_ZN9rocsolver6v33100L10rot_kernelIffiEEvT1_PT0_S2_S4_S2_T_S5_,comdat
	.globl	_ZN9rocsolver6v33100L10rot_kernelIffiEEvT1_PT0_S2_S4_S2_T_S5_ ; -- Begin function _ZN9rocsolver6v33100L10rot_kernelIffiEEvT1_PT0_S2_S4_S2_T_S5_
	.p2align	8
	.type	_ZN9rocsolver6v33100L10rot_kernelIffiEEvT1_PT0_S2_S4_S2_T_S5_,@function
_ZN9rocsolver6v33100L10rot_kernelIffiEEvT1_PT0_S2_S4_S2_T_S5_: ; @_ZN9rocsolver6v33100L10rot_kernelIffiEEvT1_PT0_S2_S4_S2_T_S5_
; %bb.0:
	s_load_b32 s11, s[0:1], 0x0
	s_wait_kmcnt 0x0
	s_cmp_lt_i32 s11, 1
	s_cbranch_scc1 .LBB25_10
; %bb.1:
	s_clause 0x2
	s_load_b32 s2, s[0:1], 0x3c
	s_load_b96 s[4:6], s[0:1], 0x8
	s_load_b96 s[8:10], s[0:1], 0x20
	s_bfe_u32 s3, ttmp6, 0x4000c
	s_and_b32 s12, ttmp6, 15
	s_add_co_i32 s3, s3, 1
	s_load_b32 s7, s[0:1], 0x30
	s_mul_i32 s3, ttmp9, s3
	s_getreg_b32 s13, hwreg(HW_REG_IB_STS2, 6, 4)
	s_add_co_i32 s12, s12, s3
	s_wait_kmcnt 0x0
	s_and_b32 s14, s2, 0xffff
	s_cmp_eq_u32 s13, 0
	s_load_b64 s[2:3], s[0:1], 0x18
	s_wait_xcnt 0x0
	s_cselect_b32 s0, ttmp9, s12
	s_cmp_eq_u32 s6, 1
	v_mad_u32 v0, s0, s14, v0
	s_cselect_b32 s0, -1, 0
	s_cmp_eq_u32 s8, 1
	s_mul_i32 s12, s7, s14
	s_cselect_b32 s1, -1, 0
	s_delay_alu instid0(SALU_CYCLE_1) | instskip(NEXT) | instid1(SALU_CYCLE_1)
	s_and_b32 s1, s0, s1
	s_and_b32 vcc_lo, exec_lo, s1
	s_mov_b32 s1, -1
	s_delay_alu instid0(VALU_DEP_1)
	v_cmp_gt_i32_e64 s0, s11, v0
	s_cbranch_vccnz .LBB25_6
; %bb.2:
	s_and_saveexec_b32 s1, s0
	s_cbranch_execz .LBB25_5
; %bb.3:
	v_ashrrev_i32_e32 v1, 31, v0
	s_ashr_i32 s7, s6, 31
	s_ashr_i32 s15, s8, 31
	s_mov_b32 s14, s8
	s_mov_b32 s16, s9
	v_mul_u64_e32 v[4:5], s[14:15], v[0:1]
	v_mul_u64_e32 v[6:7], s[6:7], v[0:1]
	s_mov_b32 s17, s10
	s_ashr_i32 s13, s12, 31
	v_mov_b64_e32 v[2:3], s[16:17]
	v_mov_b32_e32 v1, v0
	s_mul_u64 s[14:15], s[14:15], s[12:13]
	s_mul_u64 s[18:19], s[6:7], s[12:13]
	s_lshl_b64 s[6:7], s[14:15], 2
	s_lshl_b64 s[14:15], s[18:19], 2
	s_mov_b32 s8, 0
	s_wait_kmcnt 0x0
	s_delay_alu instid0(VALU_DEP_4) | instskip(NEXT) | instid1(VALU_DEP_4)
	v_lshl_add_u64 v[4:5], v[4:5], 2, s[2:3]
	v_lshl_add_u64 v[6:7], v[6:7], 2, s[4:5]
.LBB25_4:                               ; =>This Inner Loop Header: Depth=1
	global_load_b32 v9, v[4:5], off
	global_load_b32 v8, v[6:7], off
	s_wait_loadcnt 0x0
	v_dual_mov_b32 v10, v9 :: v_dual_mov_b32 v11, v8
	v_pk_mul_f32 v[8:9], v[2:3], v[8:9]
	s_delay_alu instid0(VALU_DEP_2) | instskip(SKIP_1) | instid1(VALU_DEP_2)
	v_pk_mul_f32 v[10:11], v[2:3], v[10:11]
	v_add_nc_u32_e32 v1, s12, v1
	v_dual_add_f32 v8, v8, v9 :: v_dual_sub_f32 v10, v10, v11
	s_delay_alu instid0(VALU_DEP_2)
	v_cmp_le_i32_e32 vcc_lo, s11, v1
	global_store_b32 v[4:5], v10, off
	global_store_b32 v[6:7], v8, off
	s_wait_xcnt 0x1
	v_add_nc_u64_e32 v[4:5], s[6:7], v[4:5]
	s_wait_xcnt 0x0
	v_add_nc_u64_e32 v[6:7], s[14:15], v[6:7]
	s_or_b32 s8, vcc_lo, s8
	s_delay_alu instid0(SALU_CYCLE_1)
	s_and_not1_b32 exec_lo, exec_lo, s8
	s_cbranch_execnz .LBB25_4
.LBB25_5:
	s_or_b32 exec_lo, exec_lo, s1
	s_mov_b32 s1, 0
.LBB25_6:
	s_delay_alu instid0(SALU_CYCLE_1)
	s_and_not1_b32 vcc_lo, exec_lo, s1
	s_cbranch_vccnz .LBB25_10
; %bb.7:
	s_and_saveexec_b32 s1, s0
	s_cbranch_execz .LBB25_10
; %bb.8:
	v_ashrrev_i32_e32 v1, 31, v0
	s_mov_b32 s0, s9
	s_mov_b32 s1, s10
	s_ashr_i32 s13, s12, 31
	v_mov_b64_e32 v[4:5], s[0:1]
	v_lshlrev_b64_e32 v[2:3], 2, v[0:1]
	s_lshl_b64 s[0:1], s[12:13], 2
	s_mov_b32 s6, 0
.LBB25_9:                               ; =>This Inner Loop Header: Depth=1
	s_wait_kmcnt 0x0
	s_delay_alu instid0(VALU_DEP_1)
	v_add_nc_u64_e32 v[6:7], s[2:3], v[2:3]
	v_add_nc_u64_e32 v[8:9], s[4:5], v[2:3]
	;; [unrolled: 1-line block ×3, first 2 shown]
	global_load_b32 v11, v[6:7], off
	global_load_b32 v10, v[8:9], off
	s_wait_loadcnt 0x0
	v_dual_mov_b32 v12, v11 :: v_dual_mov_b32 v13, v10
	v_pk_mul_f32 v[10:11], v[4:5], v[10:11]
	v_add_nc_u32_e32 v0, s12, v0
	s_delay_alu instid0(VALU_DEP_3) | instskip(NEXT) | instid1(VALU_DEP_3)
	v_pk_mul_f32 v[12:13], v[4:5], v[12:13]
	v_add_f32_e32 v1, v10, v11
	s_delay_alu instid0(VALU_DEP_3) | instskip(NEXT) | instid1(VALU_DEP_3)
	v_cmp_le_i32_e32 vcc_lo, s11, v0
	v_sub_f32_e32 v10, v12, v13
	global_store_b32 v[6:7], v10, off
	global_store_b32 v[8:9], v1, off
	s_or_b32 s6, vcc_lo, s6
	s_wait_xcnt 0x0
	s_and_not1_b32 exec_lo, exec_lo, s6
	s_cbranch_execnz .LBB25_9
.LBB25_10:
	s_endpgm
	.section	.rodata,"a",@progbits
	.p2align	6, 0x0
	.amdhsa_kernel _ZN9rocsolver6v33100L10rot_kernelIffiEEvT1_PT0_S2_S4_S2_T_S5_
		.amdhsa_group_segment_fixed_size 0
		.amdhsa_private_segment_fixed_size 0
		.amdhsa_kernarg_size 304
		.amdhsa_user_sgpr_count 2
		.amdhsa_user_sgpr_dispatch_ptr 0
		.amdhsa_user_sgpr_queue_ptr 0
		.amdhsa_user_sgpr_kernarg_segment_ptr 1
		.amdhsa_user_sgpr_dispatch_id 0
		.amdhsa_user_sgpr_kernarg_preload_length 0
		.amdhsa_user_sgpr_kernarg_preload_offset 0
		.amdhsa_user_sgpr_private_segment_size 0
		.amdhsa_wavefront_size32 1
		.amdhsa_uses_dynamic_stack 0
		.amdhsa_enable_private_segment 0
		.amdhsa_system_sgpr_workgroup_id_x 1
		.amdhsa_system_sgpr_workgroup_id_y 0
		.amdhsa_system_sgpr_workgroup_id_z 0
		.amdhsa_system_sgpr_workgroup_info 0
		.amdhsa_system_vgpr_workitem_id 0
		.amdhsa_next_free_vgpr 14
		.amdhsa_next_free_sgpr 20
		.amdhsa_named_barrier_count 0
		.amdhsa_reserve_vcc 1
		.amdhsa_float_round_mode_32 0
		.amdhsa_float_round_mode_16_64 0
		.amdhsa_float_denorm_mode_32 3
		.amdhsa_float_denorm_mode_16_64 3
		.amdhsa_fp16_overflow 0
		.amdhsa_memory_ordered 1
		.amdhsa_forward_progress 1
		.amdhsa_inst_pref_size 5
		.amdhsa_round_robin_scheduling 0
		.amdhsa_exception_fp_ieee_invalid_op 0
		.amdhsa_exception_fp_denorm_src 0
		.amdhsa_exception_fp_ieee_div_zero 0
		.amdhsa_exception_fp_ieee_overflow 0
		.amdhsa_exception_fp_ieee_underflow 0
		.amdhsa_exception_fp_ieee_inexact 0
		.amdhsa_exception_int_div_zero 0
	.end_amdhsa_kernel
	.section	.text._ZN9rocsolver6v33100L10rot_kernelIffiEEvT1_PT0_S2_S4_S2_T_S5_,"axG",@progbits,_ZN9rocsolver6v33100L10rot_kernelIffiEEvT1_PT0_S2_S4_S2_T_S5_,comdat
.Lfunc_end25:
	.size	_ZN9rocsolver6v33100L10rot_kernelIffiEEvT1_PT0_S2_S4_S2_T_S5_, .Lfunc_end25-_ZN9rocsolver6v33100L10rot_kernelIffiEEvT1_PT0_S2_S4_S2_T_S5_
                                        ; -- End function
	.set _ZN9rocsolver6v33100L10rot_kernelIffiEEvT1_PT0_S2_S4_S2_T_S5_.num_vgpr, 14
	.set _ZN9rocsolver6v33100L10rot_kernelIffiEEvT1_PT0_S2_S4_S2_T_S5_.num_agpr, 0
	.set _ZN9rocsolver6v33100L10rot_kernelIffiEEvT1_PT0_S2_S4_S2_T_S5_.numbered_sgpr, 20
	.set _ZN9rocsolver6v33100L10rot_kernelIffiEEvT1_PT0_S2_S4_S2_T_S5_.num_named_barrier, 0
	.set _ZN9rocsolver6v33100L10rot_kernelIffiEEvT1_PT0_S2_S4_S2_T_S5_.private_seg_size, 0
	.set _ZN9rocsolver6v33100L10rot_kernelIffiEEvT1_PT0_S2_S4_S2_T_S5_.uses_vcc, 1
	.set _ZN9rocsolver6v33100L10rot_kernelIffiEEvT1_PT0_S2_S4_S2_T_S5_.uses_flat_scratch, 0
	.set _ZN9rocsolver6v33100L10rot_kernelIffiEEvT1_PT0_S2_S4_S2_T_S5_.has_dyn_sized_stack, 0
	.set _ZN9rocsolver6v33100L10rot_kernelIffiEEvT1_PT0_S2_S4_S2_T_S5_.has_recursion, 0
	.set _ZN9rocsolver6v33100L10rot_kernelIffiEEvT1_PT0_S2_S4_S2_T_S5_.has_indirect_call, 0
	.section	.AMDGPU.csdata,"",@progbits
; Kernel info:
; codeLenInByte = 608
; TotalNumSgprs: 22
; NumVgprs: 14
; ScratchSize: 0
; MemoryBound: 0
; FloatMode: 240
; IeeeMode: 1
; LDSByteSize: 0 bytes/workgroup (compile time only)
; SGPRBlocks: 0
; VGPRBlocks: 0
; NumSGPRsForWavesPerEU: 22
; NumVGPRsForWavesPerEU: 14
; NamedBarCnt: 0
; Occupancy: 16
; WaveLimiterHint : 0
; COMPUTE_PGM_RSRC2:SCRATCH_EN: 0
; COMPUTE_PGM_RSRC2:USER_SGPR: 2
; COMPUTE_PGM_RSRC2:TRAP_HANDLER: 0
; COMPUTE_PGM_RSRC2:TGID_X_EN: 1
; COMPUTE_PGM_RSRC2:TGID_Y_EN: 0
; COMPUTE_PGM_RSRC2:TGID_Z_EN: 0
; COMPUTE_PGM_RSRC2:TIDIG_COMP_CNT: 0
	.section	.text._ZN9rocsolver6v33100L11lasr_kernelIffPfiEEv13rocblas_side_14rocblas_pivot_15rocblas_direct_T2_S6_PT0_lS8_lT1_lS6_lS6_,"axG",@progbits,_ZN9rocsolver6v33100L11lasr_kernelIffPfiEEv13rocblas_side_14rocblas_pivot_15rocblas_direct_T2_S6_PT0_lS8_lT1_lS6_lS6_,comdat
	.globl	_ZN9rocsolver6v33100L11lasr_kernelIffPfiEEv13rocblas_side_14rocblas_pivot_15rocblas_direct_T2_S6_PT0_lS8_lT1_lS6_lS6_ ; -- Begin function _ZN9rocsolver6v33100L11lasr_kernelIffPfiEEv13rocblas_side_14rocblas_pivot_15rocblas_direct_T2_S6_PT0_lS8_lT1_lS6_lS6_
	.p2align	8
	.type	_ZN9rocsolver6v33100L11lasr_kernelIffPfiEEv13rocblas_side_14rocblas_pivot_15rocblas_direct_T2_S6_PT0_lS8_lT1_lS6_lS6_,@function
_ZN9rocsolver6v33100L11lasr_kernelIffPfiEEv13rocblas_side_14rocblas_pivot_15rocblas_direct_T2_S6_PT0_lS8_lT1_lS6_lS6_: ; @_ZN9rocsolver6v33100L11lasr_kernelIffPfiEEv13rocblas_side_14rocblas_pivot_15rocblas_direct_T2_S6_PT0_lS8_lT1_lS6_lS6_
; %bb.0:
	s_load_b32 s33, s[0:1], 0x58
	s_bfe_u32 s2, ttmp6, 0x40014
	s_lshr_b32 s3, ttmp7, 16
	s_add_co_i32 s2, s2, 1
	s_bfe_u32 s5, ttmp6, 0x40008
	s_mul_i32 s2, s3, s2
	s_getreg_b32 s4, hwreg(HW_REG_IB_STS2, 6, 4)
	s_add_co_i32 s5, s5, s2
	s_cmp_eq_u32 s4, 0
	s_cselect_b32 s2, s3, s5
	s_mov_b32 s3, 0
	s_wait_kmcnt 0x0
	s_cmp_ge_u32 s2, s33
	s_cbranch_scc1 .LBB26_108
; %bb.1:
	s_clause 0x3
	s_load_b32 s20, s[0:1], 0x48
	s_load_b64 s[22:23], s[0:1], 0x68
	s_load_b128 s[16:19], s[0:1], 0x38
	s_load_b128 s[12:15], s[0:1], 0x0
	s_bfe_u32 s5, ttmp6, 0x4000c
	s_and_b32 s6, ttmp6, 15
	s_add_co_i32 s5, s5, 1
	s_load_b32 s24, s[0:1], 0x60
	s_mul_i32 s5, ttmp9, s5
	s_mov_b32 s37, s3
	s_add_co_i32 s6, s6, s5
	s_mov_b32 s49, s3
	s_wait_kmcnt 0x0
	s_ashr_i32 s21, s20, 31
	s_and_b32 s25, s23, 0xffff
	s_cmp_eq_u32 s4, 0
	s_load_b32 s23, s[0:1], 0x10
	s_cselect_b32 s26, ttmp9, s6
	s_lshl_b64 s[46:47], s[18:19], 2
	v_mad_u32 v0, s26, s25, v0
	s_cmp_eq_u32 s12, 0x8d
	s_load_b64 s[18:19], s[0:1], 0x50
	s_cselect_b32 s27, -1, 0
	s_cmp_eq_u32 s12, 0x8e
	s_load_b256 s[4:11], s[0:1], 0x18
	s_cselect_b32 s28, -1, 0
	s_cmp_eq_u32 s13, 0x119
	s_mul_i32 s12, s24, s25
	s_cselect_b32 s29, -1, 0
	s_cmp_eq_u32 s13, 0x11b
	v_ashrrev_i32_e32 v1, 31, v0
	s_wait_xcnt 0x0
	s_cselect_b32 s0, -1, 0
	s_cmp_eq_u32 s13, 0x11a
	s_add_nc_u64 s[24:25], s[16:17], s[46:47]
	s_cselect_b32 s1, -1, 0
	v_mul_u64_e32 v[8:9], s[20:21], v[0:1]
	s_cmp_eq_u32 s14, 0xab
	v_lshlrev_b64_e32 v[10:11], 2, v[0:1]
	s_cselect_b32 s13, -1, 0
	s_cmp_eq_u32 s14, 0xac
	v_mov_b32_e32 v1, 0
	s_cselect_b32 s30, -1, 0
	s_and_b32 s26, s27, s1
	s_and_b32 s14, s27, s29
	s_and_b32 s35, s26, s13
	s_and_b32 s26, s26, s30
	s_and_b32 s31, s14, s13
	s_and_b32 s27, s27, s0
	s_xor_b32 s78, s26, -1
	s_and_b32 s26, s28, s29
	s_and_b32 s1, s28, s1
	s_and_b32 s28, s28, s0
	v_cmp_gt_i32_e64 s0, s15, v0
	s_and_b32 s34, s14, s30
	s_xor_b32 s14, s31, -1
	s_and_b32 s31, s27, s13
	s_and_b32 s27, s27, s30
	;; [unrolled: 1-line block ×3, first 2 shown]
	s_xor_b32 s80, s27, -1
	s_and_b32 s26, s26, s30
	s_and_b32 s27, s1, s13
	;; [unrolled: 1-line block ×3, first 2 shown]
	s_xor_b32 s82, s26, -1
	s_and_b32 s13, s28, s13
	s_xor_b32 s84, s1, -1
	s_wait_kmcnt 0x0
	s_add_co_i32 s26, s23, -1
	s_and_b32 s1, s30, s0
	s_xor_b32 s76, s34, -1
	s_xor_b32 s77, s35, -1
	;; [unrolled: 1-line block ×6, first 2 shown]
	s_ashr_i32 s27, s26, 31
	s_and_b32 s86, s28, s1
	s_add_co_i32 s36, s23, -2
	s_cmp_gt_i32 s23, 1
	s_mul_u64 s[28:29], s[20:21], s[26:27]
	s_mov_b32 s27, s3
	s_cselect_b32 s87, -1, 0
	s_ashr_i32 s31, s15, 31
	s_add_co_i32 s48, s15, -2
	s_cmp_gt_i32 s15, 1
	s_mul_u64 s[50:51], s[20:21], s[26:27]
	s_cselect_b32 s88, -1, 0
	s_lshl_b64 s[50:51], s[50:51], 2
	s_lshl_b64 s[42:43], s[20:21], 2
	s_add_nc_u64 s[50:51], s[50:51], s[46:47]
	s_lshl_b64 s[38:39], s[36:37], 2
	s_mul_u64 s[36:37], s[20:21], s[36:37]
	s_add_nc_u64 s[50:51], s[16:17], s[50:51]
	s_add_nc_u64 s[52:53], s[46:47], s[42:43]
	s_lshl_b64 s[36:37], s[36:37], 2
	v_add_nc_u64_e32 v[6:7], s[50:51], v[10:11]
	s_add_nc_u64 s[50:51], s[16:17], s[52:53]
	v_lshl_add_u64 v[14:15], v[8:9], 2, s[46:47]
	s_add_nc_u64 s[40:41], s[36:37], s[46:47]
	v_add_nc_u64_e32 v[8:9], s[50:51], v[10:11]
	s_lshl_b64 s[50:51], s[48:49], 2
	s_add_nc_u64 s[34:35], s[4:5], s[38:39]
	s_add_nc_u64 s[36:37], s[8:9], s[38:39]
	;; [unrolled: 1-line block ×4, first 2 shown]
	v_add_nc_u64_e32 v[2:3], s[38:39], v[10:11]
	v_add_nc_u64_e32 v[4:5], s[24:25], v[10:11]
	v_add_nc_u64_e32 v[10:11], s[16:17], v[14:15]
	v_add_nc_u64_e32 v[12:13], s[48:49], v[14:15]
	s_add_co_i32 s46, s15, -1
	s_mov_b32 s47, s3
	s_ashr_i32 s13, s12, 31
	s_lshl_b64 s[52:53], s[46:47], 2
	v_cmp_gt_i32_e64 s1, s23, v0
	s_add_nc_u64 s[16:17], s[16:17], s[52:53]
	v_add_nc_u64_e32 v[16:17], 4, v[10:11]
	v_add_nc_u64_e32 v[14:15], s[16:17], v[14:15]
	;; [unrolled: 1-line block ×3, first 2 shown]
	s_mul_u64 s[52:53], s[20:21], s[12:13]
	s_mov_b32 s30, s15
	s_lshl_b64 s[6:7], s[6:7], 2
	s_lshl_b64 s[10:11], s[10:11], 2
	;; [unrolled: 1-line block ×4, first 2 shown]
	s_sub_nc_u64 s[44:45], 0, s[42:43]
	s_add_co_i32 s27, s23, 1
	s_add_nc_u64 s[48:49], s[4:5], s[50:51]
	s_add_nc_u64 s[16:17], s[8:9], s[50:51]
	s_lshl_b64 s[50:51], s[52:53], 2
	s_add_co_i32 s13, s15, 1
	s_branch .LBB26_4
.LBB26_2:                               ;   in Loop: Header=BB26_4 Depth=1
	s_or_b32 exec_lo, exec_lo, s47
.LBB26_3:                               ;   in Loop: Header=BB26_4 Depth=1
	s_add_co_i32 s2, s2, s22
	s_delay_alu instid0(SALU_CYCLE_1)
	s_cmp_ge_u32 s2, s33
	s_cbranch_scc1 .LBB26_108
.LBB26_4:                               ; =>This Loop Header: Depth=1
                                        ;     Child Loop BB26_19 Depth 2
                                        ;       Child Loop BB26_20 Depth 3
                                        ;     Child Loop BB26_26 Depth 2
                                        ;       Child Loop BB26_27 Depth 3
	;; [unrolled: 2-line block ×12, first 2 shown]
	s_mul_u64 s[62:63], s[38:39], s[2:3]
	s_mul_u64 s[54:55], s[18:19], s[2:3]
	v_add_nc_u64_e32 v[20:21], s[62:63], v[16:17]
	s_mul_u64 s[64:65], s[6:7], s[2:3]
	s_mul_u64 s[66:67], s[10:11], s[2:3]
	s_lshl_b64 s[56:57], s[54:55], 2
	s_add_nc_u64 s[52:53], s[4:5], s[64:65]
	s_add_nc_u64 s[54:55], s[8:9], s[66:67]
	;; [unrolled: 1-line block ×3, first 2 shown]
	s_and_b32 vcc_lo, exec_lo, s14
	s_mov_b32 s47, -1
	s_cbranch_vccnz .LBB26_6
; %bb.5:                                ;   in Loop: Header=BB26_4 Depth=1
	s_and_not1_b32 vcc_lo, exec_lo, s47
	s_cbranch_vccnz .LBB26_3
	s_branch .LBB26_103
.LBB26_6:                               ;   in Loop: Header=BB26_4 Depth=1
	s_add_nc_u64 s[58:59], s[48:49], s[64:65]
	s_add_nc_u64 s[60:61], s[16:17], s[66:67]
	s_and_b32 vcc_lo, exec_lo, s76
	s_cbranch_vccz .LBB26_95
; %bb.7:                                ;   in Loop: Header=BB26_4 Depth=1
	s_and_b32 vcc_lo, exec_lo, s77
	s_cbranch_vccz .LBB26_87
; %bb.8:                                ;   in Loop: Header=BB26_4 Depth=1
	s_and_b32 vcc_lo, exec_lo, s78
	s_cbranch_vccz .LBB26_79
; %bb.9:                                ;   in Loop: Header=BB26_4 Depth=1
	s_and_b32 vcc_lo, exec_lo, s79
	s_cbranch_vccz .LBB26_71
; %bb.10:                               ;   in Loop: Header=BB26_4 Depth=1
	s_and_b32 vcc_lo, exec_lo, s80
	s_cbranch_vccz .LBB26_63
; %bb.11:                               ;   in Loop: Header=BB26_4 Depth=1
	v_add_nc_u64_e32 v[22:23], s[62:63], v[4:5]
	s_and_b32 vcc_lo, exec_lo, s81
	s_cbranch_vccz .LBB26_55
; %bb.12:                               ;   in Loop: Header=BB26_4 Depth=1
	v_add_nc_u64_e32 v[24:25], s[62:63], v[6:7]
	v_add_nc_u64_e32 v[26:27], s[62:63], v[2:3]
	s_add_nc_u64 s[64:65], s[34:35], s[64:65]
	s_add_nc_u64 s[66:67], s[36:37], s[66:67]
	s_and_b32 vcc_lo, exec_lo, s82
	s_cbranch_vccz .LBB26_46
; %bb.13:                               ;   in Loop: Header=BB26_4 Depth=1
	s_and_b32 vcc_lo, exec_lo, s83
	s_cbranch_vccz .LBB26_38
; %bb.14:                               ;   in Loop: Header=BB26_4 Depth=1
	;; [unrolled: 3-line block ×4, first 2 shown]
	s_and_saveexec_b32 s47, s86
	s_cbranch_execz .LBB26_21
; %bb.17:                               ;   in Loop: Header=BB26_4 Depth=1
	v_mov_b64_e32 v[28:29], v[26:27]
	v_mov_b32_e32 v30, v0
	s_lshl_b64 s[68:69], s[28:29], 2
	s_mov_b32 s74, 0
	s_add_nc_u64 s[68:69], s[56:57], s[68:69]
	s_branch .LBB26_19
.LBB26_18:                              ;   in Loop: Header=BB26_19 Depth=2
	v_ashrrev_i32_e32 v31, 31, v30
	v_add_nc_u64_e32 v[28:29], s[40:41], v[28:29]
	s_delay_alu instid0(VALU_DEP_2)
	v_lshl_add_u64 v[34:35], v[30:31], 2, s[68:69]
	s_wait_xcnt 0x0
	v_add_nc_u32_e32 v30, s12, v30
	s_wait_loadcnt 0x0
	global_store_b32 v[34:35], v32, off
	v_cmp_le_i32_e32 vcc_lo, s15, v30
	s_or_b32 s74, vcc_lo, s74
	s_wait_xcnt 0x0
	s_and_not1_b32 exec_lo, exec_lo, s74
	s_cbranch_execz .LBB26_21
.LBB26_19:                              ;   Parent Loop BB26_4 Depth=1
                                        ; =>  This Loop Header: Depth=2
                                        ;       Child Loop BB26_20 Depth 3
	global_load_b32 v32, v30, s[68:69] scale_offset
	v_mov_b64_e32 v[34:35], v[28:29]
	s_and_not1_b32 vcc_lo, exec_lo, s87
	s_mov_b64 s[70:71], s[66:67]
	s_mov_b64 s[72:73], s[64:65]
	s_mov_b32 s75, s26
	s_cbranch_vccnz .LBB26_18
.LBB26_20:                              ;   Parent Loop BB26_4 Depth=1
                                        ;     Parent Loop BB26_19 Depth=2
                                        ; =>    This Inner Loop Header: Depth=3
	s_clause 0x1
	global_load_b32 v33, v1, s[72:73]
	global_load_b32 v36, v1, s[70:71]
	global_load_b32 v37, v[34:35], off
	s_wait_loadcnt 0x3
	v_mov_b32_e32 v38, v32
	s_add_co_i32 s75, s75, -1
	s_wait_xcnt 0x2
	s_add_nc_u64 s[72:73], s[72:73], -4
	s_cmp_eq_u32 s75, 0
	s_wait_xcnt 0x1
	s_add_nc_u64 s[70:71], s[70:71], -4
	s_wait_loadcnt 0x1
	v_mov_b32_e32 v39, v36
	s_wait_loadcnt 0x0
	v_pk_mul_f32 v[40:41], v[32:33], v[36:37]
	s_delay_alu instid0(VALU_DEP_1) | instskip(NEXT) | instid1(VALU_DEP_1)
	v_dual_mov_b32 v36, v33 :: v_dual_add_f32 v31, v40, v41
	v_pk_mul_f32 v[32:33], v[38:39], v[36:37]
	global_store_b32 v[34:35], v31, off
	s_wait_xcnt 0x0
	v_add_nc_u64_e32 v[34:35], s[44:45], v[34:35]
	v_sub_f32_e32 v32, v32, v33
	s_cbranch_scc0 .LBB26_20
	s_branch .LBB26_18
.LBB26_21:                              ;   in Loop: Header=BB26_4 Depth=1
	s_or_b32 exec_lo, exec_lo, s47
	s_mov_b32 s47, 0
.LBB26_22:                              ;   in Loop: Header=BB26_4 Depth=1
	s_delay_alu instid0(SALU_CYCLE_1)
	s_and_not1_b32 vcc_lo, exec_lo, s47
	s_cbranch_vccnz .LBB26_29
; %bb.23:                               ;   in Loop: Header=BB26_4 Depth=1
	s_and_saveexec_b32 s47, s0
	s_cbranch_execz .LBB26_28
; %bb.24:                               ;   in Loop: Header=BB26_4 Depth=1
	v_mov_b64_e32 v[28:29], v[22:23]
	v_mov_b32_e32 v30, v0
	s_lshl_b64 s[68:69], s[28:29], 2
	s_mov_b32 s74, 0
	s_add_nc_u64 s[68:69], s[56:57], s[68:69]
	s_branch .LBB26_26
.LBB26_25:                              ;   in Loop: Header=BB26_26 Depth=2
	v_ashrrev_i32_e32 v31, 31, v30
	v_add_nc_u64_e32 v[28:29], s[40:41], v[28:29]
	s_delay_alu instid0(VALU_DEP_2)
	v_lshl_add_u64 v[34:35], v[30:31], 2, s[68:69]
	s_wait_xcnt 0x0
	v_add_nc_u32_e32 v30, s12, v30
	s_wait_loadcnt 0x0
	global_store_b32 v[34:35], v32, off
	v_cmp_le_i32_e32 vcc_lo, s15, v30
	s_or_b32 s74, vcc_lo, s74
	s_wait_xcnt 0x0
	s_and_not1_b32 exec_lo, exec_lo, s74
	s_cbranch_execz .LBB26_28
.LBB26_26:                              ;   Parent Loop BB26_4 Depth=1
                                        ; =>  This Loop Header: Depth=2
                                        ;       Child Loop BB26_27 Depth 3
	global_load_b32 v32, v30, s[68:69] scale_offset
	v_mov_b64_e32 v[34:35], v[28:29]
	s_and_not1_b32 vcc_lo, exec_lo, s87
	s_mov_b64 s[70:71], s[54:55]
	s_mov_b64 s[72:73], s[52:53]
	s_mov_b32 s75, s26
	s_cbranch_vccnz .LBB26_25
.LBB26_27:                              ;   Parent Loop BB26_4 Depth=1
                                        ;     Parent Loop BB26_26 Depth=2
                                        ; =>    This Inner Loop Header: Depth=3
	s_clause 0x1
	global_load_b32 v33, v1, s[72:73]
	global_load_b32 v36, v1, s[70:71]
	global_load_b32 v37, v[34:35], off
	s_wait_loadcnt 0x3
	v_mov_b32_e32 v38, v32
	s_add_co_i32 s75, s75, -1
	s_wait_xcnt 0x2
	s_add_nc_u64 s[72:73], s[72:73], 4
	s_cmp_eq_u32 s75, 0
	s_wait_xcnt 0x1
	s_add_nc_u64 s[70:71], s[70:71], 4
	s_wait_loadcnt 0x1
	v_mov_b32_e32 v39, v36
	s_wait_loadcnt 0x0
	v_pk_mul_f32 v[40:41], v[32:33], v[36:37]
	s_delay_alu instid0(VALU_DEP_1) | instskip(NEXT) | instid1(VALU_DEP_1)
	v_dual_mov_b32 v36, v33 :: v_dual_add_f32 v31, v40, v41
	v_pk_mul_f32 v[32:33], v[38:39], v[36:37]
	global_store_b32 v[34:35], v31, off
	s_wait_xcnt 0x0
	v_add_nc_u64_e32 v[34:35], s[42:43], v[34:35]
	v_sub_f32_e32 v32, v32, v33
	s_cbranch_scc0 .LBB26_27
	s_branch .LBB26_25
.LBB26_28:                              ;   in Loop: Header=BB26_4 Depth=1
	s_or_b32 exec_lo, exec_lo, s47
.LBB26_29:                              ;   in Loop: Header=BB26_4 Depth=1
	s_mov_b32 s47, 0
.LBB26_30:                              ;   in Loop: Header=BB26_4 Depth=1
	s_delay_alu instid0(SALU_CYCLE_1)
	s_and_not1_b32 vcc_lo, exec_lo, s47
	s_cbranch_vccnz .LBB26_37
; %bb.31:                               ;   in Loop: Header=BB26_4 Depth=1
	s_and_saveexec_b32 s47, s0
	s_cbranch_execz .LBB26_36
; %bb.32:                               ;   in Loop: Header=BB26_4 Depth=1
	v_mov_b64_e32 v[28:29], v[24:25]
	v_mov_b32_e32 v30, v0
	s_mov_b32 s72, 0
	s_branch .LBB26_34
.LBB26_33:                              ;   in Loop: Header=BB26_34 Depth=2
	v_ashrrev_i32_e32 v31, 31, v30
	v_add_nc_u64_e32 v[28:29], s[40:41], v[28:29]
	s_delay_alu instid0(VALU_DEP_2)
	v_lshl_add_u64 v[34:35], v[30:31], 2, s[56:57]
	s_wait_xcnt 0x0
	v_add_nc_u32_e32 v30, s12, v30
	s_wait_loadcnt 0x0
	global_store_b32 v[34:35], v33, off
	v_cmp_le_i32_e32 vcc_lo, s15, v30
	s_or_b32 s72, vcc_lo, s72
	s_wait_xcnt 0x0
	s_and_not1_b32 exec_lo, exec_lo, s72
	s_cbranch_execz .LBB26_36
.LBB26_34:                              ;   Parent Loop BB26_4 Depth=1
                                        ; =>  This Loop Header: Depth=2
                                        ;       Child Loop BB26_35 Depth 3
	global_load_b32 v33, v30, s[56:57] scale_offset
	v_mov_b64_e32 v[34:35], v[28:29]
	s_and_not1_b32 vcc_lo, exec_lo, s87
	s_mov_b64 s[68:69], s[66:67]
	s_mov_b64 s[70:71], s[64:65]
	s_mov_b32 s73, s27
	s_cbranch_vccnz .LBB26_33
.LBB26_35:                              ;   Parent Loop BB26_4 Depth=1
                                        ;     Parent Loop BB26_34 Depth=2
                                        ; =>    This Inner Loop Header: Depth=3
	s_clause 0x1
	global_load_b32 v32, v1, s[70:71]
	global_load_b32 v37, v1, s[68:69]
	global_load_b32 v36, v[34:35], off
	s_wait_loadcnt 0x3
	v_mov_b32_e32 v38, v33
	s_add_co_i32 s73, s73, -1
	s_wait_xcnt 0x2
	s_add_nc_u64 s[70:71], s[70:71], -4
	s_cmp_lt_u32 s73, 3
	s_wait_xcnt 0x1
	s_add_nc_u64 s[68:69], s[68:69], -4
	s_wait_loadcnt 0x1
	v_mov_b32_e32 v39, v37
	s_wait_loadcnt 0x0
	v_pk_mul_f32 v[40:41], v[32:33], v[36:37]
	v_mov_b32_e32 v33, v36
	s_delay_alu instid0(VALU_DEP_2) | instskip(NEXT) | instid1(VALU_DEP_2)
	v_sub_f32_e32 v31, v40, v41
	v_pk_mul_f32 v[32:33], v[38:39], v[32:33]
	global_store_b32 v[34:35], v31, off
	s_wait_xcnt 0x0
	v_add_nc_u64_e32 v[34:35], s[44:45], v[34:35]
	v_add_f32_e32 v33, v32, v33
	s_cbranch_scc0 .LBB26_35
	s_branch .LBB26_33
.LBB26_36:                              ;   in Loop: Header=BB26_4 Depth=1
	s_or_b32 exec_lo, exec_lo, s47
.LBB26_37:                              ;   in Loop: Header=BB26_4 Depth=1
	s_mov_b32 s47, 0
.LBB26_38:                              ;   in Loop: Header=BB26_4 Depth=1
	s_delay_alu instid0(SALU_CYCLE_1)
	s_and_not1_b32 vcc_lo, exec_lo, s47
	s_cbranch_vccnz .LBB26_45
; %bb.39:                               ;   in Loop: Header=BB26_4 Depth=1
	s_and_saveexec_b32 s47, s0
	s_cbranch_execz .LBB26_44
; %bb.40:                               ;   in Loop: Header=BB26_4 Depth=1
	v_add_nc_u64_e32 v[28:29], s[62:63], v[8:9]
	v_mov_b32_e32 v30, v0
	s_mov_b32 s72, 0
	s_branch .LBB26_42
.LBB26_41:                              ;   in Loop: Header=BB26_42 Depth=2
	v_ashrrev_i32_e32 v31, 31, v30
	v_add_nc_u64_e32 v[28:29], s[40:41], v[28:29]
	s_delay_alu instid0(VALU_DEP_2)
	v_lshl_add_u64 v[34:35], v[30:31], 2, s[56:57]
	s_wait_xcnt 0x0
	v_add_nc_u32_e32 v30, s12, v30
	s_wait_loadcnt 0x0
	global_store_b32 v[34:35], v33, off
	v_cmp_le_i32_e32 vcc_lo, s15, v30
	s_or_b32 s72, vcc_lo, s72
	s_wait_xcnt 0x0
	s_and_not1_b32 exec_lo, exec_lo, s72
	s_cbranch_execz .LBB26_44
.LBB26_42:                              ;   Parent Loop BB26_4 Depth=1
                                        ; =>  This Loop Header: Depth=2
                                        ;       Child Loop BB26_43 Depth 3
	global_load_b32 v33, v30, s[56:57] scale_offset
	v_mov_b64_e32 v[34:35], v[28:29]
	s_and_not1_b32 vcc_lo, exec_lo, s87
	s_mov_b32 s73, s26
	s_mov_b64 s[68:69], s[52:53]
	s_mov_b64 s[70:71], s[54:55]
	s_cbranch_vccnz .LBB26_41
.LBB26_43:                              ;   Parent Loop BB26_4 Depth=1
                                        ;     Parent Loop BB26_42 Depth=2
                                        ; =>    This Inner Loop Header: Depth=3
	s_clause 0x1
	global_load_b32 v32, v1, s[68:69]
	global_load_b32 v37, v1, s[70:71]
	global_load_b32 v36, v[34:35], off
	s_wait_loadcnt 0x3
	v_mov_b32_e32 v38, v33
	s_add_co_i32 s73, s73, -1
	s_wait_xcnt 0x1
	s_add_nc_u64 s[70:71], s[70:71], 4
	s_cmp_eq_u32 s73, 0
	s_add_nc_u64 s[68:69], s[68:69], 4
	s_wait_loadcnt 0x1
	v_mov_b32_e32 v39, v37
	s_wait_loadcnt 0x0
	v_pk_mul_f32 v[40:41], v[32:33], v[36:37]
	v_mov_b32_e32 v33, v36
	s_delay_alu instid0(VALU_DEP_2) | instskip(NEXT) | instid1(VALU_DEP_2)
	v_sub_f32_e32 v31, v40, v41
	v_pk_mul_f32 v[32:33], v[38:39], v[32:33]
	global_store_b32 v[34:35], v31, off
	s_wait_xcnt 0x0
	v_add_nc_u64_e32 v[34:35], s[42:43], v[34:35]
	v_add_f32_e32 v33, v32, v33
	s_cbranch_scc0 .LBB26_43
	s_branch .LBB26_41
.LBB26_44:                              ;   in Loop: Header=BB26_4 Depth=1
	s_or_b32 exec_lo, exec_lo, s47
.LBB26_45:                              ;   in Loop: Header=BB26_4 Depth=1
	s_mov_b32 s47, 0
.LBB26_46:                              ;   in Loop: Header=BB26_4 Depth=1
	s_delay_alu instid0(SALU_CYCLE_1)
	s_and_not1_b32 vcc_lo, exec_lo, s47
	s_cbranch_vccnz .LBB26_54
; %bb.47:                               ;   in Loop: Header=BB26_4 Depth=1
	s_and_saveexec_b32 s47, s0
	s_cbranch_execz .LBB26_53
; %bb.48:                               ;   in Loop: Header=BB26_4 Depth=1
	v_mov_b32_e32 v28, v0
	s_lshl_b64 s[68:69], s[28:29], 2
	s_mov_b32 s89, 0
	s_add_nc_u64 s[68:69], s[56:57], s[68:69]
	s_branch .LBB26_50
.LBB26_49:                              ;   in Loop: Header=BB26_50 Depth=2
	s_wait_xcnt 0x0
	v_ashrrev_i32_e32 v29, 31, v28
	v_add_nc_u64_e32 v[24:25], s[40:41], v[24:25]
	v_add_nc_u64_e32 v[26:27], s[40:41], v[26:27]
	s_delay_alu instid0(VALU_DEP_3)
	v_lshl_add_u64 v[32:33], v[28:29], 2, s[56:57]
	v_add_nc_u32_e32 v28, s12, v28
	s_wait_loadcnt 0x0
	global_store_b32 v[32:33], v30, off
	v_cmp_le_i32_e32 vcc_lo, s15, v28
	s_or_b32 s89, vcc_lo, s89
	s_wait_xcnt 0x0
	s_and_not1_b32 exec_lo, exec_lo, s89
	s_cbranch_execz .LBB26_53
.LBB26_50:                              ;   Parent Loop BB26_4 Depth=1
                                        ; =>  This Loop Header: Depth=2
                                        ;       Child Loop BB26_52 Depth 3
	global_load_b32 v30, v28, s[68:69] scale_offset
	s_and_not1_b32 vcc_lo, exec_lo, s87
	s_cbranch_vccnz .LBB26_49
; %bb.51:                               ;   in Loop: Header=BB26_50 Depth=2
	s_mov_b64 s[70:71], 0
	s_mov_b64 s[72:73], s[66:67]
	;; [unrolled: 1-line block ×3, first 2 shown]
	s_mov_b32 s90, s26
.LBB26_52:                              ;   Parent Loop BB26_4 Depth=1
                                        ;     Parent Loop BB26_50 Depth=2
                                        ; =>    This Inner Loop Header: Depth=3
	s_wait_xcnt 0x0
	v_add_nc_u64_e32 v[32:33], s[70:71], v[26:27]
	s_add_co_i32 s90, s90, -1
	s_clause 0x1
	global_load_b32 v34, v1, s[74:75]
	global_load_b32 v31, v1, s[72:73]
	global_load_b32 v35, v[32:33], off
	s_wait_loadcnt 0x3
	s_wait_xcnt 0x0
	v_mov_b32_e32 v32, v30
	s_add_nc_u64 s[74:75], s[74:75], -4
	s_cmp_eq_u32 s90, 0
	s_add_nc_u64 s[72:73], s[72:73], -4
	s_wait_loadcnt 0x2
	v_mov_b32_e32 v33, v34
	s_wait_loadcnt 0x0
	v_pk_mul_f32 v[36:37], v[30:31], v[34:35]
	s_delay_alu instid0(VALU_DEP_1) | instskip(NEXT) | instid1(VALU_DEP_1)
	v_dual_mov_b32 v34, v31 :: v_dual_sub_f32 v29, v36, v37
	v_pk_mul_f32 v[30:31], v[32:33], v[34:35]
	v_add_nc_u64_e32 v[32:33], s[70:71], v[24:25]
	s_sub_nc_u64 s[70:71], s[70:71], s[42:43]
	s_delay_alu instid0(VALU_DEP_2)
	v_add_f32_e32 v30, v30, v31
	global_store_b32 v[32:33], v29, off
	s_cbranch_scc0 .LBB26_52
	s_branch .LBB26_49
.LBB26_53:                              ;   in Loop: Header=BB26_4 Depth=1
	s_or_b32 exec_lo, exec_lo, s47
.LBB26_54:                              ;   in Loop: Header=BB26_4 Depth=1
	s_mov_b32 s47, 0
.LBB26_55:                              ;   in Loop: Header=BB26_4 Depth=1
	s_delay_alu instid0(SALU_CYCLE_1)
	s_and_not1_b32 vcc_lo, exec_lo, s47
	s_cbranch_vccnz .LBB26_62
; %bb.56:                               ;   in Loop: Header=BB26_4 Depth=1
	s_and_saveexec_b32 s47, s0
	s_cbranch_execz .LBB26_61
; %bb.57:                               ;   in Loop: Header=BB26_4 Depth=1
	v_mov_b32_e32 v24, v0
	s_lshl_b64 s[64:65], s[28:29], 2
	s_mov_b32 s70, 0
	s_add_nc_u64 s[64:65], s[56:57], s[64:65]
	s_branch .LBB26_59
.LBB26_58:                              ;   in Loop: Header=BB26_59 Depth=2
	v_ashrrev_i32_e32 v25, 31, v24
	v_add_nc_u64_e32 v[22:23], s[40:41], v[22:23]
	s_delay_alu instid0(VALU_DEP_2)
	v_lshl_add_u64 v[28:29], v[24:25], 2, s[64:65]
	s_wait_xcnt 0x0
	v_add_nc_u32_e32 v24, s12, v24
	s_wait_loadcnt 0x0
	global_store_b32 v[28:29], v26, off
	v_cmp_le_i32_e32 vcc_lo, s15, v24
	s_or_b32 s70, vcc_lo, s70
	s_wait_xcnt 0x0
	s_and_not1_b32 exec_lo, exec_lo, s70
	s_cbranch_execz .LBB26_61
.LBB26_59:                              ;   Parent Loop BB26_4 Depth=1
                                        ; =>  This Loop Header: Depth=2
                                        ;       Child Loop BB26_60 Depth 3
	global_load_b32 v26, v24, s[56:57] scale_offset
	v_mov_b64_e32 v[28:29], v[22:23]
	s_and_not1_b32 vcc_lo, exec_lo, s87
	s_mov_b64 s[66:67], s[54:55]
	s_mov_b64 s[68:69], s[52:53]
	s_mov_b32 s71, s26
	s_cbranch_vccnz .LBB26_58
.LBB26_60:                              ;   Parent Loop BB26_4 Depth=1
                                        ;     Parent Loop BB26_59 Depth=2
                                        ; =>    This Inner Loop Header: Depth=3
	s_delay_alu instid0(VALU_DEP_1)
	v_add_nc_u64_e32 v[30:31], s[42:43], v[28:29]
	s_add_co_i32 s71, s71, -1
	s_clause 0x1
	global_load_b32 v32, v1, s[68:69]
	global_load_b32 v27, v1, s[66:67]
	global_load_b32 v33, v[30:31], off
	s_wait_loadcnt 0x3
	v_mov_b32_e32 v35, v26
	s_wait_xcnt 0x2
	s_add_nc_u64 s[68:69], s[68:69], 4
	s_cmp_eq_u32 s71, 0
	s_wait_xcnt 0x1
	s_add_nc_u64 s[66:67], s[66:67], 4
	s_wait_loadcnt 0x2
	v_mov_b32_e32 v34, v32
	s_wait_loadcnt 0x0
	v_pk_mul_f32 v[36:37], v[26:27], v[32:33]
	s_delay_alu instid0(VALU_DEP_1) | instskip(NEXT) | instid1(VALU_DEP_1)
	v_dual_mov_b32 v26, v33 :: v_dual_add_f32 v25, v36, v37
	v_pk_mul_f32 v[26:27], v[34:35], v[26:27]
	global_store_b32 v[28:29], v25, off
	s_wait_xcnt 0x0
	v_mov_b64_e32 v[28:29], v[30:31]
	v_sub_f32_e32 v26, v26, v27
	s_cbranch_scc0 .LBB26_60
	s_branch .LBB26_58
.LBB26_61:                              ;   in Loop: Header=BB26_4 Depth=1
	s_or_b32 exec_lo, exec_lo, s47
.LBB26_62:                              ;   in Loop: Header=BB26_4 Depth=1
	s_mov_b32 s47, 0
.LBB26_63:                              ;   in Loop: Header=BB26_4 Depth=1
	s_delay_alu instid0(SALU_CYCLE_1)
	s_and_not1_b32 vcc_lo, exec_lo, s47
	s_cbranch_vccnz .LBB26_70
; %bb.64:                               ;   in Loop: Header=BB26_4 Depth=1
	s_and_saveexec_b32 s47, s1
	s_cbranch_execz .LBB26_69
; %bb.65:                               ;   in Loop: Header=BB26_4 Depth=1
	v_add_nc_u64_e32 v[22:23], s[62:63], v[12:13]
	v_mov_b32_e32 v24, v0
	s_lshl_b64 s[64:65], s[30:31], 2
	s_mov_b32 s70, 0
	s_add_nc_u64 s[64:65], s[56:57], s[64:65]
	s_branch .LBB26_67
.LBB26_66:                              ;   in Loop: Header=BB26_67 Depth=2
	v_add_nc_u32_e32 v24, s12, v24
	v_add_nc_u64_e32 v[22:23], s[50:51], v[22:23]
	s_wait_loadcnt 0x0
	global_store_b32 v[26:27], v28, off offset:-4
	v_cmp_le_i32_e32 vcc_lo, s23, v24
	s_or_b32 s70, vcc_lo, s70
	s_wait_xcnt 0x0
	s_and_not1_b32 exec_lo, exec_lo, s70
	s_cbranch_execz .LBB26_69
.LBB26_67:                              ;   Parent Loop BB26_4 Depth=1
                                        ; =>  This Loop Header: Depth=2
                                        ;       Child Loop BB26_68 Depth 3
	v_ashrrev_i32_e32 v25, 31, v24
	v_mov_b64_e32 v[30:31], v[22:23]
	s_and_not1_b32 vcc_lo, exec_lo, s88
	s_mov_b64 s[66:67], s[60:61]
	s_mov_b64 s[68:69], s[58:59]
	v_mul_u64_e32 v[26:27], s[20:21], v[24:25]
	s_mov_b32 s71, s46
	s_delay_alu instid0(VALU_DEP_1)
	v_lshl_add_u64 v[26:27], v[26:27], 2, s[64:65]
	global_load_b32 v28, v[26:27], off offset:-4
	s_cbranch_vccnz .LBB26_66
.LBB26_68:                              ;   Parent Loop BB26_4 Depth=1
                                        ;     Parent Loop BB26_67 Depth=2
                                        ; =>    This Inner Loop Header: Depth=3
	s_clause 0x1
	global_load_b32 v29, v1, s[68:69]
	global_load_b32 v32, v1, s[66:67]
	global_load_b32 v33, v[30:31], off
	s_wait_loadcnt 0x3
	v_mov_b32_e32 v34, v28
	s_add_co_i32 s71, s71, -1
	s_wait_xcnt 0x2
	s_add_nc_u64 s[68:69], s[68:69], -4
	s_cmp_eq_u32 s71, 0
	s_wait_xcnt 0x1
	s_add_nc_u64 s[66:67], s[66:67], -4
	s_wait_loadcnt 0x1
	v_mov_b32_e32 v35, v32
	s_wait_loadcnt 0x0
	v_pk_mul_f32 v[36:37], v[28:29], v[32:33]
	s_delay_alu instid0(VALU_DEP_1) | instskip(NEXT) | instid1(VALU_DEP_1)
	v_dual_mov_b32 v32, v29 :: v_dual_add_f32 v25, v36, v37
	v_pk_mul_f32 v[28:29], v[34:35], v[32:33]
	global_store_b32 v[30:31], v25, off
	s_wait_xcnt 0x0
	v_add_nc_u64_e32 v[30:31], -4, v[30:31]
	v_sub_f32_e32 v28, v28, v29
	s_cbranch_scc0 .LBB26_68
	s_branch .LBB26_66
.LBB26_69:                              ;   in Loop: Header=BB26_4 Depth=1
	s_or_b32 exec_lo, exec_lo, s47
.LBB26_70:                              ;   in Loop: Header=BB26_4 Depth=1
	s_mov_b32 s47, 0
.LBB26_71:                              ;   in Loop: Header=BB26_4 Depth=1
	s_delay_alu instid0(SALU_CYCLE_1)
	s_and_not1_b32 vcc_lo, exec_lo, s47
	s_cbranch_vccnz .LBB26_78
; %bb.72:                               ;   in Loop: Header=BB26_4 Depth=1
	s_and_saveexec_b32 s47, s1
	s_cbranch_execz .LBB26_77
; %bb.73:                               ;   in Loop: Header=BB26_4 Depth=1
	v_add_nc_u64_e32 v[22:23], s[62:63], v[10:11]
	v_mov_b32_e32 v24, v0
	s_lshl_b64 s[64:65], s[30:31], 2
	s_mov_b32 s70, 0
	s_add_nc_u64 s[64:65], s[56:57], s[64:65]
	s_branch .LBB26_75
.LBB26_74:                              ;   in Loop: Header=BB26_75 Depth=2
	v_add_nc_u32_e32 v24, s12, v24
	v_add_nc_u64_e32 v[22:23], s[50:51], v[22:23]
	s_wait_loadcnt 0x0
	global_store_b32 v[26:27], v28, off offset:-4
	v_cmp_le_i32_e32 vcc_lo, s23, v24
	s_or_b32 s70, vcc_lo, s70
	s_wait_xcnt 0x0
	s_and_not1_b32 exec_lo, exec_lo, s70
	s_cbranch_execz .LBB26_77
.LBB26_75:                              ;   Parent Loop BB26_4 Depth=1
                                        ; =>  This Loop Header: Depth=2
                                        ;       Child Loop BB26_76 Depth 3
	v_ashrrev_i32_e32 v25, 31, v24
	v_mov_b64_e32 v[30:31], v[22:23]
	s_and_not1_b32 vcc_lo, exec_lo, s88
	s_mov_b64 s[66:67], s[54:55]
	s_mov_b64 s[68:69], s[52:53]
	v_mul_u64_e32 v[26:27], s[20:21], v[24:25]
	s_mov_b32 s71, s46
	s_delay_alu instid0(VALU_DEP_1)
	v_lshl_add_u64 v[26:27], v[26:27], 2, s[64:65]
	global_load_b32 v28, v[26:27], off offset:-4
	s_cbranch_vccnz .LBB26_74
.LBB26_76:                              ;   Parent Loop BB26_4 Depth=1
                                        ;     Parent Loop BB26_75 Depth=2
                                        ; =>    This Inner Loop Header: Depth=3
	s_clause 0x1
	global_load_b32 v29, v1, s[68:69]
	global_load_b32 v32, v1, s[66:67]
	global_load_b32 v33, v[30:31], off
	s_wait_loadcnt 0x3
	v_mov_b32_e32 v34, v28
	s_add_co_i32 s71, s71, -1
	s_wait_xcnt 0x2
	s_add_nc_u64 s[68:69], s[68:69], 4
	s_cmp_eq_u32 s71, 0
	s_wait_xcnt 0x1
	s_add_nc_u64 s[66:67], s[66:67], 4
	s_wait_loadcnt 0x1
	v_mov_b32_e32 v35, v32
	s_wait_loadcnt 0x0
	v_pk_mul_f32 v[36:37], v[28:29], v[32:33]
	s_delay_alu instid0(VALU_DEP_1) | instskip(NEXT) | instid1(VALU_DEP_1)
	v_dual_mov_b32 v32, v29 :: v_dual_add_f32 v25, v36, v37
	v_pk_mul_f32 v[28:29], v[34:35], v[32:33]
	global_store_b32 v[30:31], v25, off
	s_wait_xcnt 0x0
	v_add_nc_u64_e32 v[30:31], 4, v[30:31]
	v_sub_f32_e32 v28, v28, v29
	s_cbranch_scc0 .LBB26_76
	s_branch .LBB26_74
.LBB26_77:                              ;   in Loop: Header=BB26_4 Depth=1
	s_or_b32 exec_lo, exec_lo, s47
.LBB26_78:                              ;   in Loop: Header=BB26_4 Depth=1
	s_mov_b32 s47, 0
.LBB26_79:                              ;   in Loop: Header=BB26_4 Depth=1
	s_delay_alu instid0(SALU_CYCLE_1)
	s_and_not1_b32 vcc_lo, exec_lo, s47
	s_cbranch_vccnz .LBB26_86
; %bb.80:                               ;   in Loop: Header=BB26_4 Depth=1
	s_and_saveexec_b32 s47, s1
	s_cbranch_execz .LBB26_85
; %bb.81:                               ;   in Loop: Header=BB26_4 Depth=1
	v_add_nc_u64_e32 v[22:23], s[62:63], v[14:15]
	v_mov_b32_e32 v24, v0
	s_mov_b32 s68, 0
	s_branch .LBB26_83
.LBB26_82:                              ;   in Loop: Header=BB26_83 Depth=2
	v_add_nc_u32_e32 v24, s12, v24
	v_add_nc_u64_e32 v[22:23], s[50:51], v[22:23]
	s_wait_loadcnt 0x0
	global_store_b32 v[26:27], v29, off
	v_cmp_le_i32_e32 vcc_lo, s23, v24
	s_or_b32 s68, vcc_lo, s68
	s_wait_xcnt 0x0
	s_and_not1_b32 exec_lo, exec_lo, s68
	s_cbranch_execz .LBB26_85
.LBB26_83:                              ;   Parent Loop BB26_4 Depth=1
                                        ; =>  This Loop Header: Depth=2
                                        ;       Child Loop BB26_84 Depth 3
	s_delay_alu instid0(VALU_DEP_1) | instskip(NEXT) | instid1(VALU_DEP_3)
	v_ashrrev_i32_e32 v25, 31, v24
	v_mov_b64_e32 v[30:31], v[22:23]
	s_and_not1_b32 vcc_lo, exec_lo, s88
	s_mov_b64 s[64:65], s[60:61]
	s_mov_b64 s[66:67], s[58:59]
	v_mul_u64_e32 v[26:27], s[20:21], v[24:25]
	s_mov_b32 s69, s13
	s_delay_alu instid0(VALU_DEP_1)
	v_lshl_add_u64 v[26:27], v[26:27], 2, s[56:57]
	global_load_b32 v29, v[26:27], off
	s_cbranch_vccnz .LBB26_82
.LBB26_84:                              ;   Parent Loop BB26_4 Depth=1
                                        ;     Parent Loop BB26_83 Depth=2
                                        ; =>    This Inner Loop Header: Depth=3
	s_clause 0x1
	global_load_b32 v28, v1, s[66:67]
	global_load_b32 v33, v1, s[64:65]
	global_load_b32 v32, v[30:31], off
	s_wait_loadcnt 0x3
	v_mov_b32_e32 v34, v29
	s_add_co_i32 s69, s69, -1
	s_wait_xcnt 0x2
	s_add_nc_u64 s[66:67], s[66:67], -4
	s_cmp_lt_u32 s69, 3
	s_wait_xcnt 0x1
	s_add_nc_u64 s[64:65], s[64:65], -4
	s_wait_loadcnt 0x1
	v_mov_b32_e32 v35, v33
	s_wait_loadcnt 0x0
	v_pk_mul_f32 v[36:37], v[28:29], v[32:33]
	v_mov_b32_e32 v29, v32
	s_delay_alu instid0(VALU_DEP_2) | instskip(NEXT) | instid1(VALU_DEP_2)
	v_sub_f32_e32 v25, v36, v37
	v_pk_mul_f32 v[28:29], v[34:35], v[28:29]
	global_store_b32 v[30:31], v25, off
	s_wait_xcnt 0x0
	v_add_nc_u64_e32 v[30:31], -4, v[30:31]
	v_add_f32_e32 v29, v28, v29
	s_cbranch_scc0 .LBB26_84
	s_branch .LBB26_82
.LBB26_85:                              ;   in Loop: Header=BB26_4 Depth=1
	s_or_b32 exec_lo, exec_lo, s47
.LBB26_86:                              ;   in Loop: Header=BB26_4 Depth=1
	s_mov_b32 s47, 0
.LBB26_87:                              ;   in Loop: Header=BB26_4 Depth=1
	s_delay_alu instid0(SALU_CYCLE_1)
	s_and_not1_b32 vcc_lo, exec_lo, s47
	s_cbranch_vccnz .LBB26_94
; %bb.88:                               ;   in Loop: Header=BB26_4 Depth=1
	s_and_saveexec_b32 s47, s1
	s_cbranch_execz .LBB26_93
; %bb.89:                               ;   in Loop: Header=BB26_4 Depth=1
	v_mov_b64_e32 v[22:23], v[20:21]
	v_mov_b32_e32 v24, v0
	s_mov_b32 s68, 0
	s_branch .LBB26_91
.LBB26_90:                              ;   in Loop: Header=BB26_91 Depth=2
	v_add_nc_u32_e32 v24, s12, v24
	v_add_nc_u64_e32 v[22:23], s[50:51], v[22:23]
	s_wait_loadcnt 0x0
	global_store_b32 v[26:27], v29, off
	v_cmp_le_i32_e32 vcc_lo, s23, v24
	s_or_b32 s68, vcc_lo, s68
	s_wait_xcnt 0x0
	s_and_not1_b32 exec_lo, exec_lo, s68
	s_cbranch_execz .LBB26_93
.LBB26_91:                              ;   Parent Loop BB26_4 Depth=1
                                        ; =>  This Loop Header: Depth=2
                                        ;       Child Loop BB26_92 Depth 3
	s_delay_alu instid0(VALU_DEP_1) | instskip(NEXT) | instid1(VALU_DEP_3)
	v_ashrrev_i32_e32 v25, 31, v24
	v_mov_b64_e32 v[30:31], v[22:23]
	s_and_not1_b32 vcc_lo, exec_lo, s88
	s_mov_b32 s69, s46
	s_mov_b64 s[64:65], s[52:53]
	v_mul_u64_e32 v[26:27], s[20:21], v[24:25]
	s_mov_b64 s[66:67], s[54:55]
	s_delay_alu instid0(VALU_DEP_1)
	v_lshl_add_u64 v[26:27], v[26:27], 2, s[56:57]
	global_load_b32 v29, v[26:27], off
	s_cbranch_vccnz .LBB26_90
.LBB26_92:                              ;   Parent Loop BB26_4 Depth=1
                                        ;     Parent Loop BB26_91 Depth=2
                                        ; =>    This Inner Loop Header: Depth=3
	s_clause 0x1
	global_load_b32 v28, v1, s[64:65]
	global_load_b32 v33, v1, s[66:67]
	global_load_b32 v32, v[30:31], off
	s_wait_loadcnt 0x3
	v_mov_b32_e32 v34, v29
	s_add_co_i32 s69, s69, -1
	s_wait_xcnt 0x1
	s_add_nc_u64 s[66:67], s[66:67], 4
	s_cmp_eq_u32 s69, 0
	s_add_nc_u64 s[64:65], s[64:65], 4
	s_wait_loadcnt 0x1
	v_mov_b32_e32 v35, v33
	s_wait_loadcnt 0x0
	v_pk_mul_f32 v[36:37], v[28:29], v[32:33]
	v_mov_b32_e32 v29, v32
	s_delay_alu instid0(VALU_DEP_2) | instskip(NEXT) | instid1(VALU_DEP_2)
	v_sub_f32_e32 v25, v36, v37
	v_pk_mul_f32 v[28:29], v[34:35], v[28:29]
	global_store_b32 v[30:31], v25, off
	s_wait_xcnt 0x0
	v_add_nc_u64_e32 v[30:31], 4, v[30:31]
	v_add_f32_e32 v29, v28, v29
	s_cbranch_scc0 .LBB26_92
	s_branch .LBB26_90
.LBB26_93:                              ;   in Loop: Header=BB26_4 Depth=1
	s_or_b32 exec_lo, exec_lo, s47
.LBB26_94:                              ;   in Loop: Header=BB26_4 Depth=1
	s_mov_b32 s47, 0
.LBB26_95:                              ;   in Loop: Header=BB26_4 Depth=1
	s_delay_alu instid0(SALU_CYCLE_1)
	s_and_not1_b32 vcc_lo, exec_lo, s47
	s_cbranch_vccnz .LBB26_102
; %bb.96:                               ;   in Loop: Header=BB26_4 Depth=1
	s_and_saveexec_b32 s47, s1
	s_cbranch_execz .LBB26_101
; %bb.97:                               ;   in Loop: Header=BB26_4 Depth=1
	v_add_nc_u64_e32 v[22:23], s[62:63], v[18:19]
	v_mov_b32_e32 v24, v0
	s_lshl_b64 s[62:63], s[30:31], 2
	s_mov_b32 s68, 0
	s_add_nc_u64 s[62:63], s[56:57], s[62:63]
	s_branch .LBB26_99
.LBB26_98:                              ;   in Loop: Header=BB26_99 Depth=2
	v_add_nc_u32_e32 v24, s12, v24
	v_add_nc_u64_e32 v[22:23], s[50:51], v[22:23]
	v_lshl_add_u64 v[26:27], v[26:27], 2, s[56:57]
	s_delay_alu instid0(VALU_DEP_3)
	v_cmp_le_i32_e32 vcc_lo, s23, v24
	s_wait_loadcnt 0x0
	global_store_b32 v[26:27], v28, off
	s_or_b32 s68, vcc_lo, s68
	s_wait_xcnt 0x0
	s_and_not1_b32 exec_lo, exec_lo, s68
	s_cbranch_execz .LBB26_101
.LBB26_99:                              ;   Parent Loop BB26_4 Depth=1
                                        ; =>  This Loop Header: Depth=2
                                        ;       Child Loop BB26_100 Depth 3
	v_ashrrev_i32_e32 v25, 31, v24
	v_mov_b64_e32 v[30:31], v[22:23]
	s_and_not1_b32 vcc_lo, exec_lo, s88
	s_mov_b64 s[64:65], s[60:61]
	s_mov_b64 s[66:67], s[58:59]
	v_mul_u64_e32 v[26:27], s[20:21], v[24:25]
	s_mov_b32 s69, s46
	s_delay_alu instid0(VALU_DEP_1)
	v_lshl_add_u64 v[28:29], v[26:27], 2, s[62:63]
	global_load_b32 v28, v[28:29], off offset:-4
	s_cbranch_vccnz .LBB26_98
.LBB26_100:                             ;   Parent Loop BB26_4 Depth=1
                                        ;     Parent Loop BB26_99 Depth=2
                                        ; =>    This Inner Loop Header: Depth=3
	s_clause 0x1
	global_load_b32 v32, v1, s[66:67]
	global_load_b32 v29, v1, s[64:65]
	global_load_b32 v33, v[30:31], off offset:-4
	s_wait_loadcnt 0x3
	v_mov_b32_e32 v34, v28
	v_add_nc_u64_e32 v[38:39], -4, v[30:31]
	s_add_co_i32 s69, s69, -1
	s_wait_xcnt 0x2
	s_add_nc_u64 s[66:67], s[66:67], -4
	s_cmp_eq_u32 s69, 0
	s_wait_xcnt 0x1
	s_add_nc_u64 s[64:65], s[64:65], -4
	s_wait_loadcnt 0x2
	v_mov_b32_e32 v35, v32
	s_wait_loadcnt 0x0
	v_pk_mul_f32 v[36:37], v[28:29], v[32:33]
	s_delay_alu instid0(VALU_DEP_1) | instskip(NEXT) | instid1(VALU_DEP_1)
	v_dual_mov_b32 v32, v29 :: v_dual_sub_f32 v25, v36, v37
	v_pk_mul_f32 v[28:29], v[34:35], v[32:33]
	global_store_b32 v[30:31], v25, off
	s_wait_xcnt 0x0
	v_mov_b64_e32 v[30:31], v[38:39]
	v_add_f32_e32 v28, v28, v29
	s_cbranch_scc0 .LBB26_100
	s_branch .LBB26_98
.LBB26_101:                             ;   in Loop: Header=BB26_4 Depth=1
	s_or_b32 exec_lo, exec_lo, s47
.LBB26_102:                             ;   in Loop: Header=BB26_4 Depth=1
	s_cbranch_execnz .LBB26_3
.LBB26_103:                             ;   in Loop: Header=BB26_4 Depth=1
	s_and_saveexec_b32 s47, s1
	s_cbranch_execz .LBB26_2
; %bb.104:                              ;   in Loop: Header=BB26_4 Depth=1
	v_mov_b32_e32 v22, v0
	s_lshl_b64 s[58:59], s[30:31], 2
	s_mov_b32 s64, 0
	s_add_nc_u64 s[58:59], s[56:57], s[58:59]
	s_branch .LBB26_106
.LBB26_105:                             ;   in Loop: Header=BB26_106 Depth=2
	v_add_nc_u32_e32 v22, s12, v22
	v_add_nc_u64_e32 v[20:21], s[50:51], v[20:21]
	v_lshl_add_u64 v[24:25], v[24:25], 2, s[58:59]
	s_delay_alu instid0(VALU_DEP_3)
	v_cmp_le_i32_e32 vcc_lo, s23, v22
	s_wait_loadcnt 0x0
	global_store_b32 v[24:25], v26, off offset:-4
	s_or_b32 s64, vcc_lo, s64
	s_wait_xcnt 0x0
	s_and_not1_b32 exec_lo, exec_lo, s64
	s_cbranch_execz .LBB26_2
.LBB26_106:                             ;   Parent Loop BB26_4 Depth=1
                                        ; =>  This Loop Header: Depth=2
                                        ;       Child Loop BB26_107 Depth 3
	v_ashrrev_i32_e32 v23, 31, v22
	v_mov_b64_e32 v[28:29], v[20:21]
	s_and_not1_b32 vcc_lo, exec_lo, s88
	s_mov_b64 s[60:61], s[54:55]
	s_mov_b64 s[62:63], s[52:53]
	v_mul_u64_e32 v[24:25], s[20:21], v[22:23]
	s_mov_b32 s65, s46
	s_delay_alu instid0(VALU_DEP_1)
	v_lshl_add_u64 v[26:27], v[24:25], 2, s[56:57]
	global_load_b32 v26, v[26:27], off
	s_cbranch_vccnz .LBB26_105
.LBB26_107:                             ;   Parent Loop BB26_4 Depth=1
                                        ;     Parent Loop BB26_106 Depth=2
                                        ; =>    This Inner Loop Header: Depth=3
	s_clause 0x1
	global_load_b32 v30, v1, s[62:63]
	global_load_b32 v27, v1, s[60:61]
	global_load_b32 v31, v[28:29], off
	s_wait_loadcnt 0x3
	v_mov_b32_e32 v33, v26
	s_add_co_i32 s65, s65, -1
	s_wait_xcnt 0x2
	s_add_nc_u64 s[62:63], s[62:63], 4
	s_cmp_eq_u32 s65, 0
	s_wait_xcnt 0x1
	s_add_nc_u64 s[60:61], s[60:61], 4
	s_wait_loadcnt 0x2
	v_mov_b32_e32 v32, v30
	s_wait_loadcnt 0x0
	v_pk_mul_f32 v[34:35], v[26:27], v[30:31]
	s_delay_alu instid0(VALU_DEP_1) | instskip(NEXT) | instid1(VALU_DEP_1)
	v_dual_mov_b32 v26, v31 :: v_dual_add_f32 v23, v34, v35
	v_pk_mul_f32 v[26:27], v[32:33], v[26:27]
	global_store_b32 v[28:29], v23, off offset:-4
	s_wait_xcnt 0x0
	v_add_nc_u64_e32 v[28:29], 4, v[28:29]
	v_sub_f32_e32 v26, v26, v27
	s_cbranch_scc0 .LBB26_107
	s_branch .LBB26_105
.LBB26_108:
	s_endpgm
	.section	.rodata,"a",@progbits
	.p2align	6, 0x0
	.amdhsa_kernel _ZN9rocsolver6v33100L11lasr_kernelIffPfiEEv13rocblas_side_14rocblas_pivot_15rocblas_direct_T2_S6_PT0_lS8_lT1_lS6_lS6_
		.amdhsa_group_segment_fixed_size 0
		.amdhsa_private_segment_fixed_size 0
		.amdhsa_kernarg_size 352
		.amdhsa_user_sgpr_count 2
		.amdhsa_user_sgpr_dispatch_ptr 0
		.amdhsa_user_sgpr_queue_ptr 0
		.amdhsa_user_sgpr_kernarg_segment_ptr 1
		.amdhsa_user_sgpr_dispatch_id 0
		.amdhsa_user_sgpr_kernarg_preload_length 0
		.amdhsa_user_sgpr_kernarg_preload_offset 0
		.amdhsa_user_sgpr_private_segment_size 0
		.amdhsa_wavefront_size32 1
		.amdhsa_uses_dynamic_stack 0
		.amdhsa_enable_private_segment 0
		.amdhsa_system_sgpr_workgroup_id_x 1
		.amdhsa_system_sgpr_workgroup_id_y 0
		.amdhsa_system_sgpr_workgroup_id_z 1
		.amdhsa_system_sgpr_workgroup_info 0
		.amdhsa_system_vgpr_workitem_id 0
		.amdhsa_next_free_vgpr 42
		.amdhsa_next_free_sgpr 91
		.amdhsa_named_barrier_count 0
		.amdhsa_reserve_vcc 1
		.amdhsa_float_round_mode_32 0
		.amdhsa_float_round_mode_16_64 0
		.amdhsa_float_denorm_mode_32 3
		.amdhsa_float_denorm_mode_16_64 3
		.amdhsa_fp16_overflow 0
		.amdhsa_memory_ordered 1
		.amdhsa_forward_progress 1
		.amdhsa_inst_pref_size 35
		.amdhsa_round_robin_scheduling 0
		.amdhsa_exception_fp_ieee_invalid_op 0
		.amdhsa_exception_fp_denorm_src 0
		.amdhsa_exception_fp_ieee_div_zero 0
		.amdhsa_exception_fp_ieee_overflow 0
		.amdhsa_exception_fp_ieee_underflow 0
		.amdhsa_exception_fp_ieee_inexact 0
		.amdhsa_exception_int_div_zero 0
	.end_amdhsa_kernel
	.section	.text._ZN9rocsolver6v33100L11lasr_kernelIffPfiEEv13rocblas_side_14rocblas_pivot_15rocblas_direct_T2_S6_PT0_lS8_lT1_lS6_lS6_,"axG",@progbits,_ZN9rocsolver6v33100L11lasr_kernelIffPfiEEv13rocblas_side_14rocblas_pivot_15rocblas_direct_T2_S6_PT0_lS8_lT1_lS6_lS6_,comdat
.Lfunc_end26:
	.size	_ZN9rocsolver6v33100L11lasr_kernelIffPfiEEv13rocblas_side_14rocblas_pivot_15rocblas_direct_T2_S6_PT0_lS8_lT1_lS6_lS6_, .Lfunc_end26-_ZN9rocsolver6v33100L11lasr_kernelIffPfiEEv13rocblas_side_14rocblas_pivot_15rocblas_direct_T2_S6_PT0_lS8_lT1_lS6_lS6_
                                        ; -- End function
	.set _ZN9rocsolver6v33100L11lasr_kernelIffPfiEEv13rocblas_side_14rocblas_pivot_15rocblas_direct_T2_S6_PT0_lS8_lT1_lS6_lS6_.num_vgpr, 42
	.set _ZN9rocsolver6v33100L11lasr_kernelIffPfiEEv13rocblas_side_14rocblas_pivot_15rocblas_direct_T2_S6_PT0_lS8_lT1_lS6_lS6_.num_agpr, 0
	.set _ZN9rocsolver6v33100L11lasr_kernelIffPfiEEv13rocblas_side_14rocblas_pivot_15rocblas_direct_T2_S6_PT0_lS8_lT1_lS6_lS6_.numbered_sgpr, 91
	.set _ZN9rocsolver6v33100L11lasr_kernelIffPfiEEv13rocblas_side_14rocblas_pivot_15rocblas_direct_T2_S6_PT0_lS8_lT1_lS6_lS6_.num_named_barrier, 0
	.set _ZN9rocsolver6v33100L11lasr_kernelIffPfiEEv13rocblas_side_14rocblas_pivot_15rocblas_direct_T2_S6_PT0_lS8_lT1_lS6_lS6_.private_seg_size, 0
	.set _ZN9rocsolver6v33100L11lasr_kernelIffPfiEEv13rocblas_side_14rocblas_pivot_15rocblas_direct_T2_S6_PT0_lS8_lT1_lS6_lS6_.uses_vcc, 1
	.set _ZN9rocsolver6v33100L11lasr_kernelIffPfiEEv13rocblas_side_14rocblas_pivot_15rocblas_direct_T2_S6_PT0_lS8_lT1_lS6_lS6_.uses_flat_scratch, 0
	.set _ZN9rocsolver6v33100L11lasr_kernelIffPfiEEv13rocblas_side_14rocblas_pivot_15rocblas_direct_T2_S6_PT0_lS8_lT1_lS6_lS6_.has_dyn_sized_stack, 0
	.set _ZN9rocsolver6v33100L11lasr_kernelIffPfiEEv13rocblas_side_14rocblas_pivot_15rocblas_direct_T2_S6_PT0_lS8_lT1_lS6_lS6_.has_recursion, 0
	.set _ZN9rocsolver6v33100L11lasr_kernelIffPfiEEv13rocblas_side_14rocblas_pivot_15rocblas_direct_T2_S6_PT0_lS8_lT1_lS6_lS6_.has_indirect_call, 0
	.section	.AMDGPU.csdata,"",@progbits
; Kernel info:
; codeLenInByte = 4396
; TotalNumSgprs: 93
; NumVgprs: 42
; ScratchSize: 0
; MemoryBound: 0
; FloatMode: 240
; IeeeMode: 1
; LDSByteSize: 0 bytes/workgroup (compile time only)
; SGPRBlocks: 0
; VGPRBlocks: 2
; NumSGPRsForWavesPerEU: 93
; NumVGPRsForWavesPerEU: 42
; NamedBarCnt: 0
; Occupancy: 16
; WaveLimiterHint : 0
; COMPUTE_PGM_RSRC2:SCRATCH_EN: 0
; COMPUTE_PGM_RSRC2:USER_SGPR: 2
; COMPUTE_PGM_RSRC2:TRAP_HANDLER: 0
; COMPUTE_PGM_RSRC2:TGID_X_EN: 1
; COMPUTE_PGM_RSRC2:TGID_Y_EN: 0
; COMPUTE_PGM_RSRC2:TGID_Z_EN: 1
; COMPUTE_PGM_RSRC2:TIDIG_COMP_CNT: 0
	.section	.text._ZN9rocsolver6v33100L11scal_kernelIffiEEvT1_T_PT0_S2_,"axG",@progbits,_ZN9rocsolver6v33100L11scal_kernelIffiEEvT1_T_PT0_S2_,comdat
	.globl	_ZN9rocsolver6v33100L11scal_kernelIffiEEvT1_T_PT0_S2_ ; -- Begin function _ZN9rocsolver6v33100L11scal_kernelIffiEEvT1_T_PT0_S2_
	.p2align	8
	.type	_ZN9rocsolver6v33100L11scal_kernelIffiEEvT1_T_PT0_S2_,@function
_ZN9rocsolver6v33100L11scal_kernelIffiEEvT1_T_PT0_S2_: ; @_ZN9rocsolver6v33100L11scal_kernelIffiEEvT1_T_PT0_S2_
; %bb.0:
	s_load_b64 s[2:3], s[0:1], 0x0
	s_wait_kmcnt 0x0
	s_cmp_lt_i32 s2, 1
	s_cbranch_scc1 .LBB27_10
; %bb.1:
	s_clause 0x2
	s_load_b32 s7, s[0:1], 0x24
	s_load_b96 s[4:6], s[0:1], 0x8
	s_load_b32 s8, s[0:1], 0x18
	s_wait_xcnt 0x0
	s_bfe_u32 s0, ttmp6, 0x4000c
	s_and_b32 s1, ttmp6, 15
	s_add_co_i32 s0, s0, 1
	s_getreg_b32 s9, hwreg(HW_REG_IB_STS2, 6, 4)
	s_mul_i32 s0, ttmp9, s0
	s_delay_alu instid0(SALU_CYCLE_1)
	s_add_co_i32 s1, s1, s0
	s_wait_kmcnt 0x0
	s_and_b32 s7, s7, 0xffff
	s_cmp_eq_u32 s9, 0
	s_mul_i32 s8, s8, s7
	s_cselect_b32 s0, ttmp9, s1
	s_cmp_eq_u32 s6, 1
	v_mad_u32 v0, s0, s7, v0
	s_mov_b32 s1, -1
	s_delay_alu instid0(VALU_DEP_1)
	v_cmp_gt_i32_e64 s0, s2, v0
	s_cbranch_scc1 .LBB27_6
; %bb.2:
	s_and_saveexec_b32 s1, s0
	s_cbranch_execz .LBB27_5
; %bb.3:
	v_ashrrev_i32_e32 v1, 31, v0
	s_ashr_i32 s7, s6, 31
	s_ashr_i32 s9, s8, 31
	s_delay_alu instid0(VALU_DEP_1) | instskip(SKIP_4) | instid1(VALU_DEP_2)
	v_mul_u64_e32 v[2:3], s[6:7], v[0:1]
	v_mov_b32_e32 v1, v0
	s_mul_u64 s[6:7], s[6:7], s[8:9]
	s_mov_b32 s9, 0
	s_lshl_b64 s[6:7], s[6:7], 2
	v_lshl_add_u64 v[2:3], v[2:3], 2, s[4:5]
.LBB27_4:                               ; =>This Inner Loop Header: Depth=1
	global_load_b32 v4, v[2:3], off
	s_wait_loadcnt 0x0
	v_dual_mul_f32 v4, s3, v4 :: v_dual_add_nc_u32 v1, s8, v1
	s_delay_alu instid0(VALU_DEP_1) | instskip(SKIP_4) | instid1(SALU_CYCLE_1)
	v_cmp_le_i32_e32 vcc_lo, s2, v1
	global_store_b32 v[2:3], v4, off
	s_wait_xcnt 0x0
	v_add_nc_u64_e32 v[2:3], s[6:7], v[2:3]
	s_or_b32 s9, vcc_lo, s9
	s_and_not1_b32 exec_lo, exec_lo, s9
	s_cbranch_execnz .LBB27_4
.LBB27_5:
	s_or_b32 exec_lo, exec_lo, s1
	s_mov_b32 s1, 0
.LBB27_6:
	s_delay_alu instid0(SALU_CYCLE_1)
	s_and_not1_b32 vcc_lo, exec_lo, s1
	s_cbranch_vccnz .LBB27_10
; %bb.7:
	s_and_saveexec_b32 s1, s0
	s_cbranch_execz .LBB27_10
; %bb.8:
	v_ashrrev_i32_e32 v1, 31, v0
	s_ashr_i32 s9, s8, 31
	s_delay_alu instid0(SALU_CYCLE_1) | instskip(NEXT) | instid1(VALU_DEP_1)
	s_lshl_b64 s[0:1], s[8:9], 2
	v_lshl_add_u64 v[2:3], v[0:1], 2, s[4:5]
	s_mov_b32 s4, 0
.LBB27_9:                               ; =>This Inner Loop Header: Depth=1
	global_load_b32 v1, v[2:3], off
	s_wait_loadcnt 0x0
	v_dual_mul_f32 v1, s3, v1 :: v_dual_add_nc_u32 v0, s8, v0
	s_delay_alu instid0(VALU_DEP_1) | instskip(SKIP_4) | instid1(SALU_CYCLE_1)
	v_cmp_le_i32_e32 vcc_lo, s2, v0
	global_store_b32 v[2:3], v1, off
	s_wait_xcnt 0x0
	v_add_nc_u64_e32 v[2:3], s[0:1], v[2:3]
	s_or_b32 s4, vcc_lo, s4
	s_and_not1_b32 exec_lo, exec_lo, s4
	s_cbranch_execnz .LBB27_9
.LBB27_10:
	s_endpgm
	.section	.rodata,"a",@progbits
	.p2align	6, 0x0
	.amdhsa_kernel _ZN9rocsolver6v33100L11scal_kernelIffiEEvT1_T_PT0_S2_
		.amdhsa_group_segment_fixed_size 0
		.amdhsa_private_segment_fixed_size 0
		.amdhsa_kernarg_size 280
		.amdhsa_user_sgpr_count 2
		.amdhsa_user_sgpr_dispatch_ptr 0
		.amdhsa_user_sgpr_queue_ptr 0
		.amdhsa_user_sgpr_kernarg_segment_ptr 1
		.amdhsa_user_sgpr_dispatch_id 0
		.amdhsa_user_sgpr_kernarg_preload_length 0
		.amdhsa_user_sgpr_kernarg_preload_offset 0
		.amdhsa_user_sgpr_private_segment_size 0
		.amdhsa_wavefront_size32 1
		.amdhsa_uses_dynamic_stack 0
		.amdhsa_enable_private_segment 0
		.amdhsa_system_sgpr_workgroup_id_x 1
		.amdhsa_system_sgpr_workgroup_id_y 0
		.amdhsa_system_sgpr_workgroup_id_z 0
		.amdhsa_system_sgpr_workgroup_info 0
		.amdhsa_system_vgpr_workitem_id 0
		.amdhsa_next_free_vgpr 5
		.amdhsa_next_free_sgpr 10
		.amdhsa_named_barrier_count 0
		.amdhsa_reserve_vcc 1
		.amdhsa_float_round_mode_32 0
		.amdhsa_float_round_mode_16_64 0
		.amdhsa_float_denorm_mode_32 3
		.amdhsa_float_denorm_mode_16_64 3
		.amdhsa_fp16_overflow 0
		.amdhsa_memory_ordered 1
		.amdhsa_forward_progress 1
		.amdhsa_inst_pref_size 3
		.amdhsa_round_robin_scheduling 0
		.amdhsa_exception_fp_ieee_invalid_op 0
		.amdhsa_exception_fp_denorm_src 0
		.amdhsa_exception_fp_ieee_div_zero 0
		.amdhsa_exception_fp_ieee_overflow 0
		.amdhsa_exception_fp_ieee_underflow 0
		.amdhsa_exception_fp_ieee_inexact 0
		.amdhsa_exception_int_div_zero 0
	.end_amdhsa_kernel
	.section	.text._ZN9rocsolver6v33100L11scal_kernelIffiEEvT1_T_PT0_S2_,"axG",@progbits,_ZN9rocsolver6v33100L11scal_kernelIffiEEvT1_T_PT0_S2_,comdat
.Lfunc_end27:
	.size	_ZN9rocsolver6v33100L11scal_kernelIffiEEvT1_T_PT0_S2_, .Lfunc_end27-_ZN9rocsolver6v33100L11scal_kernelIffiEEvT1_T_PT0_S2_
                                        ; -- End function
	.set _ZN9rocsolver6v33100L11scal_kernelIffiEEvT1_T_PT0_S2_.num_vgpr, 5
	.set _ZN9rocsolver6v33100L11scal_kernelIffiEEvT1_T_PT0_S2_.num_agpr, 0
	.set _ZN9rocsolver6v33100L11scal_kernelIffiEEvT1_T_PT0_S2_.numbered_sgpr, 10
	.set _ZN9rocsolver6v33100L11scal_kernelIffiEEvT1_T_PT0_S2_.num_named_barrier, 0
	.set _ZN9rocsolver6v33100L11scal_kernelIffiEEvT1_T_PT0_S2_.private_seg_size, 0
	.set _ZN9rocsolver6v33100L11scal_kernelIffiEEvT1_T_PT0_S2_.uses_vcc, 1
	.set _ZN9rocsolver6v33100L11scal_kernelIffiEEvT1_T_PT0_S2_.uses_flat_scratch, 0
	.set _ZN9rocsolver6v33100L11scal_kernelIffiEEvT1_T_PT0_S2_.has_dyn_sized_stack, 0
	.set _ZN9rocsolver6v33100L11scal_kernelIffiEEvT1_T_PT0_S2_.has_recursion, 0
	.set _ZN9rocsolver6v33100L11scal_kernelIffiEEvT1_T_PT0_S2_.has_indirect_call, 0
	.section	.AMDGPU.csdata,"",@progbits
; Kernel info:
; codeLenInByte = 380
; TotalNumSgprs: 12
; NumVgprs: 5
; ScratchSize: 0
; MemoryBound: 0
; FloatMode: 240
; IeeeMode: 1
; LDSByteSize: 0 bytes/workgroup (compile time only)
; SGPRBlocks: 0
; VGPRBlocks: 0
; NumSGPRsForWavesPerEU: 12
; NumVGPRsForWavesPerEU: 5
; NamedBarCnt: 0
; Occupancy: 16
; WaveLimiterHint : 0
; COMPUTE_PGM_RSRC2:SCRATCH_EN: 0
; COMPUTE_PGM_RSRC2:USER_SGPR: 2
; COMPUTE_PGM_RSRC2:TRAP_HANDLER: 0
; COMPUTE_PGM_RSRC2:TGID_X_EN: 1
; COMPUTE_PGM_RSRC2:TGID_Y_EN: 0
; COMPUTE_PGM_RSRC2:TGID_Z_EN: 0
; COMPUTE_PGM_RSRC2:TIDIG_COMP_CNT: 0
	.section	.text._ZN9rocsolver6v33100L17bdsqr_lower2upperIffPfS2_EEviiiPT0_lS4_lT1_iilT2_iilPiS4_lS7_,"axG",@progbits,_ZN9rocsolver6v33100L17bdsqr_lower2upperIffPfS2_EEviiiPT0_lS4_lT1_iilT2_iilPiS4_lS7_,comdat
	.globl	_ZN9rocsolver6v33100L17bdsqr_lower2upperIffPfS2_EEviiiPT0_lS4_lT1_iilT2_iilPiS4_lS7_ ; -- Begin function _ZN9rocsolver6v33100L17bdsqr_lower2upperIffPfS2_EEviiiPT0_lS4_lT1_iilT2_iilPiS4_lS7_
	.p2align	8
	.type	_ZN9rocsolver6v33100L17bdsqr_lower2upperIffPfS2_EEviiiPT0_lS4_lT1_iilT2_iilPiS4_lS7_,@function
_ZN9rocsolver6v33100L17bdsqr_lower2upperIffPfS2_EEviiiPT0_lS4_lT1_iilT2_iilPiS4_lS7_: ; @_ZN9rocsolver6v33100L17bdsqr_lower2upperIffPfS2_EEviiiPT0_lS4_lT1_iilT2_iilPiS4_lS7_
; %bb.0:
	s_load_b64 s[2:3], s[0:1], 0x78
	s_bfe_u32 s4, ttmp6, 0x40010
	s_bfe_u32 s5, ttmp6, 0x40004
	s_add_co_i32 s4, s4, 1
	s_getreg_b32 s6, hwreg(HW_REG_IB_STS2, 6, 4)
	s_mul_i32 s4, ttmp7, s4
	s_delay_alu instid0(SALU_CYCLE_1) | instskip(SKIP_2) | instid1(SALU_CYCLE_1)
	s_add_co_i32 s5, s5, s4
	s_cmp_eq_u32 s6, 0
	s_cselect_b32 s24, ttmp7, s5
	s_ashr_i32 s25, s24, 31
	s_delay_alu instid0(SALU_CYCLE_1)
	s_lshl_b64 s[4:5], s[24:25], 2
	s_wait_kmcnt 0x0
	s_add_nc_u64 s[2:3], s[2:3], s[4:5]
	s_load_b32 s2, s[2:3], 0x8
	s_wait_kmcnt 0x0
	s_cmp_lg_u32 s2, 0
	s_cbranch_scc1 .LBB28_34
; %bb.1:
	s_clause 0x1
	s_load_b256 s[4:11], s[0:1], 0x30
	s_load_b128 s[16:19], s[0:1], 0x68
	s_mov_b64 s[2:3], 0
	s_mov_b64 s[22:23], 0
	s_wait_kmcnt 0x0
	s_cmp_eq_u64 s[4:5], 0
	s_cbranch_scc1 .LBB28_3
; %bb.2:
	s_mul_u64 s[8:9], s[8:9], s[24:25]
	s_ashr_i32 s13, s6, 31
	s_lshl_b64 s[8:9], s[8:9], 2
	s_mov_b32 s12, s6
	s_add_nc_u64 s[4:5], s[4:5], s[8:9]
	s_lshl_b64 s[8:9], s[12:13], 2
	s_delay_alu instid0(SALU_CYCLE_1)
	s_add_nc_u64 s[22:23], s[4:5], s[8:9]
.LBB28_3:
	s_load_b64 s[20:21], s[0:1], 0x50
	s_cmp_eq_u64 s[10:11], 0
	s_cbranch_scc1 .LBB28_5
; %bb.4:
	s_load_b64 s[2:3], s[0:1], 0x58
	s_wait_kmcnt 0x0
	s_ashr_i32 s5, s20, 31
	s_mov_b32 s4, s20
	s_delay_alu instid0(SALU_CYCLE_1) | instskip(SKIP_1) | instid1(SALU_CYCLE_1)
	s_lshl_b64 s[4:5], s[4:5], 2
	s_mul_u64 s[2:3], s[2:3], s[24:25]
	s_lshl_b64 s[2:3], s[2:3], 2
	s_delay_alu instid0(SALU_CYCLE_1) | instskip(NEXT) | instid1(SALU_CYCLE_1)
	s_add_nc_u64 s[2:3], s[10:11], s[2:3]
	s_add_nc_u64 s[2:3], s[2:3], s[4:5]
.LBB28_5:
	s_load_b96 s[4:6], s[0:1], 0x0
	s_mul_u64 s[18:19], s[18:19], s[24:25]
	s_wait_kmcnt 0x0
	s_mov_b32 s20, exec_lo
	v_cmpx_eq_u32_e32 0, v0
	s_cbranch_execz .LBB28_22
; %bb.6:
	s_load_b256 s[8:15], s[0:1], 0x10
	s_add_co_i32 s26, s4, -1
	s_wait_kmcnt 0x0
	s_mul_u64 s[10:11], s[10:11], s[24:25]
	s_delay_alu instid0(SALU_CYCLE_1)
	s_lshl_b64 s[10:11], s[10:11], 2
	s_cmp_lt_i32 s4, 2
	s_add_nc_u64 s[8:9], s[8:9], s[10:11]
	s_load_b32 s10, s[8:9], 0x0
	s_wait_kmcnt 0x0
	v_mov_b32_e32 v3, s10
	s_cbranch_scc1 .LBB28_21
; %bb.7:
	s_mul_u64 s[14:15], s[14:15], s[24:25]
	s_or_b32 s11, s6, s5
	s_lshl_b64 s[14:15], s[14:15], 2
	v_mov_b32_e32 v1, 0
	s_add_nc_u64 s[24:25], s[12:13], s[14:15]
	s_lshl_b64 s[12:13], s[18:19], 2
	s_load_b32 s14, s[24:25], 0x0
	v_mov_b32_e32 v3, s10
	s_cmp_lg_u32 s11, 0
	s_add_nc_u64 s[10:11], s[16:17], s[12:13]
	s_mov_b32 s27, 0
	s_cselect_b32 s28, -1, 0
	s_add_nc_u64 s[12:13], s[10:11], 16
	s_wait_xcnt 0x0
	s_add_nc_u64 s[24:25], s[24:25], 4
	s_wait_kmcnt 0x0
	v_mov_b32_e32 v2, s14
	s_add_nc_u64 s[14:15], s[8:9], 4
	s_branch .LBB28_9
.LBB28_8:                               ;   in Loop: Header=BB28_9 Depth=1
	s_wait_loadcnt 0x0
	v_mul_f32_e32 v3, v5, v3
	s_add_co_i32 s27, s27, 1
	s_wait_xcnt 0x1
	s_add_nc_u64 s[12:13], s[12:13], 4
	s_wait_xcnt 0x0
	s_add_nc_u64 s[14:15], s[14:15], 4
	s_cmp_lg_u32 s26, s27
	s_add_nc_u64 s[24:25], s[24:25], 4
	s_cbranch_scc0 .LBB28_21
.LBB28_9:                               ; =>This Inner Loop Header: Depth=1
	s_delay_alu instid0(VALU_DEP_1)
	v_cmp_eq_f32_e32 vcc_lo, 0, v2
	s_cbranch_vccnz .LBB28_13
; %bb.10:                               ;   in Loop: Header=BB28_9 Depth=1
	v_cmp_neq_f32_e32 vcc_lo, 0, v3
	s_cbranch_vccz .LBB28_14
; %bb.11:                               ;   in Loop: Header=BB28_9 Depth=1
	v_and_b32_e32 v4, 0x7fffffff, v2
	v_and_b32_e32 v5, 0x7fffffff, v3
	s_delay_alu instid0(VALU_DEP_1)
	v_cmp_ngt_f32_e32 vcc_lo, v4, v5
	s_cbranch_vccz .LBB28_15
; %bb.12:                               ;   in Loop: Header=BB28_9 Depth=1
	v_div_scale_f32 v4, null, v3, v3, -v2
	v_div_scale_f32 v7, vcc_lo, -v2, v3, -v2
	s_delay_alu instid0(VALU_DEP_2)
	v_rcp_f32_e32 v5, v4
	v_nop
	v_xor_b32_e32 v4, 0x80000000, v4
	s_delay_alu instid0(TRANS32_DEP_1) | instid1(VALU_DEP_1)
	v_fma_f32 v6, v4, v5, 1.0
	s_delay_alu instid0(VALU_DEP_1) | instskip(NEXT) | instid1(VALU_DEP_1)
	v_fmac_f32_e32 v5, v6, v5
	v_mul_f32_e32 v6, v7, v5
	s_delay_alu instid0(VALU_DEP_1) | instskip(NEXT) | instid1(VALU_DEP_1)
	v_fma_f32 v8, v4, v6, v7
	v_fmac_f32_e32 v6, v8, v5
	s_delay_alu instid0(VALU_DEP_1) | instskip(NEXT) | instid1(VALU_DEP_1)
	v_fmac_f32_e32 v7, v4, v6
	v_div_fmas_f32 v4, v7, v5, v6
	s_delay_alu instid0(VALU_DEP_1) | instskip(NEXT) | instid1(VALU_DEP_1)
	v_div_fixup_f32 v4, v4, v3, -v2
	v_readfirstlane_b32 s29, v4
	s_fmaak_f32 s29, s29, s29, 0x3f800000
	s_delay_alu instid0(SALU_CYCLE_3) | instskip(SKIP_1) | instid1(SALU_CYCLE_2)
	s_mul_f32 s30, s29, 0x4f800000
	s_cmp_lt_f32 s29, 0xf800000
	s_cselect_b32 s30, s30, s29
	s_delay_alu instid0(SALU_CYCLE_1) | instskip(SKIP_1) | instid1(TRANS32_DEP_1)
	v_s_sqrt_f32 s31, s30
	s_mov_b32 s34, s30
	s_add_co_i32 s33, s31, -1
	s_delay_alu instid0(SALU_CYCLE_1) | instskip(NEXT) | instid1(SALU_CYCLE_1)
	s_xor_b32 s35, s33, 0x80000000
	s_fmac_f32 s34, s35, s31
	s_mov_b32 s35, s30
	s_delay_alu instid0(SALU_CYCLE_2) | instskip(SKIP_2) | instid1(SALU_CYCLE_1)
	s_cmp_le_f32 s34, 0
	s_cselect_b32 s33, s33, s31
	s_add_co_i32 s34, s31, 1
	s_xor_b32 s36, s34, 0x80000000
	s_delay_alu instid0(SALU_CYCLE_1) | instskip(SKIP_1) | instid1(SALU_CYCLE_2)
	s_fmac_f32 s35, s36, s31
	v_cmp_class_f32_e64 s31, s30, 0x260
	s_cmp_gt_f32 s35, 0
	s_cselect_b32 s33, s34, s33
	s_cmp_lt_f32 s29, 0xf800000
	s_mul_f32 s29, s33, 0x37800000
	s_delay_alu instid0(SALU_CYCLE_3) | instskip(SKIP_2) | instid1(SALU_CYCLE_1)
	s_cselect_b32 s29, s29, s33
	s_and_b32 s31, s31, exec_lo
	s_cselect_b32 s29, s30, s29
	v_div_scale_f32 v5, null, s29, s29, 1.0
	s_delay_alu instid0(VALU_DEP_1)
	v_rcp_f32_e32 v6, v5
	v_nop
	v_xor_b32_e32 v5, 0x80000000, v5
	s_delay_alu instid0(TRANS32_DEP_1) | instid1(VALU_DEP_1)
	v_fma_f32 v7, v5, v6, 1.0
	s_delay_alu instid0(VALU_DEP_1) | instskip(SKIP_1) | instid1(VALU_DEP_1)
	v_fmac_f32_e32 v6, v7, v6
	v_div_scale_f32 v7, vcc_lo, 1.0, s29, 1.0
	v_mul_f32_e32 v8, v7, v6
	s_delay_alu instid0(VALU_DEP_1) | instskip(NEXT) | instid1(VALU_DEP_1)
	v_fma_f32 v9, v5, v8, v7
	v_fmac_f32_e32 v8, v9, v6
	s_delay_alu instid0(VALU_DEP_1) | instskip(NEXT) | instid1(VALU_DEP_1)
	v_fmac_f32_e32 v7, v5, v8
	v_div_fmas_f32 v5, v7, v6, v8
	s_delay_alu instid0(VALU_DEP_1) | instskip(NEXT) | instid1(VALU_DEP_1)
	v_div_fixup_f32 v5, v5, s29, 1.0
	v_mul_f32_e32 v4, v4, v5
	s_cbranch_execz .LBB28_16
	s_branch .LBB28_17
.LBB28_13:                              ;   in Loop: Header=BB28_9 Depth=1
	v_dual_mov_b32 v5, 1.0 :: v_dual_mov_b32 v4, 0
	s_branch .LBB28_19
.LBB28_14:                              ;   in Loop: Header=BB28_9 Depth=1
	v_xor_b32_e32 v3, 0x80000000, v2
                                        ; implicit-def: $vgpr4
	s_cbranch_execnz .LBB28_18
	s_branch .LBB28_19
.LBB28_15:                              ;   in Loop: Header=BB28_9 Depth=1
                                        ; implicit-def: $vgpr5
.LBB28_16:                              ;   in Loop: Header=BB28_9 Depth=1
	v_div_scale_f32 v4, null, v2, v2, -v3
	v_div_scale_f32 v7, vcc_lo, -v3, v2, -v3
	s_delay_alu instid0(VALU_DEP_2)
	v_rcp_f32_e32 v5, v4
	v_nop
	v_xor_b32_e32 v4, 0x80000000, v4
	s_delay_alu instid0(TRANS32_DEP_1) | instid1(VALU_DEP_1)
	v_fma_f32 v6, v4, v5, 1.0
	s_delay_alu instid0(VALU_DEP_1) | instskip(NEXT) | instid1(VALU_DEP_1)
	v_fmac_f32_e32 v5, v6, v5
	v_mul_f32_e32 v6, v7, v5
	s_delay_alu instid0(VALU_DEP_1) | instskip(NEXT) | instid1(VALU_DEP_1)
	v_fma_f32 v8, v4, v6, v7
	v_fmac_f32_e32 v6, v8, v5
	s_delay_alu instid0(VALU_DEP_1) | instskip(NEXT) | instid1(VALU_DEP_1)
	v_fmac_f32_e32 v7, v4, v6
	v_div_fmas_f32 v4, v7, v5, v6
	s_delay_alu instid0(VALU_DEP_1) | instskip(NEXT) | instid1(VALU_DEP_1)
	v_div_fixup_f32 v5, v4, v2, -v3
	v_readfirstlane_b32 s29, v5
	s_fmaak_f32 s29, s29, s29, 0x3f800000
	s_delay_alu instid0(SALU_CYCLE_3) | instskip(SKIP_1) | instid1(SALU_CYCLE_2)
	s_mul_f32 s30, s29, 0x4f800000
	s_cmp_lt_f32 s29, 0xf800000
	s_cselect_b32 s30, s30, s29
	s_delay_alu instid0(SALU_CYCLE_1) | instskip(SKIP_1) | instid1(TRANS32_DEP_1)
	v_s_sqrt_f32 s31, s30
	s_mov_b32 s34, s30
	s_add_co_i32 s33, s31, -1
	s_delay_alu instid0(SALU_CYCLE_1) | instskip(NEXT) | instid1(SALU_CYCLE_1)
	s_xor_b32 s35, s33, 0x80000000
	s_fmac_f32 s34, s35, s31
	s_mov_b32 s35, s30
	s_delay_alu instid0(SALU_CYCLE_2) | instskip(SKIP_2) | instid1(SALU_CYCLE_1)
	s_cmp_le_f32 s34, 0
	s_cselect_b32 s33, s33, s31
	s_add_co_i32 s34, s31, 1
	s_xor_b32 s36, s34, 0x80000000
	s_delay_alu instid0(SALU_CYCLE_1) | instskip(SKIP_1) | instid1(SALU_CYCLE_2)
	s_fmac_f32 s35, s36, s31
	v_cmp_class_f32_e64 s31, s30, 0x260
	s_cmp_gt_f32 s35, 0
	s_cselect_b32 s33, s34, s33
	s_cmp_lt_f32 s29, 0xf800000
	s_mul_f32 s29, s33, 0x37800000
	s_delay_alu instid0(SALU_CYCLE_3) | instskip(SKIP_2) | instid1(SALU_CYCLE_1)
	s_cselect_b32 s29, s29, s33
	s_and_b32 s31, s31, exec_lo
	s_cselect_b32 s29, s30, s29
	v_div_scale_f32 v4, null, s29, s29, 1.0
	s_delay_alu instid0(VALU_DEP_1)
	v_rcp_f32_e32 v6, v4
	v_nop
	v_xor_b32_e32 v4, 0x80000000, v4
	s_delay_alu instid0(TRANS32_DEP_1) | instid1(VALU_DEP_1)
	v_fma_f32 v7, v4, v6, 1.0
	s_delay_alu instid0(VALU_DEP_1) | instskip(SKIP_1) | instid1(VALU_DEP_1)
	v_fmac_f32_e32 v6, v7, v6
	v_div_scale_f32 v7, vcc_lo, 1.0, s29, 1.0
	v_mul_f32_e32 v8, v7, v6
	s_delay_alu instid0(VALU_DEP_1) | instskip(NEXT) | instid1(VALU_DEP_1)
	v_fma_f32 v9, v4, v8, v7
	v_fmac_f32_e32 v8, v9, v6
	s_delay_alu instid0(VALU_DEP_1) | instskip(NEXT) | instid1(VALU_DEP_1)
	v_fmac_f32_e32 v7, v4, v8
	v_div_fmas_f32 v4, v7, v6, v8
	s_delay_alu instid0(VALU_DEP_1) | instskip(NEXT) | instid1(VALU_DEP_1)
	v_div_fixup_f32 v4, v4, s29, 1.0
	v_mul_f32_e32 v5, v5, v4
.LBB28_17:                              ;   in Loop: Header=BB28_9 Depth=1
	s_delay_alu instid0(VALU_DEP_1) | instskip(NEXT) | instid1(VALU_DEP_1)
	v_pk_mul_f32 v[2:3], v[2:3], v[4:5]
	v_sub_f32_e32 v3, v3, v2
	s_branch .LBB28_19
.LBB28_18:                              ;   in Loop: Header=BB28_9 Depth=1
	v_dual_mov_b32 v4, 1.0 :: v_dual_mov_b32 v5, 0
.LBB28_19:                              ;   in Loop: Header=BB28_9 Depth=1
	global_load_b32 v6, v1, s[14:15]
	v_xor_b32_e32 v7, 0x80000000, v4
	s_clause 0x1
	global_store_b32 v1, v3, s[14:15] offset:-4
	global_load_b32 v2, v1, s[24:25]
	s_and_not1_b32 vcc_lo, exec_lo, s28
	s_wait_loadcnt 0x1
	s_wait_xcnt 0x1
	v_mul_f32_e32 v3, v6, v7
	s_clause 0x1
	global_store_b32 v1, v3, s[24:25] offset:-4
	global_load_b32 v3, v1, s[14:15]
	s_cbranch_vccnz .LBB28_8
; %bb.20:                               ;   in Loop: Header=BB28_9 Depth=1
	s_add_co_i32 s29, s4, s27
	s_delay_alu instid0(SALU_CYCLE_1)
	v_mov_b32_e32 v6, s29
	global_store_b32 v1, v5, s[12:13]
	global_store_b32 v6, v4, s[10:11] offset:16 scale_offset
	s_branch .LBB28_8
.LBB28_21:
	v_mov_b32_e32 v1, s26
	global_store_b32 v1, v3, s[8:9] scale_offset
.LBB28_22:
	s_wait_xcnt 0x0
	s_or_b32 exec_lo, exec_lo, s20
	s_delay_alu instid0(SALU_CYCLE_1)
	s_mov_b32 s20, exec_lo
	s_wait_storecnt 0x0
	s_barrier_signal -1
	s_barrier_wait -1
	v_cmpx_gt_i32_e64 s5, v0
	s_cbranch_execz .LBB28_28
; %bb.23:
	s_load_b32 s26, s[0:1], 0x8c
	s_add_co_i32 s28, s4, -1
	s_cmp_gt_i32 s4, 1
	v_dual_mov_b32 v1, 0 :: v_dual_mov_b32 v2, v0
	s_cselect_b32 s29, -1, 0
	s_lshl_b64 s[24:25], s[18:19], 2
	s_mov_b32 s14, s7
	s_mov_b32 s9, 0
	;; [unrolled: 1-line block ×3, first 2 shown]
	s_mul_i32 s10, s7, s28
	s_ashr_i32 s15, s7, 31
	s_add_nc_u64 s[24:25], s[16:17], s[24:25]
	s_lshl_b64 s[12:13], s[8:9], 2
	s_ashr_i32 s11, s10, 31
	s_lshl_b64 s[14:15], s[14:15], 2
	s_add_nc_u64 s[24:25], s[24:25], 16
	s_wait_kmcnt 0x0
	s_and_b32 s7, s26, 0xffff
	s_branch .LBB28_25
.LBB28_24:                              ;   in Loop: Header=BB28_25 Depth=1
	s_wait_xcnt 0x0
	v_add_nc_u32_e32 v2, s7, v2
	s_delay_alu instid0(VALU_DEP_2) | instskip(NEXT) | instid1(VALU_DEP_2)
	v_lshl_add_u64 v[4:5], s[10:11], 2, v[4:5]
	v_cmp_le_i32_e32 vcc_lo, s5, v2
	s_wait_loadcnt 0x0
	global_store_b32 v[4:5], v6, off
	s_or_b32 s9, vcc_lo, s9
	s_wait_xcnt 0x0
	s_and_not1_b32 exec_lo, exec_lo, s9
	s_cbranch_execz .LBB28_28
.LBB28_25:                              ; =>This Loop Header: Depth=1
                                        ;     Child Loop BB28_27 Depth 2
	global_load_b32 v6, v2, s[22:23] scale_offset
	v_ashrrev_i32_e32 v3, 31, v2
	s_and_not1_b32 vcc_lo, exec_lo, s29
	s_delay_alu instid0(VALU_DEP_1)
	v_lshl_add_u64 v[4:5], v[2:3], 2, s[22:23]
	s_cbranch_vccnz .LBB28_24
; %bb.26:                               ;   in Loop: Header=BB28_25 Depth=1
	s_delay_alu instid0(VALU_DEP_1)
	v_mov_b64_e32 v[8:9], v[4:5]
	s_mov_b32 s8, s28
	s_mov_b64 s[26:27], s[24:25]
.LBB28_27:                              ;   Parent Loop BB28_25 Depth=1
                                        ; =>  This Inner Loop Header: Depth=2
	s_delay_alu instid0(VALU_DEP_1)
	v_add_nc_u64_e32 v[10:11], s[14:15], v[8:9]
	s_add_nc_u64 s[30:31], s[26:27], s[12:13]
	s_add_co_i32 s8, s8, -1
	s_clause 0x1
	global_load_b32 v12, v1, s[26:27]
	global_load_b32 v13, v1, s[30:31]
	global_load_b32 v7, v[10:11], off
	s_wait_loadcnt 0x3
	v_mov_b32_e32 v15, v6
	s_cmp_lg_u32 s8, 0
	s_wait_xcnt 0x2
	s_add_nc_u64 s[26:27], s[26:27], 4
	s_wait_loadcnt 0x0
	v_pk_mul_f32 v[16:17], v[6:7], v[12:13]
	v_mov_b32_e32 v14, v7
	s_delay_alu instid0(VALU_DEP_1) | instskip(NEXT) | instid1(VALU_DEP_1)
	v_pk_mul_f32 v[6:7], v[14:15], v[12:13]
	v_dual_sub_f32 v3, v16, v17 :: v_dual_add_f32 v6, v6, v7
	global_store_b32 v[8:9], v3, off
	s_wait_xcnt 0x0
	v_mov_b64_e32 v[8:9], v[10:11]
	s_cbranch_scc1 .LBB28_27
	s_branch .LBB28_24
.LBB28_28:
	s_or_b32 exec_lo, exec_lo, s20
	s_delay_alu instid0(SALU_CYCLE_1)
	s_mov_b32 s5, exec_lo
	v_cmpx_gt_i32_e64 s6, v0
	s_cbranch_execz .LBB28_34
; %bb.29:
	s_load_b32 s12, s[0:1], 0x8c
	v_mul_lo_u32 v2, v0, s21
	s_wait_xcnt 0x0
	s_add_co_i32 s0, s4, -1
	s_cmp_gt_i32 s4, 1
	v_mov_b32_e32 v1, 0
	s_cselect_b32 s7, -1, 0
	s_lshl_b64 s[10:11], s[18:19], 2
	s_mov_b32 s5, 0
	s_add_nc_u64 s[10:11], s[16:17], s[10:11]
	s_add_nc_u64 s[8:9], s[2:3], 4
	s_ashr_i32 s1, s0, 31
	s_add_nc_u64 s[10:11], s[10:11], 16
	s_wait_kmcnt 0x0
	s_and_b32 s16, s12, 0xffff
	s_lshl_b64 s[12:13], s[4:5], 2
	s_mul_i32 s17, s21, s16
	s_branch .LBB28_31
.LBB28_30:                              ;   in Loop: Header=BB28_31 Depth=1
	v_dual_ashrrev_i32 v7, 31, v6 :: v_dual_add_nc_u32 v0, s16, v0
	v_add_nc_u32_e32 v2, s17, v2
	s_wait_xcnt 0x0
	s_delay_alu instid0(VALU_DEP_2) | instskip(NEXT) | instid1(VALU_DEP_3)
	v_lshl_add_u64 v[6:7], v[6:7], 2, s[2:3]
	v_cmp_le_i32_e32 vcc_lo, s6, v0
	s_delay_alu instid0(VALU_DEP_2)
	v_lshl_add_u64 v[6:7], s[0:1], 2, v[6:7]
	s_or_b32 s5, vcc_lo, s5
	s_wait_loadcnt 0x0
	global_store_b32 v[6:7], v4, off
	s_wait_xcnt 0x0
	s_and_not1_b32 exec_lo, exec_lo, s5
	s_cbranch_execz .LBB28_34
.LBB28_31:                              ; =>This Loop Header: Depth=1
                                        ;     Child Loop BB28_33 Depth 2
	v_mul_lo_u32 v6, v0, s21
	s_and_not1_b32 vcc_lo, exec_lo, s7
	global_load_b32 v4, v6, s[2:3] scale_offset
	s_cbranch_vccnz .LBB28_30
; %bb.32:                               ;   in Loop: Header=BB28_31 Depth=1
	v_ashrrev_i32_e32 v3, 31, v2
	s_mov_b32 s4, s0
	s_mov_b64 s[14:15], s[10:11]
	s_delay_alu instid0(VALU_DEP_1)
	v_lshl_add_u64 v[8:9], v[2:3], 2, s[8:9]
.LBB28_33:                              ;   Parent Loop BB28_31 Depth=1
                                        ; =>  This Inner Loop Header: Depth=2
	s_add_nc_u64 s[18:19], s[14:15], s[12:13]
	global_load_b32 v5, v[8:9], off
	s_clause 0x1
	global_load_b32 v10, v1, s[14:15]
	global_load_b32 v11, v1, s[18:19]
	s_wait_loadcnt 0x3
	v_mov_b32_e32 v15, v4
	s_add_co_i32 s4, s4, -1
	s_wait_xcnt 0x1
	s_add_nc_u64 s[14:15], s[14:15], 4
	s_cmp_lg_u32 s4, 0
	s_wait_loadcnt 0x2
	v_mov_b32_e32 v14, v5
	s_wait_loadcnt 0x0
	v_pk_mul_f32 v[12:13], v[4:5], v[10:11]
	s_delay_alu instid0(VALU_DEP_2) | instskip(NEXT) | instid1(VALU_DEP_2)
	v_pk_mul_f32 v[4:5], v[14:15], v[10:11]
	v_sub_f32_e32 v3, v12, v13
	s_delay_alu instid0(VALU_DEP_2)
	v_add_f32_e32 v4, v4, v5
	global_store_b32 v[8:9], v3, off offset:-4
	s_wait_xcnt 0x0
	v_add_nc_u64_e32 v[8:9], 4, v[8:9]
	s_cbranch_scc1 .LBB28_33
	s_branch .LBB28_30
.LBB28_34:
	s_endpgm
	.section	.rodata,"a",@progbits
	.p2align	6, 0x0
	.amdhsa_kernel _ZN9rocsolver6v33100L17bdsqr_lower2upperIffPfS2_EEviiiPT0_lS4_lT1_iilT2_iilPiS4_lS7_
		.amdhsa_group_segment_fixed_size 0
		.amdhsa_private_segment_fixed_size 0
		.amdhsa_kernarg_size 384
		.amdhsa_user_sgpr_count 2
		.amdhsa_user_sgpr_dispatch_ptr 0
		.amdhsa_user_sgpr_queue_ptr 0
		.amdhsa_user_sgpr_kernarg_segment_ptr 1
		.amdhsa_user_sgpr_dispatch_id 0
		.amdhsa_user_sgpr_kernarg_preload_length 0
		.amdhsa_user_sgpr_kernarg_preload_offset 0
		.amdhsa_user_sgpr_private_segment_size 0
		.amdhsa_wavefront_size32 1
		.amdhsa_uses_dynamic_stack 0
		.amdhsa_enable_private_segment 0
		.amdhsa_system_sgpr_workgroup_id_x 1
		.amdhsa_system_sgpr_workgroup_id_y 1
		.amdhsa_system_sgpr_workgroup_id_z 0
		.amdhsa_system_sgpr_workgroup_info 0
		.amdhsa_system_vgpr_workitem_id 0
		.amdhsa_next_free_vgpr 18
		.amdhsa_next_free_sgpr 37
		.amdhsa_named_barrier_count 0
		.amdhsa_reserve_vcc 1
		.amdhsa_float_round_mode_32 0
		.amdhsa_float_round_mode_16_64 0
		.amdhsa_float_denorm_mode_32 3
		.amdhsa_float_denorm_mode_16_64 3
		.amdhsa_fp16_overflow 0
		.amdhsa_memory_ordered 1
		.amdhsa_forward_progress 1
		.amdhsa_inst_pref_size 18
		.amdhsa_round_robin_scheduling 0
		.amdhsa_exception_fp_ieee_invalid_op 0
		.amdhsa_exception_fp_denorm_src 0
		.amdhsa_exception_fp_ieee_div_zero 0
		.amdhsa_exception_fp_ieee_overflow 0
		.amdhsa_exception_fp_ieee_underflow 0
		.amdhsa_exception_fp_ieee_inexact 0
		.amdhsa_exception_int_div_zero 0
	.end_amdhsa_kernel
	.section	.text._ZN9rocsolver6v33100L17bdsqr_lower2upperIffPfS2_EEviiiPT0_lS4_lT1_iilT2_iilPiS4_lS7_,"axG",@progbits,_ZN9rocsolver6v33100L17bdsqr_lower2upperIffPfS2_EEviiiPT0_lS4_lT1_iilT2_iilPiS4_lS7_,comdat
.Lfunc_end28:
	.size	_ZN9rocsolver6v33100L17bdsqr_lower2upperIffPfS2_EEviiiPT0_lS4_lT1_iilT2_iilPiS4_lS7_, .Lfunc_end28-_ZN9rocsolver6v33100L17bdsqr_lower2upperIffPfS2_EEviiiPT0_lS4_lT1_iilT2_iilPiS4_lS7_
                                        ; -- End function
	.set _ZN9rocsolver6v33100L17bdsqr_lower2upperIffPfS2_EEviiiPT0_lS4_lT1_iilT2_iilPiS4_lS7_.num_vgpr, 18
	.set _ZN9rocsolver6v33100L17bdsqr_lower2upperIffPfS2_EEviiiPT0_lS4_lT1_iilT2_iilPiS4_lS7_.num_agpr, 0
	.set _ZN9rocsolver6v33100L17bdsqr_lower2upperIffPfS2_EEviiiPT0_lS4_lT1_iilT2_iilPiS4_lS7_.numbered_sgpr, 37
	.set _ZN9rocsolver6v33100L17bdsqr_lower2upperIffPfS2_EEviiiPT0_lS4_lT1_iilT2_iilPiS4_lS7_.num_named_barrier, 0
	.set _ZN9rocsolver6v33100L17bdsqr_lower2upperIffPfS2_EEviiiPT0_lS4_lT1_iilT2_iilPiS4_lS7_.private_seg_size, 0
	.set _ZN9rocsolver6v33100L17bdsqr_lower2upperIffPfS2_EEviiiPT0_lS4_lT1_iilT2_iilPiS4_lS7_.uses_vcc, 1
	.set _ZN9rocsolver6v33100L17bdsqr_lower2upperIffPfS2_EEviiiPT0_lS4_lT1_iilT2_iilPiS4_lS7_.uses_flat_scratch, 0
	.set _ZN9rocsolver6v33100L17bdsqr_lower2upperIffPfS2_EEviiiPT0_lS4_lT1_iilT2_iilPiS4_lS7_.has_dyn_sized_stack, 0
	.set _ZN9rocsolver6v33100L17bdsqr_lower2upperIffPfS2_EEviiiPT0_lS4_lT1_iilT2_iilPiS4_lS7_.has_recursion, 0
	.set _ZN9rocsolver6v33100L17bdsqr_lower2upperIffPfS2_EEviiiPT0_lS4_lT1_iilT2_iilPiS4_lS7_.has_indirect_call, 0
	.section	.AMDGPU.csdata,"",@progbits
; Kernel info:
; codeLenInByte = 2200
; TotalNumSgprs: 39
; NumVgprs: 18
; ScratchSize: 0
; MemoryBound: 0
; FloatMode: 240
; IeeeMode: 1
; LDSByteSize: 0 bytes/workgroup (compile time only)
; SGPRBlocks: 0
; VGPRBlocks: 1
; NumSGPRsForWavesPerEU: 39
; NumVGPRsForWavesPerEU: 18
; NamedBarCnt: 0
; Occupancy: 16
; WaveLimiterHint : 0
; COMPUTE_PGM_RSRC2:SCRATCH_EN: 0
; COMPUTE_PGM_RSRC2:USER_SGPR: 2
; COMPUTE_PGM_RSRC2:TRAP_HANDLER: 0
; COMPUTE_PGM_RSRC2:TGID_X_EN: 1
; COMPUTE_PGM_RSRC2:TGID_Y_EN: 1
; COMPUTE_PGM_RSRC2:TGID_Z_EN: 0
; COMPUTE_PGM_RSRC2:TIDIG_COMP_CNT: 0
	.section	.text._ZN9rocsolver6v33100L13bdsqr_computeILi256EffPfS2_S2_EEviiiiPT1_lS4_lT2_iilT3_iilT4_iiliS3_S3_S3_S3_PiS4_ilS8_,"axG",@progbits,_ZN9rocsolver6v33100L13bdsqr_computeILi256EffPfS2_S2_EEviiiiPT1_lS4_lT2_iilT3_iilT4_iiliS3_S3_S3_S3_PiS4_ilS8_,comdat
	.globl	_ZN9rocsolver6v33100L13bdsqr_computeILi256EffPfS2_S2_EEviiiiPT1_lS4_lT2_iilT3_iilT4_iiliS3_S3_S3_S3_PiS4_ilS8_ ; -- Begin function _ZN9rocsolver6v33100L13bdsqr_computeILi256EffPfS2_S2_EEviiiiPT1_lS4_lT2_iilT3_iilT4_iiliS3_S3_S3_S3_PiS4_ilS8_
	.p2align	8
	.type	_ZN9rocsolver6v33100L13bdsqr_computeILi256EffPfS2_S2_EEviiiiPT1_lS4_lT2_iilT3_iilT4_iiliS3_S3_S3_S3_PiS4_ilS8_,@function
_ZN9rocsolver6v33100L13bdsqr_computeILi256EffPfS2_S2_EEviiiiPT1_lS4_lT2_iilT3_iilT4_iiliS3_S3_S3_S3_PiS4_ilS8_: ; @_ZN9rocsolver6v33100L13bdsqr_computeILi256EffPfS2_S2_EEviiiiPT1_lS4_lT2_iilT3_iilT4_iiliS3_S3_S3_S3_PiS4_ilS8_
; %bb.0:
	s_load_b128 s[4:7], s[0:1], 0xa8
	s_bfe_u32 s2, ttmp6, 0x40014
	s_lshr_b32 s3, ttmp7, 16
	s_add_co_i32 s2, s2, 1
	s_bfe_u32 s9, ttmp6, 0x40008
	s_mul_i32 s8, s3, s2
	s_getreg_b32 s2, hwreg(HW_REG_IB_STS2, 6, 4)
	s_add_co_i32 s9, s9, s8
	s_cmp_eq_u32 s2, 0
	s_mov_b32 s47, 0
	s_cselect_b32 s46, s3, s9
	s_wait_kmcnt 0x0
	s_load_b32 s3, s[6:7], s46 offset:0x8 scale_offset
	s_wait_kmcnt 0x0
	s_cmp_lg_u32 s3, 0
	s_cbranch_scc1 .LBB29_171
; %bb.1:
	s_load_b256 s[8:15], s[0:1], 0x30
	s_mov_b64 s[28:29], 0
	s_mov_b64 s[30:31], 0
	s_wait_kmcnt 0x0
	s_cmp_eq_u64 s[8:9], 0
	s_cbranch_scc1 .LBB29_3
; %bb.2:
	s_mul_u64 s[6:7], s[12:13], s[46:47]
	s_ashr_i32 s13, s10, 31
	s_lshl_b64 s[6:7], s[6:7], 2
	s_mov_b32 s12, s10
	s_add_nc_u64 s[6:7], s[8:9], s[6:7]
	s_lshl_b64 s[8:9], s[12:13], 2
	s_delay_alu instid0(SALU_CYCLE_1)
	s_add_nc_u64 s[30:31], s[6:7], s[8:9]
.LBB29_3:
	s_clause 0x1
	s_load_b64 s[8:9], s[0:1], 0x50
	s_load_b128 s[16:19], s[0:1], 0x58
	s_cmp_eq_u64 s[14:15], 0
	s_cbranch_scc1 .LBB29_5
; %bb.4:
	s_wait_kmcnt 0x0
	s_mul_u64 s[6:7], s[16:17], s[46:47]
	s_ashr_i32 s13, s8, 31
	s_lshl_b64 s[6:7], s[6:7], 2
	s_mov_b32 s12, s8
	s_add_nc_u64 s[6:7], s[14:15], s[6:7]
	s_lshl_b64 s[12:13], s[12:13], 2
	s_delay_alu instid0(SALU_CYCLE_1)
	s_add_nc_u64 s[28:29], s[6:7], s[12:13]
.LBB29_5:
	s_load_b64 s[34:35], s[0:1], 0x68
	s_wait_kmcnt 0x0
	s_cmp_eq_u64 s[18:19], 0
	s_mov_b64 s[36:37], 0
	s_cbranch_scc1 .LBB29_7
; %bb.6:
	s_load_b64 s[6:7], s[0:1], 0x70
	s_ashr_i32 s13, s34, 31
	s_mov_b32 s12, s34
	s_delay_alu instid0(SALU_CYCLE_1) | instskip(SKIP_2) | instid1(SALU_CYCLE_1)
	s_lshl_b64 s[12:13], s[12:13], 2
	s_wait_kmcnt 0x0
	s_mul_u64 s[6:7], s[6:7], s[46:47]
	s_lshl_b64 s[6:7], s[6:7], 2
	s_delay_alu instid0(SALU_CYCLE_1) | instskip(NEXT) | instid1(SALU_CYCLE_1)
	s_add_nc_u64 s[6:7], s[18:19], s[6:7]
	s_add_nc_u64 s[36:37], s[6:7], s[12:13]
.LBB29_7:
	s_load_b128 s[24:27], s[0:1], 0x90
	s_bfe_u32 s3, ttmp6, 0x40010
	s_and_b32 s6, ttmp7, 0xffff
	s_add_co_i32 s3, s3, 1
	s_bfe_u32 s7, ttmp6, 0x40004
	s_mul_i32 s3, s6, s3
	s_delay_alu instid0(SALU_CYCLE_1)
	s_add_co_i32 s7, s7, s3
	s_cmp_eq_u32 s2, 0
	s_mul_u64 s[2:3], s[4:5], s[46:47]
	s_cselect_b32 s8, s6, s7
	s_lshl_b64 s[2:3], s[2:3], 2
	s_wait_kmcnt 0x0
	s_add_nc_u64 s[26:27], s[26:27], s[2:3]
	s_load_b32 s2, s[26:27], 0x8
	s_wait_kmcnt 0x0
	s_cvt_i32_f32 s10, s2
	s_delay_alu instid0(SALU_CYCLE_3)
	s_cmp_ge_i32 s8, s10
	s_cbranch_scc1 .LBB29_171
; %bb.8:
	s_clause 0x1
	s_load_b128 s[20:23], s[0:1], 0x0
	s_load_b256 s[12:19], s[0:1], 0x10
                                        ; implicit-def: $vgpr23 : SGPR spill to VGPR lane
	s_add_nc_u64 s[38:39], s[0:1], 0xb8
	s_clause 0x3
	s_load_b64 s[40:41], s[0:1], 0x78
	s_load_b64 s[42:43], s[0:1], 0x84
	s_load_b32 s33, s[0:1], 0xa0
	s_load_b32 s34, s[0:1], 0xbc
	v_dual_mov_b32 v3, 0 :: v_dual_lshlrev_b32 v2, 2, v0
	v_mul_lo_u32 v1, v0, s11
	v_mul_lo_u32 v20, v0, s35
	v_cmp_gt_u32_e64 s2, 0x80, v0
	v_cmp_gt_u32_e64 s3, 64, v0
	;; [unrolled: 1-line block ×3, first 2 shown]
	v_cmp_eq_u32_e64 s5, 0, v0
	v_mov_b32_e32 v21, 1
	s_add_nc_u64 s[44:45], s[26:27], 12
	s_add_nc_u64 s[52:53], s[26:27], 16
	s_wait_kmcnt 0x0
	s_mul_i32 s6, s46, s20
	s_mul_u64 s[18:19], s[18:19], s[46:47]
	s_mul_u64 s[0:1], s[14:15], s[46:47]
	v_writelane_b32 v23, s18, 0
	s_lshl_b64 s[14:15], s[0:1], 2
	v_cmp_gt_i32_e64 s0, s21, v0
	s_lshl_b32 s6, s6, 1
	s_add_nc_u64 s[12:13], s[12:13], s[14:15]
	v_writelane_b32 v23, s19, 1
	s_ashr_i32 s7, s6, 31
	s_lshl_b64 s[18:19], s[18:19], 2
	s_lshl_b64 s[48:49], s[6:7], 2
	s_cmp_lg_u32 s21, 0
	v_writelane_b32 v23, s0, 2
	v_cmp_gt_i32_e64 s0, s22, v0
	s_cselect_b32 s20, -1, 0
	s_or_b32 s1, s23, s22
	v_add_nc_u64_e32 v[4:5], s[12:13], v[2:3]
	s_cmp_eq_u32 s1, 0
	v_writelane_b32 v23, s0, 3
	v_cmp_gt_i32_e64 s0, s23, v0
	s_cselect_b32 s104, -1, 0
	s_cmp_lg_u64 s[30:31], 0
	s_add_nc_u64 s[24:25], s[24:25], s[48:49]
	s_cselect_b32 s7, -1, 0
	v_writelane_b32 v23, s0, 4
	s_add_nc_u64 s[0:1], s[16:17], -4
	s_add_nc_u64 s[16:17], s[16:17], s[18:19]
	s_and_b32 vcc_hi, s20, s7
	s_cmp_lg_u64 s[28:29], 0
	v_writelane_b32 v23, s0, 5
	s_cselect_b32 s7, -1, 0
	s_cmp_lg_u32 s22, 0
	v_add_nc_u64_e32 v[6:7], s[16:17], v[2:3]
	s_cselect_b32 s14, -1, 0
	v_writelane_b32 v23, s1, 6
	s_add_nc_u64 s[0:1], s[16:17], -4
	s_and_b32 s46, s14, s7
	s_cmp_lg_u64 s[36:37], 0
	v_writelane_b32 v23, s0, 7
	s_cselect_b32 s7, -1, 0
	s_cmp_lg_u32 s23, 0
	s_cselect_b32 s14, -1, 0
	v_writelane_b32 v23, s1, 8
	s_add_nc_u64 s[0:1], s[12:13], -4
	s_and_b32 s47, s14, s7
	v_writelane_b32 v23, s0, 9
	v_writelane_b32 v23, s1, 10
	s_add_nc_u64 s[0:1], s[26:27], 20
	s_delay_alu instid0(SALU_CYCLE_1)
	v_writelane_b32 v23, s0, 11
	v_writelane_b32 v23, s1, 12
	s_branch .LBB29_11
.LBB29_9:                               ;   in Loop: Header=BB29_11 Depth=1
	s_or_b32 exec_lo, exec_lo, s7
.LBB29_10:                              ;   in Loop: Header=BB29_11 Depth=1
	s_add_co_i32 s8, s34, s8
	s_delay_alu instid0(SALU_CYCLE_1)
	s_cmp_lt_i32 s8, s10
	s_cbranch_scc0 .LBB29_171
.LBB29_11:                              ; =>This Loop Header: Depth=1
                                        ;     Child Loop BB29_15 Depth 2
                                        ;     Child Loop BB29_40 Depth 2
	;; [unrolled: 1-line block ×5, first 2 shown]
                                        ;       Child Loop BB29_155 Depth 3
                                        ;     Child Loop BB29_160 Depth 2
                                        ;       Child Loop BB29_161 Depth 3
                                        ;     Child Loop BB29_166 Depth 2
                                        ;       Child Loop BB29_167 Depth 3
	s_lshl_b32 s14, s8, 2
	s_delay_alu instid0(SALU_CYCLE_1) | instskip(NEXT) | instid1(SALU_CYCLE_1)
	s_ashr_i32 s15, s14, 31
	s_lshl_b64 s[14:15], s[14:15], 2
	s_wait_xcnt 0x0
	s_add_nc_u64 s[64:65], s[24:25], s[14:15]
	global_load_b64 v[8:9], v3, s[64:65] offset:4
	s_wait_loadcnt 0x0
	v_readfirstlane_b32 s56, v9
	v_readfirstlane_b32 s58, v8
	s_cmp_le_i32 s56, s58
	s_cbranch_scc1 .LBB29_10
; %bb.12:                               ;   in Loop: Header=BB29_11 Depth=1
	global_load_b32 v8, v3, s[64:65] offset:12
	s_wait_loadcnt 0x0
	v_cmp_le_i32_e32 vcc_lo, s40, v8
	s_cbranch_vccnz .LBB29_10
; %bb.13:                               ;   in Loop: Header=BB29_11 Depth=1
	v_mov_b32_e32 v10, 0
	s_sub_co_i32 s54, s56, s58
	s_ashr_i32 s59, s58, 31
	s_mov_b32 s7, exec_lo
	s_wait_xcnt 0x0
	v_cmpx_ge_i32_e64 s54, v0
	s_cbranch_execz .LBB29_17
; %bb.14:                               ;   in Loop: Header=BB29_11 Depth=1
	v_lshl_add_u64 v[8:9], s[58:59], 2, v[4:5]
	v_dual_mov_b32 v10, 0 :: v_dual_mov_b32 v11, v0
	s_mov_b32 s14, 0
.LBB29_15:                              ;   Parent Loop BB29_11 Depth=1
                                        ; =>  This Inner Loop Header: Depth=2
	global_load_b32 v12, v[8:9], off
	v_add_nc_u32_e32 v11, 0x100, v11
	s_wait_xcnt 0x0
	v_add_nc_u64_e32 v[8:9], 0x400, v[8:9]
	s_delay_alu instid0(VALU_DEP_2) | instskip(SKIP_3) | instid1(VALU_DEP_1)
	v_cmp_lt_i32_e32 vcc_lo, s54, v11
	s_or_b32 s14, vcc_lo, s14
	s_wait_loadcnt 0x0
	v_cmp_lt_f32_e64 s15, v10, |v12|
	v_cndmask_b32_e64 v10, v10, |v12|, s15
	s_and_not1_b32 exec_lo, exec_lo, s14
	s_cbranch_execnz .LBB29_15
; %bb.16:                               ;   in Loop: Header=BB29_11 Depth=1
	s_or_b32 exec_lo, exec_lo, s14
.LBB29_17:                              ;   in Loop: Header=BB29_11 Depth=1
	s_delay_alu instid0(SALU_CYCLE_1)
	s_or_b32 exec_lo, exec_lo, s7
	ds_store_b32 v2, v10
	s_wait_dscnt 0x0
	s_barrier_signal -1
	s_barrier_wait -1
	s_and_saveexec_b32 s7, s2
	s_cbranch_execz .LBB29_21
; %bb.18:                               ;   in Loop: Header=BB29_11 Depth=1
	ds_load_b32 v8, v2 offset:512
	s_mov_b32 s14, exec_lo
	s_wait_dscnt 0x0
	v_cmpx_lt_f32_e32 v10, v8
; %bb.19:                               ;   in Loop: Header=BB29_11 Depth=1
	v_mov_b32_e32 v10, v8
	ds_store_b32 v2, v8
; %bb.20:                               ;   in Loop: Header=BB29_11 Depth=1
	s_or_b32 exec_lo, exec_lo, s14
.LBB29_21:                              ;   in Loop: Header=BB29_11 Depth=1
	s_delay_alu instid0(SALU_CYCLE_1)
	s_or_b32 exec_lo, exec_lo, s7
	s_wait_dscnt 0x0
	s_barrier_signal -1
	s_barrier_wait -1
	s_and_saveexec_b32 s7, s3
	s_cbranch_execz .LBB29_25
; %bb.22:                               ;   in Loop: Header=BB29_11 Depth=1
	ds_load_b32 v8, v2 offset:256
	s_mov_b32 s14, exec_lo
	s_wait_dscnt 0x0
	v_cmpx_lt_f32_e32 v10, v8
; %bb.23:                               ;   in Loop: Header=BB29_11 Depth=1
	v_mov_b32_e32 v10, v8
	ds_store_b32 v2, v8
; %bb.24:                               ;   in Loop: Header=BB29_11 Depth=1
	s_or_b32 exec_lo, exec_lo, s14
.LBB29_25:                              ;   in Loop: Header=BB29_11 Depth=1
	s_delay_alu instid0(SALU_CYCLE_1)
	s_or_b32 exec_lo, exec_lo, s7
	s_wait_dscnt 0x0
	s_barrier_signal -1
	s_barrier_wait -1
	s_and_saveexec_b32 s7, s4
	s_cbranch_execz .LBB29_38
; %bb.26:                               ;   in Loop: Header=BB29_11 Depth=1
	ds_load_b32 v8, v2 offset:128
	s_mov_b32 s14, exec_lo
	s_wait_dscnt 0x0
	v_cmpx_lt_f32_e32 v10, v8
; %bb.27:                               ;   in Loop: Header=BB29_11 Depth=1
	v_mov_b32_e32 v10, v8
	ds_store_b32 v2, v8
; %bb.28:                               ;   in Loop: Header=BB29_11 Depth=1
	s_or_b32 exec_lo, exec_lo, s14
	ds_load_b32 v8, v2 offset:64
	s_mov_b32 s14, exec_lo
	s_wait_dscnt 0x0
	v_cmpx_lt_f32_e32 v10, v8
; %bb.29:                               ;   in Loop: Header=BB29_11 Depth=1
	v_mov_b32_e32 v10, v8
	ds_store_b32 v2, v8
; %bb.30:                               ;   in Loop: Header=BB29_11 Depth=1
	s_or_b32 exec_lo, exec_lo, s14
	;; [unrolled: 9-line block ×5, first 2 shown]
	ds_load_b32 v8, v2 offset:4
	s_wait_dscnt 0x0
	v_cmp_lt_f32_e32 vcc_lo, v10, v8
	s_and_b32 exec_lo, exec_lo, vcc_lo
; %bb.37:                               ;   in Loop: Header=BB29_11 Depth=1
	ds_store_b32 v2, v8
.LBB29_38:                              ;   in Loop: Header=BB29_11 Depth=1
	s_or_b32 exec_lo, exec_lo, s7
	v_mov_b32_e32 v10, 0
	s_mov_b32 s7, exec_lo
	s_wait_dscnt 0x0
	s_barrier_signal -1
	s_barrier_wait -1
	v_cmpx_gt_i32_e64 s54, v0
	s_cbranch_execz .LBB29_42
; %bb.39:                               ;   in Loop: Header=BB29_11 Depth=1
	v_lshl_add_u64 v[8:9], s[58:59], 2, v[6:7]
	v_dual_mov_b32 v10, 0 :: v_dual_mov_b32 v11, v0
	s_mov_b32 s14, 0
.LBB29_40:                              ;   Parent Loop BB29_11 Depth=1
                                        ; =>  This Inner Loop Header: Depth=2
	global_load_b32 v12, v[8:9], off
	v_add_nc_u32_e32 v11, 0x100, v11
	s_wait_xcnt 0x0
	v_add_nc_u64_e32 v[8:9], 0x400, v[8:9]
	s_delay_alu instid0(VALU_DEP_2) | instskip(SKIP_3) | instid1(VALU_DEP_1)
	v_cmp_le_i32_e32 vcc_lo, s54, v11
	s_or_b32 s14, vcc_lo, s14
	s_wait_loadcnt 0x0
	v_cmp_lt_f32_e64 s15, v10, |v12|
	v_cndmask_b32_e64 v10, v10, |v12|, s15
	s_and_not1_b32 exec_lo, exec_lo, s14
	s_cbranch_execnz .LBB29_40
; %bb.41:                               ;   in Loop: Header=BB29_11 Depth=1
	s_or_b32 exec_lo, exec_lo, s14
.LBB29_42:                              ;   in Loop: Header=BB29_11 Depth=1
	s_delay_alu instid0(SALU_CYCLE_1)
	s_or_b32 exec_lo, exec_lo, s7
	s_cmp_lt_i32 s54, 2
	ds_store_b32 v2, v10 offset:4
	s_wait_dscnt 0x0
	s_barrier_signal -1
	s_barrier_wait -1
	s_cbranch_scc1 .LBB29_65
; %bb.43:                               ;   in Loop: Header=BB29_11 Depth=1
	s_and_saveexec_b32 s7, s2
	s_cbranch_execz .LBB29_47
; %bb.44:                               ;   in Loop: Header=BB29_11 Depth=1
	ds_load_b32 v8, v2 offset:516
	s_mov_b32 s14, exec_lo
	s_wait_dscnt 0x0
	v_cmpx_lt_f32_e32 v10, v8
; %bb.45:                               ;   in Loop: Header=BB29_11 Depth=1
	v_mov_b32_e32 v10, v8
	ds_store_b32 v2, v8 offset:4
; %bb.46:                               ;   in Loop: Header=BB29_11 Depth=1
	s_or_b32 exec_lo, exec_lo, s14
.LBB29_47:                              ;   in Loop: Header=BB29_11 Depth=1
	s_delay_alu instid0(SALU_CYCLE_1)
	s_or_b32 exec_lo, exec_lo, s7
	s_wait_dscnt 0x0
	s_barrier_signal -1
	s_barrier_wait -1
	s_and_saveexec_b32 s7, s3
	s_cbranch_execz .LBB29_51
; %bb.48:                               ;   in Loop: Header=BB29_11 Depth=1
	ds_load_b32 v8, v2 offset:260
	s_mov_b32 s14, exec_lo
	s_wait_dscnt 0x0
	v_cmpx_lt_f32_e32 v10, v8
; %bb.49:                               ;   in Loop: Header=BB29_11 Depth=1
	v_mov_b32_e32 v10, v8
	ds_store_b32 v2, v8 offset:4
; %bb.50:                               ;   in Loop: Header=BB29_11 Depth=1
	s_or_b32 exec_lo, exec_lo, s14
.LBB29_51:                              ;   in Loop: Header=BB29_11 Depth=1
	s_delay_alu instid0(SALU_CYCLE_1)
	s_or_b32 exec_lo, exec_lo, s7
	s_wait_dscnt 0x0
	s_barrier_signal -1
	s_barrier_wait -1
	s_and_saveexec_b32 s7, s4
	s_cbranch_execz .LBB29_64
; %bb.52:                               ;   in Loop: Header=BB29_11 Depth=1
	ds_load_b32 v8, v2 offset:132
	s_mov_b32 s14, exec_lo
	s_wait_dscnt 0x0
	v_cmpx_lt_f32_e32 v10, v8
; %bb.53:                               ;   in Loop: Header=BB29_11 Depth=1
	v_mov_b32_e32 v10, v8
	ds_store_b32 v2, v8 offset:4
; %bb.54:                               ;   in Loop: Header=BB29_11 Depth=1
	s_or_b32 exec_lo, exec_lo, s14
	ds_load_b32 v8, v2 offset:68
	s_mov_b32 s14, exec_lo
	s_wait_dscnt 0x0
	v_cmpx_lt_f32_e32 v10, v8
; %bb.55:                               ;   in Loop: Header=BB29_11 Depth=1
	v_mov_b32_e32 v10, v8
	ds_store_b32 v2, v8 offset:4
; %bb.56:                               ;   in Loop: Header=BB29_11 Depth=1
	s_or_b32 exec_lo, exec_lo, s14
	;; [unrolled: 9-line block ×5, first 2 shown]
	ds_load_b32 v8, v2 offset:8
	s_wait_dscnt 0x0
	v_cmp_lt_f32_e32 vcc_lo, v10, v8
	s_and_b32 exec_lo, exec_lo, vcc_lo
; %bb.63:                               ;   in Loop: Header=BB29_11 Depth=1
	ds_store_b32 v2, v8 offset:4
.LBB29_64:                              ;   in Loop: Header=BB29_11 Depth=1
	s_or_b32 exec_lo, exec_lo, s7
.LBB29_65:                              ;   in Loop: Header=BB29_11 Depth=1
	s_lshl_b64 s[60:61], s[58:59], 2
	s_wait_dscnt 0x0
	s_add_nc_u64 s[68:69], s[16:17], s[60:61]
	s_add_nc_u64 s[76:77], s[12:13], s[60:61]
	s_barrier_signal -1
	s_barrier_wait -1
	s_and_saveexec_b32 s7, s5
	s_cbranch_execz .LBB29_79
; %bb.66:                               ;   in Loop: Header=BB29_11 Depth=1
	v_mov_b32_e32 v8, s56
	s_clause 0x1
	global_load_b32 v9, v3, s[76:77]
	global_load_b32 v8, v8, s[12:13] scale_offset
	s_wait_loadcnt 0x1
	v_readfirstlane_b32 s14, v9
	s_wait_loadcnt 0x0
	v_readfirstlane_b32 s15, v8
	s_bitset0_b32 s14, 31
	s_bitset0_b32 s15, 31
	s_delay_alu instid0(SALU_CYCLE_1)
	s_cmp_ge_f32 s14, s15
	s_cselect_b32 s48, -1, 0
	s_ashr_i32 s55, s54, 31
	s_wait_xcnt 0x0
	v_cndmask_b32_e64 v8, 0, 1, s48
	s_lshl_b64 s[18:19], s[54:55], 2
	s_and_b32 s49, s48, exec_lo
	s_add_nc_u64 s[18:19], s[76:77], s[18:19]
	s_mov_b32 s55, 0
	s_cselect_b32 s19, s77, s19
	s_cselect_b32 s18, s76, s18
	s_not_b32 s49, s58
	global_load_b32 v9, v3, s[18:19]
	s_add_co_i32 s49, s49, s56
	ds_store_b32 v3, v8 offset:1028
	s_wait_loadcnt 0x0
	s_wait_xcnt 0x0
	v_readfirstlane_b32 s18, v9
	s_and_b32 s19, s18, 0x7fffffff
	s_delay_alu instid0(SALU_CYCLE_1)
	s_mov_b32 s57, s19
	s_branch .LBB29_68
.LBB29_67:                              ;   in Loop: Header=BB29_68 Depth=2
	s_and_not1_b32 vcc_lo, exec_lo, s63
	s_cbranch_vccz .LBB29_70
.LBB29_68:                              ;   Parent Loop BB29_11 Depth=1
                                        ; =>  This Inner Loop Header: Depth=2
	s_and_b32 s18, s48, exec_lo
	s_cselect_b32 s18, s55, s49
	s_mul_f32 s62, s42, s57
	v_mov_b32_e32 v8, s18
	s_mov_b32 s63, -1
	global_load_b32 v8, v8, s[68:69] scale_offset
	s_wait_loadcnt 0x0
	s_wait_xcnt 0x0
	v_and_b32_e32 v8, 0x7fffffff, v8
	s_delay_alu instid0(VALU_DEP_1)
	v_cmp_nge_f32_e32 vcc_lo, s62, v8
	s_mov_b32 s62, -1
	s_cbranch_vccz .LBB29_67
; %bb.69:                               ;   in Loop: Header=BB29_68 Depth=2
	s_add_co_i32 s55, s55, 1
	s_and_b32 s62, s48, exec_lo
	s_cselect_b32 s62, s55, s49
	s_delay_alu instid0(SALU_CYCLE_1) | instskip(NEXT) | instid1(VALU_DEP_1)
	v_dual_add_f32 v8, s57, v8 :: v_dual_mov_b32 v9, s62
	v_div_scale_f32 v10, null, v8, v8, s57
	global_load_b32 v9, v9, s[76:77] scale_offset
	v_div_scale_f32 v13, vcc_lo, s57, v8, s57
	v_rcp_f32_e32 v11, v10
	v_nop
	v_xor_b32_e32 v10, 0x80000000, v10
	s_delay_alu instid0(TRANS32_DEP_1) | instid1(VALU_DEP_1)
	v_fma_f32 v12, v10, v11, 1.0
	s_delay_alu instid0(VALU_DEP_1) | instskip(NEXT) | instid1(VALU_DEP_1)
	v_fmac_f32_e32 v11, v12, v11
	v_mul_f32_e32 v12, v13, v11
	s_delay_alu instid0(VALU_DEP_1) | instskip(NEXT) | instid1(VALU_DEP_1)
	v_fma_f32 v14, v10, v12, v13
	v_fmac_f32_e32 v12, v14, v11
	s_delay_alu instid0(VALU_DEP_1) | instskip(NEXT) | instid1(VALU_DEP_1)
	v_fmac_f32_e32 v13, v10, v12
	v_div_fmas_f32 v10, v13, v11, v12
	s_delay_alu instid0(VALU_DEP_1) | instskip(NEXT) | instid1(VALU_DEP_1)
	v_div_fixup_f32 v8, v10, v8, s57
	v_readfirstlane_b32 s62, v8
	s_wait_loadcnt 0x0
	v_readfirstlane_b32 s57, v9
	s_bitset0_b32 s57, 31
	s_delay_alu instid0(SALU_CYCLE_1) | instskip(SKIP_1) | instid1(SALU_CYCLE_2)
	s_mul_f32 s57, s62, s57
	s_mov_b32 s62, 0
	s_cmp_lt_f32 s57, s19
	s_cselect_b32 s19, s57, s19
	s_add_co_i32 s49, s49, -1
	s_delay_alu instid0(SALU_CYCLE_1)
	s_cmp_eq_u32 s49, -1
	s_cselect_b32 s63, -1, 0
	s_branch .LBB29_67
.LBB29_70:                              ;   in Loop: Header=BB29_11 Depth=1
	s_and_b32 vcc_lo, exec_lo, s62
	s_cbranch_vccz .LBB29_72
; %bb.71:                               ;   in Loop: Header=BB29_11 Depth=1
	s_ashr_i32 s19, s18, 31
	s_delay_alu instid0(SALU_CYCLE_1) | instskip(NEXT) | instid1(SALU_CYCLE_1)
	s_lshl_b64 s[18:19], s[18:19], 2
	s_add_nc_u64 s[62:63], s[68:69], s[18:19]
	s_mov_b32 s19, -1.0
	global_store_b32 v3, v3, s[62:63]
.LBB29_72:                              ;   in Loop: Header=BB29_11 Depth=1
	v_mov_b32_e32 v8, s19
	s_cmp_nge_f32 s19, 0
	ds_store_b32 v3, v8 offset:1032
	ds_store_b8 v3, v3 offset:1036
	s_cbranch_scc1 .LBB29_79
; %bb.73:                               ;   in Loop: Header=BB29_11 Depth=1
	s_wait_xcnt 0x0
	ds_load_b64 v[8:9], v3
	s_mov_b32 s18, -1
	s_wait_dscnt 0x0
	v_cmp_lt_f32_e32 vcc_lo, v8, v9
	v_cndmask_b32_e32 v8, v8, v9, vcc_lo
	s_delay_alu instid0(VALU_DEP_1) | instskip(NEXT) | instid1(VALU_DEP_1)
	v_div_scale_f32 v9, null, v8, v8, s19
	v_rcp_f32_e32 v10, v9
	v_nop
	v_xor_b32_e32 v9, 0x80000000, v9
	s_delay_alu instid0(TRANS32_DEP_1) | instid1(VALU_DEP_1)
	v_fma_f32 v11, v9, v10, 1.0
	s_delay_alu instid0(VALU_DEP_1) | instskip(SKIP_1) | instid1(VALU_DEP_1)
	v_fmac_f32_e32 v10, v11, v10
	v_div_scale_f32 v11, vcc_lo, s19, v8, s19
	v_mul_f32_e32 v12, v11, v10
	s_delay_alu instid0(VALU_DEP_1) | instskip(NEXT) | instid1(VALU_DEP_1)
	v_fma_f32 v13, v9, v12, v11
	v_fmac_f32_e32 v12, v13, v10
	s_delay_alu instid0(VALU_DEP_1) | instskip(NEXT) | instid1(VALU_DEP_1)
	v_fmac_f32_e32 v11, v9, v12
	v_div_fmas_f32 v9, v11, v10, v12
	s_delay_alu instid0(VALU_DEP_1) | instskip(NEXT) | instid1(VALU_DEP_1)
	v_div_fixup_f32 v8, v9, v8, s19
	v_cmp_ge_f32_e32 vcc_lo, s43, v8
	s_cbranch_vccnz .LBB29_76
; %bb.74:                               ;   in Loop: Header=BB29_11 Depth=1
	s_and_b32 s18, s48, exec_lo
	s_cselect_b32 s14, s14, s15
	s_mov_b32 s18, 0
	s_cmp_gt_f32 s14, 0
	s_cbranch_scc0 .LBB29_76
; %bb.75:                               ;   in Loop: Header=BB29_11 Depth=1
	s_mul_f32 s15, s19, s19
	s_delay_alu instid0(SALU_CYCLE_3) | instskip(SKIP_1) | instid1(VALU_DEP_2)
	v_div_scale_f32 v8, null, s14, s14, s15
	v_div_scale_f32 v11, vcc_lo, s15, s14, s15
	v_rcp_f32_e32 v9, v8
	v_nop
	v_xor_b32_e32 v8, 0x80000000, v8
	s_delay_alu instid0(TRANS32_DEP_1) | instid1(VALU_DEP_1)
	v_fma_f32 v10, v8, v9, 1.0
	s_delay_alu instid0(VALU_DEP_1) | instskip(NEXT) | instid1(VALU_DEP_1)
	v_fmac_f32_e32 v9, v10, v9
	v_mul_f32_e32 v10, v11, v9
	s_delay_alu instid0(VALU_DEP_1) | instskip(NEXT) | instid1(VALU_DEP_1)
	v_fma_f32 v12, v8, v10, v11
	v_fmac_f32_e32 v10, v12, v9
	s_delay_alu instid0(VALU_DEP_1) | instskip(NEXT) | instid1(VALU_DEP_1)
	v_fmac_f32_e32 v11, v8, v10
	v_div_fmas_f32 v8, v11, v9, v10
	s_delay_alu instid0(VALU_DEP_1) | instskip(NEXT) | instid1(VALU_DEP_1)
	v_div_fixup_f32 v8, v8, s14, s15
	v_div_scale_f32 v9, null, s14, s14, v8
	s_delay_alu instid0(VALU_DEP_1)
	v_rcp_f32_e32 v10, v9
	v_nop
	v_xor_b32_e32 v9, 0x80000000, v9
	s_delay_alu instid0(TRANS32_DEP_1) | instid1(VALU_DEP_1)
	v_fma_f32 v11, v9, v10, 1.0
	s_delay_alu instid0(VALU_DEP_1) | instskip(SKIP_1) | instid1(VALU_DEP_1)
	v_fmac_f32_e32 v10, v11, v10
	v_div_scale_f32 v11, vcc_lo, v8, s14, v8
	v_mul_f32_e32 v12, v11, v10
	s_delay_alu instid0(VALU_DEP_1) | instskip(NEXT) | instid1(VALU_DEP_1)
	v_fma_f32 v13, v9, v12, v11
	v_fmac_f32_e32 v12, v13, v10
	s_delay_alu instid0(VALU_DEP_1) | instskip(NEXT) | instid1(VALU_DEP_1)
	v_fmac_f32_e32 v11, v9, v12
	v_div_fmas_f32 v9, v11, v10, v12
	s_delay_alu instid0(VALU_DEP_1) | instskip(NEXT) | instid1(VALU_DEP_1)
	v_div_fixup_f32 v8, v9, s14, v8
	v_cmp_gt_f32_e64 s18, s41, v8
.LBB29_76:                              ;   in Loop: Header=BB29_11 Depth=1
	s_delay_alu instid0(VALU_DEP_1)
	s_and_b32 vcc_lo, exec_lo, s18
	s_cbranch_vccz .LBB29_78
; %bb.77:                               ;   in Loop: Header=BB29_11 Depth=1
	ds_store_b32 v3, v3 offset:1032
.LBB29_78:                              ;   in Loop: Header=BB29_11 Depth=1
	ds_store_b8 v3, v21 offset:1036
.LBB29_79:                              ;   in Loop: Header=BB29_11 Depth=1
	s_wait_xcnt 0x0
	s_or_b32 exec_lo, exec_lo, s7
	s_wait_storecnt_dscnt 0x0
	s_barrier_signal -1
	s_barrier_wait -1
	ds_load_u8 v8, v3 offset:1036
	s_mov_b32 s7, -1
	s_wait_dscnt 0x0
	v_cmp_eq_u32_e32 vcc_lo, 0, v8
	s_cbranch_vccz .LBB29_83
; %bb.80:                               ;   in Loop: Header=BB29_11 Depth=1
	s_and_saveexec_b32 s7, s5
	s_cbranch_execz .LBB29_82
; %bb.81:                               ;   in Loop: Header=BB29_11 Depth=1
	global_store_b32 v3, v3, s[64:65]
.LBB29_82:                              ;   in Loop: Header=BB29_11 Depth=1
	s_wait_xcnt 0x0
	s_or_b32 exec_lo, exec_lo, s7
	s_mov_b32 s7, 0
.LBB29_83:                              ;   in Loop: Header=BB29_11 Depth=1
	s_delay_alu instid0(SALU_CYCLE_1)
	s_and_not1_b32 vcc_lo, exec_lo, s7
	s_cbranch_vccnz .LBB29_10
; %bb.84:                               ;   in Loop: Header=BB29_11 Depth=1
	ds_load_b32 v8, v3 offset:1028
	s_wait_dscnt 0x0
	v_readfirstlane_b32 s62, v8
	s_and_saveexec_b32 s7, s5
	s_cbranch_execz .LBB29_86
; %bb.85:                               ;   in Loop: Header=BB29_11 Depth=1
	s_cmp_eq_u32 s62, 0
	s_cselect_b32 s14, -1, 1
	s_delay_alu instid0(SALU_CYCLE_1)
	v_mov_b32_e32 v8, s14
	global_store_b32 v3, v8, s[64:65]
.LBB29_86:                              ;   in Loop: Header=BB29_11 Depth=1
	s_wait_xcnt 0x0
	s_or_b32 exec_lo, exec_lo, s7
	s_add_co_i32 s72, s54, 1
	s_mul_i32 s64, s58, s33
	s_sub_co_i32 s70, 1, s62
	s_ashr_i32 s65, s64, 31
	s_sub_co_i32 s55, s62, s70
	s_lshl_b32 s7, s72, 1
	s_and_b32 s14, s20, exec_lo
	s_cselect_b32 s66, s7, 0
	s_and_saveexec_b32 s57, s5
	s_cbranch_execz .LBB29_149
; %bb.87:                               ;   in Loop: Header=BB29_11 Depth=1
	s_cmp_lg_u32 s62, 0
	v_mov_b32_e32 v10, 0
	s_cselect_b32 s48, -1, 0
	v_mov_b32_e32 v13, 0
	s_and_b32 s7, s48, exec_lo
	s_cselect_b32 s74, 0, s54
	s_delay_alu instid0(SALU_CYCLE_1)
	v_mov_b32_e32 v8, s74
	global_load_b32 v9, v8, s[76:77] scale_offset
	s_wait_loadcnt 0x0
	v_cmp_eq_f32_e32 vcc_lo, 0, v9
	s_cbranch_vccnz .LBB29_89
; %bb.88:                               ;   in Loop: Header=BB29_11 Depth=1
	s_wait_xcnt 0x0
	ds_load_b32 v8, v3 offset:1032
	v_cmp_lt_f32_e64 s7, 0, v9
	s_wait_dscnt 0x0
	v_div_scale_f32 v10, null, v9, v9, v8
	v_div_scale_f32 v14, vcc_lo, v8, v9, v8
	s_delay_alu instid0(VALU_DEP_2)
	v_rcp_f32_e32 v11, v10
	v_nop
	v_xor_b32_e32 v10, 0x80000000, v10
	s_delay_alu instid0(TRANS32_DEP_1) | instid1(VALU_DEP_1)
	v_fma_f32 v12, v10, v11, 1.0
	s_delay_alu instid0(VALU_DEP_1) | instskip(NEXT) | instid1(VALU_DEP_1)
	v_fmac_f32_e32 v11, v12, v11
	v_mul_f32_e32 v12, v14, v11
	s_delay_alu instid0(VALU_DEP_1) | instskip(NEXT) | instid1(VALU_DEP_1)
	v_fma_f32 v15, v10, v12, v14
	v_fmac_f32_e32 v12, v15, v11
	v_cndmask_b32_e64 v15, 0, 1, s7
	v_cmp_gt_f32_e64 s7, 0, v9
	s_delay_alu instid0(VALU_DEP_3) | instskip(NEXT) | instid1(VALU_DEP_2)
	v_fmac_f32_e32 v14, v10, v12
	v_subrev_co_ci_u32_e64 v10, null, 0, v15, s7
	s_delay_alu instid0(VALU_DEP_2) | instskip(SKIP_1) | instid1(VALU_DEP_3)
	v_div_fmas_f32 v11, v14, v11, v12
	v_and_b32_e32 v12, 0x7fffffff, v9
	v_cvt_f32_i32_e32 v10, v10
	s_delay_alu instid0(VALU_DEP_3) | instskip(NEXT) | instid1(VALU_DEP_1)
	v_div_fixup_f32 v11, v11, v9, v8
	v_dual_sub_f32 v8, v12, v8 :: v_dual_add_f32 v10, v11, v10
	s_delay_alu instid0(VALU_DEP_1)
	v_mul_f32_e32 v10, v8, v10
.LBB29_89:                              ;   in Loop: Header=BB29_11 Depth=1
	s_ashr_i32 s75, s74, 31
	s_ashr_i32 s63, s62, 31
	s_delay_alu instid0(SALU_CYCLE_1) | instskip(NEXT) | instid1(SALU_CYCLE_1)
	s_add_nc_u64 s[78:79], s[74:75], s[62:63]
	s_lshl_b64 s[18:19], s[78:79], 2
	s_delay_alu instid0(SALU_CYCLE_1)
	s_add_nc_u64 s[80:81], s[68:69], s[18:19]
	global_load_b32 v8, v3, s[80:81] offset:-4
	s_wait_loadcnt 0x0
	v_cmp_eq_f32_e32 vcc_lo, 0, v8
	s_cbranch_vccnz .LBB29_93
; %bb.90:                               ;   in Loop: Header=BB29_11 Depth=1
	v_cmp_eq_f32_e32 vcc_lo, 0, v10
	s_cbranch_vccnz .LBB29_94
; %bb.91:                               ;   in Loop: Header=BB29_11 Depth=1
	v_and_b32_e32 v11, 0x7fffffff, v8
	v_and_b32_e32 v12, 0x7fffffff, v10
	s_delay_alu instid0(VALU_DEP_1)
	v_cmp_gt_f32_e32 vcc_lo, v11, v12
	s_cbranch_vccnz .LBB29_95
; %bb.92:                               ;   in Loop: Header=BB29_11 Depth=1
	v_div_scale_f32 v11, null, v10, v10, -v8
	v_div_scale_f32 v14, vcc_lo, -v8, v10, -v8
	s_delay_alu instid0(VALU_DEP_2)
	v_rcp_f32_e32 v12, v11
	v_nop
	v_xor_b32_e32 v11, 0x80000000, v11
	s_delay_alu instid0(TRANS32_DEP_1) | instid1(VALU_DEP_1)
	v_fma_f32 v13, v11, v12, 1.0
	s_delay_alu instid0(VALU_DEP_1) | instskip(NEXT) | instid1(VALU_DEP_1)
	v_fmac_f32_e32 v12, v13, v12
	v_mul_f32_e32 v13, v14, v12
	s_delay_alu instid0(VALU_DEP_1) | instskip(NEXT) | instid1(VALU_DEP_1)
	v_fma_f32 v15, v11, v13, v14
	v_fmac_f32_e32 v13, v15, v12
	s_delay_alu instid0(VALU_DEP_1) | instskip(NEXT) | instid1(VALU_DEP_1)
	v_fmac_f32_e32 v14, v11, v13
	v_div_fmas_f32 v11, v14, v12, v13
	s_delay_alu instid0(VALU_DEP_1) | instskip(NEXT) | instid1(VALU_DEP_1)
	v_div_fixup_f32 v11, v11, v10, -v8
	v_readfirstlane_b32 s7, v11
	s_fmaak_f32 s7, s7, s7, 0x3f800000
	s_delay_alu instid0(SALU_CYCLE_3) | instskip(SKIP_1) | instid1(SALU_CYCLE_2)
	s_mul_f32 s14, s7, 0x4f800000
	s_cmp_lt_f32 s7, 0xf800000
	s_cselect_b32 s14, s14, s7
	s_delay_alu instid0(SALU_CYCLE_1) | instskip(SKIP_1) | instid1(TRANS32_DEP_1)
	v_s_sqrt_f32 s15, s14
	s_mov_b32 s67, s14
	s_add_co_i32 s49, s15, -1
	s_delay_alu instid0(SALU_CYCLE_1) | instskip(NEXT) | instid1(SALU_CYCLE_1)
	s_xor_b32 s71, s49, 0x80000000
	s_fmac_f32 s67, s71, s15
	s_mov_b32 s71, s14
	s_delay_alu instid0(SALU_CYCLE_2) | instskip(SKIP_2) | instid1(SALU_CYCLE_1)
	s_cmp_le_f32 s67, 0
	s_cselect_b32 s49, s49, s15
	s_add_co_i32 s67, s15, 1
	s_xor_b32 s73, s67, 0x80000000
	s_delay_alu instid0(SALU_CYCLE_1) | instskip(SKIP_1) | instid1(SALU_CYCLE_2)
	s_fmac_f32 s71, s73, s15
	v_cmp_class_f32_e64 s15, s14, 0x260
	s_cmp_gt_f32 s71, 0
	s_cselect_b32 s49, s67, s49
	s_cmp_lt_f32 s7, 0xf800000
	s_mul_f32 s7, s49, 0x37800000
	s_delay_alu instid0(SALU_CYCLE_3) | instskip(SKIP_2) | instid1(SALU_CYCLE_1)
	s_cselect_b32 s7, s7, s49
	s_and_b32 s15, s15, exec_lo
	s_cselect_b32 s7, s14, s7
	v_div_scale_f32 v12, null, s7, s7, 1.0
	s_delay_alu instid0(VALU_DEP_1)
	v_rcp_f32_e32 v13, v12
	v_nop
	v_xor_b32_e32 v12, 0x80000000, v12
	s_delay_alu instid0(TRANS32_DEP_1) | instid1(VALU_DEP_1)
	v_fma_f32 v14, v12, v13, 1.0
	s_delay_alu instid0(VALU_DEP_1) | instskip(SKIP_1) | instid1(VALU_DEP_1)
	v_fmac_f32_e32 v13, v14, v13
	v_div_scale_f32 v14, vcc_lo, 1.0, s7, 1.0
	v_mul_f32_e32 v15, v14, v13
	s_delay_alu instid0(VALU_DEP_1) | instskip(NEXT) | instid1(VALU_DEP_1)
	v_fma_f32 v16, v12, v15, v14
	v_fmac_f32_e32 v15, v16, v13
	s_delay_alu instid0(VALU_DEP_1) | instskip(NEXT) | instid1(VALU_DEP_1)
	v_fmac_f32_e32 v14, v12, v15
	v_div_fmas_f32 v12, v14, v13, v15
	s_delay_alu instid0(VALU_DEP_1) | instskip(NEXT) | instid1(VALU_DEP_1)
	v_div_fixup_f32 v12, v12, s7, 1.0
	v_mul_f32_e32 v13, v11, v12
	s_cbranch_execz .LBB29_96
	s_branch .LBB29_97
.LBB29_93:                              ;   in Loop: Header=BB29_11 Depth=1
	v_mov_b32_e32 v12, 1.0
	s_branch .LBB29_97
.LBB29_94:                              ;   in Loop: Header=BB29_11 Depth=1
	v_dual_mov_b32 v13, 1.0 :: v_dual_mov_b32 v12, 0
	s_branch .LBB29_97
.LBB29_95:                              ;   in Loop: Header=BB29_11 Depth=1
                                        ; implicit-def: $vgpr13
.LBB29_96:                              ;   in Loop: Header=BB29_11 Depth=1
	v_div_scale_f32 v11, null, v8, v8, -v10
	v_div_scale_f32 v14, vcc_lo, -v10, v8, -v10
	s_delay_alu instid0(VALU_DEP_2)
	v_rcp_f32_e32 v12, v11
	v_nop
	v_xor_b32_e32 v11, 0x80000000, v11
	s_delay_alu instid0(TRANS32_DEP_1) | instid1(VALU_DEP_1)
	v_fma_f32 v13, v11, v12, 1.0
	s_delay_alu instid0(VALU_DEP_1) | instskip(NEXT) | instid1(VALU_DEP_1)
	v_fmac_f32_e32 v12, v13, v12
	v_mul_f32_e32 v13, v14, v12
	s_delay_alu instid0(VALU_DEP_1) | instskip(NEXT) | instid1(VALU_DEP_1)
	v_fma_f32 v15, v11, v13, v14
	v_fmac_f32_e32 v13, v15, v12
	s_delay_alu instid0(VALU_DEP_1) | instskip(NEXT) | instid1(VALU_DEP_1)
	v_fmac_f32_e32 v14, v11, v13
	v_div_fmas_f32 v11, v14, v12, v13
	s_delay_alu instid0(VALU_DEP_1) | instskip(NEXT) | instid1(VALU_DEP_1)
	v_div_fixup_f32 v10, v11, v8, -v10
	v_readfirstlane_b32 s7, v10
	s_fmaak_f32 s7, s7, s7, 0x3f800000
	s_delay_alu instid0(SALU_CYCLE_3) | instskip(SKIP_1) | instid1(SALU_CYCLE_2)
	s_mul_f32 s14, s7, 0x4f800000
	s_cmp_lt_f32 s7, 0xf800000
	s_cselect_b32 s14, s14, s7
	s_delay_alu instid0(SALU_CYCLE_1) | instskip(SKIP_1) | instid1(TRANS32_DEP_1)
	v_s_sqrt_f32 s15, s14
	s_mov_b32 s67, s14
	s_add_co_i32 s49, s15, -1
	s_delay_alu instid0(SALU_CYCLE_1) | instskip(NEXT) | instid1(SALU_CYCLE_1)
	s_xor_b32 s71, s49, 0x80000000
	s_fmac_f32 s67, s71, s15
	s_mov_b32 s71, s14
	s_delay_alu instid0(SALU_CYCLE_2) | instskip(SKIP_2) | instid1(SALU_CYCLE_1)
	s_cmp_le_f32 s67, 0
	s_cselect_b32 s49, s49, s15
	s_add_co_i32 s67, s15, 1
	s_xor_b32 s73, s67, 0x80000000
	s_delay_alu instid0(SALU_CYCLE_1) | instskip(SKIP_1) | instid1(SALU_CYCLE_2)
	s_fmac_f32 s71, s73, s15
	v_cmp_class_f32_e64 s15, s14, 0x260
	s_cmp_gt_f32 s71, 0
	s_cselect_b32 s49, s67, s49
	s_cmp_lt_f32 s7, 0xf800000
	s_mul_f32 s7, s49, 0x37800000
	s_delay_alu instid0(SALU_CYCLE_3) | instskip(SKIP_2) | instid1(SALU_CYCLE_1)
	s_cselect_b32 s7, s7, s49
	s_and_b32 s15, s15, exec_lo
	s_cselect_b32 s7, s14, s7
	v_div_scale_f32 v11, null, s7, s7, 1.0
	s_delay_alu instid0(VALU_DEP_1)
	v_rcp_f32_e32 v12, v11
	v_nop
	v_xor_b32_e32 v11, 0x80000000, v11
	s_delay_alu instid0(TRANS32_DEP_1) | instid1(VALU_DEP_1)
	v_fma_f32 v13, v11, v12, 1.0
	s_delay_alu instid0(VALU_DEP_1) | instskip(SKIP_1) | instid1(VALU_DEP_1)
	v_fmac_f32_e32 v12, v13, v12
	v_div_scale_f32 v13, vcc_lo, 1.0, s7, 1.0
	v_mul_f32_e32 v14, v13, v12
	s_delay_alu instid0(VALU_DEP_1) | instskip(NEXT) | instid1(VALU_DEP_1)
	v_fma_f32 v15, v11, v14, v13
	v_fmac_f32_e32 v14, v15, v12
	s_delay_alu instid0(VALU_DEP_1) | instskip(NEXT) | instid1(VALU_DEP_1)
	v_fmac_f32_e32 v13, v11, v14
	v_div_fmas_f32 v11, v13, v12, v14
	s_delay_alu instid0(VALU_DEP_1) | instskip(NEXT) | instid1(VALU_DEP_1)
	v_div_fixup_f32 v13, v11, s7, 1.0
	v_mul_f32_e32 v12, v10, v13
.LBB29_97:                              ;   in Loop: Header=BB29_11 Depth=1
	s_delay_alu instid0(VALU_DEP_1)
	v_pk_mul_f32 v[10:11], v[8:9], v[12:13]
	s_sub_nc_u64 s[82:83], 0, s[62:63]
	s_lshl_b64 s[14:15], s[74:75], 2
	s_sub_nc_u64 s[82:83], s[62:63], s[82:83]
	s_add_nc_u64 s[90:91], s[76:77], s[14:15]
	v_add_f32_e32 v10, v10, v11
	s_lshl_b64 s[14:15], s[82:83], 2
	s_and_b32 s7, s20, s48
	s_add_nc_u64 s[88:89], s[90:91], s[14:15]
	s_lshl_b64 s[76:77], s[64:65], 2
	s_clause 0x1
	global_store_b32 v3, v10, s[80:81] offset:-4
	global_load_b32 v10, v3, s[88:89] offset:-4
	v_cndmask_b32_e64 v14, 0, 1, s7
	s_add_nc_u64 s[84:85], s[26:27], s[76:77]
	s_and_not1_b32 vcc_lo, exec_lo, s7
	s_add_nc_u64 s[86:87], s[84:85], s[18:19]
	s_wait_loadcnt 0x0
	v_mul_f32_e32 v11, v12, v10
	global_store_b32 v3, v11, s[88:89] offset:-4
	s_cbranch_vccnz .LBB29_99
; %bb.98:                               ;   in Loop: Header=BB29_11 Depth=1
	s_wait_xcnt 0x0
	v_mov_b32_e32 v11, s72
	s_clause 0x1
	global_store_b32 v3, v12, s[86:87] offset:12
	global_store_b32 v11, v13, s[86:87] offset:12 scale_offset
.LBB29_99:                              ;   in Loop: Header=BB29_11 Depth=1
	s_cmp_lg_u32 s62, 1
	s_cselect_b32 s7, -1, 0
	s_cmp_eq_u32 s62, 1
	s_cselect_b32 s14, -1, 0
	s_delay_alu instid0(SALU_CYCLE_1) | instskip(NEXT) | instid1(SALU_CYCLE_1)
	s_or_b32 s14, s104, s14
	s_and_b32 vcc_lo, exec_lo, s14
	s_cbranch_vccnz .LBB29_101
; %bb.100:                              ;   in Loop: Header=BB29_11 Depth=1
	s_ashr_i32 s67, s66, 31
	s_wait_xcnt 0x0
	v_mov_b32_e32 v11, s72
	s_add_nc_u64 s[18:19], s[78:79], s[66:67]
	s_delay_alu instid0(SALU_CYCLE_1) | instskip(NEXT) | instid1(SALU_CYCLE_1)
	s_lshl_b64 s[18:19], s[18:19], 2
	s_add_nc_u64 s[18:19], s[84:85], s[18:19]
	s_clause 0x1
	global_store_b32 v3, v12, s[18:19] offset:12
	global_store_b32 v11, v13, s[18:19] offset:12 scale_offset
.LBB29_101:                             ;   in Loop: Header=BB29_11 Depth=1
	s_wait_xcnt 0x0
	v_xor_b32_e32 v11, 0x80000000, v13
	s_delay_alu instid0(VALU_DEP_1) | instskip(NEXT) | instid1(VALU_DEP_1)
	v_dual_mul_f32 v13, v8, v13 :: v_dual_mul_f32 v8, v10, v11
	v_xor_b32_e32 v10, 0x80000000, v13
	s_delay_alu instid0(VALU_DEP_2) | instskip(NEXT) | instid1(VALU_DEP_2)
	v_cmp_eq_f32_e32 vcc_lo, 0, v8
	v_fmac_f32_e32 v10, v9, v12
	s_cbranch_vccnz .LBB29_105
; %bb.102:                              ;   in Loop: Header=BB29_11 Depth=1
	s_delay_alu instid0(VALU_DEP_1)
	v_cmp_eq_f32_e32 vcc_lo, 0, v10
	s_cbranch_vccnz .LBB29_106
; %bb.103:                              ;   in Loop: Header=BB29_11 Depth=1
	v_and_b32_e32 v9, 0x7fffffff, v8
	v_and_b32_e32 v11, 0x7fffffff, v10
	s_delay_alu instid0(VALU_DEP_1)
	v_cmp_gt_f32_e32 vcc_lo, v9, v11
	s_cbranch_vccnz .LBB29_107
; %bb.104:                              ;   in Loop: Header=BB29_11 Depth=1
	v_div_scale_f32 v9, null, v10, v10, -v8
	v_div_scale_f32 v13, vcc_lo, -v8, v10, -v8
	s_delay_alu instid0(VALU_DEP_2)
	v_rcp_f32_e32 v11, v9
	v_nop
	v_xor_b32_e32 v9, 0x80000000, v9
	s_delay_alu instid0(TRANS32_DEP_1) | instid1(VALU_DEP_1)
	v_fma_f32 v12, v9, v11, 1.0
	s_delay_alu instid0(VALU_DEP_1) | instskip(NEXT) | instid1(VALU_DEP_1)
	v_fmac_f32_e32 v11, v12, v11
	v_mul_f32_e32 v12, v13, v11
	s_delay_alu instid0(VALU_DEP_1) | instskip(NEXT) | instid1(VALU_DEP_1)
	v_fma_f32 v15, v9, v12, v13
	v_fmac_f32_e32 v12, v15, v11
	s_delay_alu instid0(VALU_DEP_1) | instskip(NEXT) | instid1(VALU_DEP_1)
	v_fmac_f32_e32 v13, v9, v12
	v_div_fmas_f32 v9, v13, v11, v12
	s_delay_alu instid0(VALU_DEP_1) | instskip(NEXT) | instid1(VALU_DEP_1)
	v_div_fixup_f32 v9, v9, v10, -v8
	v_readfirstlane_b32 s15, v9
	s_fmaak_f32 s15, s15, s15, 0x3f800000
	s_delay_alu instid0(SALU_CYCLE_3) | instskip(SKIP_1) | instid1(SALU_CYCLE_2)
	s_mul_f32 s18, s15, 0x4f800000
	s_cmp_lt_f32 s15, 0xf800000
	s_cselect_b32 s18, s18, s15
	s_delay_alu instid0(SALU_CYCLE_1) | instskip(SKIP_1) | instid1(TRANS32_DEP_1)
	v_s_sqrt_f32 s19, s18
	s_mov_b32 s67, s18
	s_add_co_i32 s49, s19, -1
	s_delay_alu instid0(SALU_CYCLE_1) | instskip(NEXT) | instid1(SALU_CYCLE_1)
	s_xor_b32 s71, s49, 0x80000000
	s_fmac_f32 s67, s71, s19
	s_mov_b32 s71, s18
	s_delay_alu instid0(SALU_CYCLE_2) | instskip(SKIP_2) | instid1(SALU_CYCLE_1)
	s_cmp_le_f32 s67, 0
	s_cselect_b32 s49, s49, s19
	s_add_co_i32 s67, s19, 1
	s_xor_b32 s73, s67, 0x80000000
	s_delay_alu instid0(SALU_CYCLE_1) | instskip(SKIP_1) | instid1(SALU_CYCLE_2)
	s_fmac_f32 s71, s73, s19
	v_cmp_class_f32_e64 s19, s18, 0x260
	s_cmp_gt_f32 s71, 0
	s_cselect_b32 s49, s67, s49
	s_cmp_lt_f32 s15, 0xf800000
	s_mul_f32 s15, s49, 0x37800000
	s_delay_alu instid0(SALU_CYCLE_3) | instskip(SKIP_2) | instid1(SALU_CYCLE_1)
	s_cselect_b32 s15, s15, s49
	s_and_b32 s19, s19, exec_lo
	s_cselect_b32 s15, s18, s15
	v_div_scale_f32 v11, null, s15, s15, 1.0
	s_delay_alu instid0(VALU_DEP_1)
	v_rcp_f32_e32 v12, v11
	v_nop
	v_xor_b32_e32 v11, 0x80000000, v11
	s_delay_alu instid0(TRANS32_DEP_1) | instid1(VALU_DEP_1)
	v_fma_f32 v13, v11, v12, 1.0
	s_delay_alu instid0(VALU_DEP_1) | instskip(SKIP_1) | instid1(VALU_DEP_1)
	v_fmac_f32_e32 v12, v13, v12
	v_div_scale_f32 v13, vcc_lo, 1.0, s15, 1.0
	v_mul_f32_e32 v15, v13, v12
	s_delay_alu instid0(VALU_DEP_1) | instskip(NEXT) | instid1(VALU_DEP_1)
	v_fma_f32 v16, v11, v15, v13
	v_fmac_f32_e32 v15, v16, v12
	s_delay_alu instid0(VALU_DEP_1) | instskip(NEXT) | instid1(VALU_DEP_1)
	v_fmac_f32_e32 v13, v11, v15
	v_div_fmas_f32 v11, v13, v12, v15
	s_delay_alu instid0(VALU_DEP_1) | instskip(NEXT) | instid1(VALU_DEP_1)
	v_div_fixup_f32 v12, v11, s15, 1.0
	v_mul_f32_e32 v13, v9, v12
	s_cbranch_execz .LBB29_108
	s_branch .LBB29_109
.LBB29_105:                             ;   in Loop: Header=BB29_11 Depth=1
	v_dual_mov_b32 v13, 0 :: v_dual_mov_b32 v12, 1.0
	s_branch .LBB29_111
.LBB29_106:                             ;   in Loop: Header=BB29_11 Depth=1
	v_xor_b32_e32 v10, 0x80000000, v8
                                        ; implicit-def: $vgpr13
	s_cbranch_execnz .LBB29_110
	s_branch .LBB29_111
.LBB29_107:                             ;   in Loop: Header=BB29_11 Depth=1
                                        ; implicit-def: $vgpr13
.LBB29_108:                             ;   in Loop: Header=BB29_11 Depth=1
	v_div_scale_f32 v9, null, v8, v8, -v10
	v_div_scale_f32 v13, vcc_lo, -v10, v8, -v10
	s_delay_alu instid0(VALU_DEP_2)
	v_rcp_f32_e32 v11, v9
	v_nop
	v_xor_b32_e32 v9, 0x80000000, v9
	s_delay_alu instid0(TRANS32_DEP_1) | instid1(VALU_DEP_1)
	v_fma_f32 v12, v9, v11, 1.0
	s_delay_alu instid0(VALU_DEP_1) | instskip(NEXT) | instid1(VALU_DEP_1)
	v_fmac_f32_e32 v11, v12, v11
	v_mul_f32_e32 v12, v13, v11
	s_delay_alu instid0(VALU_DEP_1) | instskip(NEXT) | instid1(VALU_DEP_1)
	v_fma_f32 v15, v9, v12, v13
	v_fmac_f32_e32 v12, v15, v11
	s_delay_alu instid0(VALU_DEP_1) | instskip(NEXT) | instid1(VALU_DEP_1)
	v_fmac_f32_e32 v13, v9, v12
	v_div_fmas_f32 v9, v13, v11, v12
	s_delay_alu instid0(VALU_DEP_1) | instskip(NEXT) | instid1(VALU_DEP_1)
	v_div_fixup_f32 v9, v9, v8, -v10
	v_readfirstlane_b32 s15, v9
	s_fmaak_f32 s15, s15, s15, 0x3f800000
	s_delay_alu instid0(SALU_CYCLE_3) | instskip(SKIP_1) | instid1(SALU_CYCLE_2)
	s_mul_f32 s18, s15, 0x4f800000
	s_cmp_lt_f32 s15, 0xf800000
	s_cselect_b32 s18, s18, s15
	s_delay_alu instid0(SALU_CYCLE_1) | instskip(SKIP_1) | instid1(TRANS32_DEP_1)
	v_s_sqrt_f32 s19, s18
	s_mov_b32 s67, s18
	s_add_co_i32 s49, s19, -1
	s_delay_alu instid0(SALU_CYCLE_1) | instskip(NEXT) | instid1(SALU_CYCLE_1)
	s_xor_b32 s71, s49, 0x80000000
	s_fmac_f32 s67, s71, s19
	s_mov_b32 s71, s18
	s_delay_alu instid0(SALU_CYCLE_2) | instskip(SKIP_2) | instid1(SALU_CYCLE_1)
	s_cmp_le_f32 s67, 0
	s_cselect_b32 s49, s49, s19
	s_add_co_i32 s67, s19, 1
	s_xor_b32 s73, s67, 0x80000000
	s_delay_alu instid0(SALU_CYCLE_1) | instskip(SKIP_1) | instid1(SALU_CYCLE_2)
	s_fmac_f32 s71, s73, s19
	v_cmp_class_f32_e64 s19, s18, 0x260
	s_cmp_gt_f32 s71, 0
	s_cselect_b32 s49, s67, s49
	s_cmp_lt_f32 s15, 0xf800000
	s_mul_f32 s15, s49, 0x37800000
	s_delay_alu instid0(SALU_CYCLE_3) | instskip(SKIP_2) | instid1(SALU_CYCLE_1)
	s_cselect_b32 s15, s15, s49
	s_and_b32 s19, s19, exec_lo
	s_cselect_b32 s15, s18, s15
	v_div_scale_f32 v11, null, s15, s15, 1.0
	s_delay_alu instid0(VALU_DEP_1)
	v_rcp_f32_e32 v12, v11
	v_nop
	v_xor_b32_e32 v11, 0x80000000, v11
	s_delay_alu instid0(TRANS32_DEP_1) | instid1(VALU_DEP_1)
	v_fma_f32 v13, v11, v12, 1.0
	s_delay_alu instid0(VALU_DEP_1) | instskip(SKIP_1) | instid1(VALU_DEP_1)
	v_fmac_f32_e32 v12, v13, v12
	v_div_scale_f32 v13, vcc_lo, 1.0, s15, 1.0
	v_mul_f32_e32 v15, v13, v12
	s_delay_alu instid0(VALU_DEP_1) | instskip(NEXT) | instid1(VALU_DEP_1)
	v_fma_f32 v16, v11, v15, v13
	v_fmac_f32_e32 v15, v16, v12
	s_delay_alu instid0(VALU_DEP_1) | instskip(NEXT) | instid1(VALU_DEP_1)
	v_fmac_f32_e32 v13, v11, v15
	v_div_fmas_f32 v11, v13, v12, v15
	s_delay_alu instid0(VALU_DEP_1) | instskip(NEXT) | instid1(VALU_DEP_1)
	v_div_fixup_f32 v13, v11, s15, 1.0
	v_mul_f32_e32 v12, v9, v13
.LBB29_109:                             ;   in Loop: Header=BB29_11 Depth=1
	v_mov_b32_e32 v11, v8
	s_delay_alu instid0(VALU_DEP_1) | instskip(NEXT) | instid1(VALU_DEP_1)
	v_pk_mul_f32 v[10:11], v[10:11], v[12:13]
	v_sub_f32_e32 v10, v10, v11
	s_branch .LBB29_111
.LBB29_110:                             ;   in Loop: Header=BB29_11 Depth=1
	v_dual_mov_b32 v13, 1.0 :: v_dual_mov_b32 v12, 0
.LBB29_111:                             ;   in Loop: Header=BB29_11 Depth=1
	s_clause 0x2
	global_store_b32 v3, v10, s[90:91]
	global_load_b32 v9, v3, s[88:89] offset:-4
	global_load_b32 v10, v3, s[80:81] offset:-4
	s_cmp_eq_u32 s72, 2
	s_wait_loadcnt 0x1
	v_mul_f32_e32 v11, v12, v9
	s_wait_loadcnt 0x0
	s_delay_alu instid0(VALU_DEP_1)
	v_fmac_f32_e32 v11, v13, v10
	global_store_b32 v3, v11, s[88:89] offset:-4
	s_cbranch_scc0 .LBB29_169
; %bb.112:                              ;   in Loop: Header=BB29_11 Depth=1
	s_and_b32 s7, s20, s7
	s_delay_alu instid0(SALU_CYCLE_1)
	v_cndmask_b32_e64 v15, 0, 1, s7
	s_and_not1_b32 vcc_lo, exec_lo, s7
	s_cbranch_vccz .LBB29_170
.LBB29_113:                             ;   in Loop: Header=BB29_11 Depth=1
	s_xor_b32 s7, s48, -1
	s_delay_alu instid0(SALU_CYCLE_1) | instskip(NEXT) | instid1(SALU_CYCLE_1)
	s_or_b32 s15, s104, s7
	s_and_b32 vcc_lo, exec_lo, s15
	s_cbranch_vccnz .LBB29_115
.LBB29_114:                             ;   in Loop: Header=BB29_11 Depth=1
	s_ashr_i32 s67, s66, 31
	s_wait_xcnt 0x0
	v_mov_b32_e32 v11, s72
	s_add_nc_u64 s[18:19], s[78:79], s[66:67]
	s_delay_alu instid0(SALU_CYCLE_1) | instskip(NEXT) | instid1(SALU_CYCLE_1)
	s_lshl_b64 s[18:19], s[18:19], 2
	s_add_nc_u64 s[18:19], s[84:85], s[18:19]
	s_clause 0x1
	global_store_b32 v3, v12, s[18:19] offset:12
	global_store_b32 v11, v13, s[18:19] offset:12 scale_offset
.LBB29_115:                             ;   in Loop: Header=BB29_11 Depth=1
	v_mul_f32_e32 v9, v13, v9
	s_cmp_eq_u32 s54, 1
	s_mov_b32 s7, 0
	s_delay_alu instid0(VALU_DEP_1) | instskip(NEXT) | instid1(VALU_DEP_1)
	v_xor_b32_e32 v9, 0x80000000, v9
	v_fmac_f32_e32 v9, v12, v10
	s_cbranch_scc1 .LBB29_148
; %bb.116:                              ;   in Loop: Header=BB29_11 Depth=1
	s_ashr_i32 s67, s66, 31
	s_wait_xcnt 0x0
	s_sub_co_i32 s18, s74, s70
	s_add_nc_u64 s[78:79], s[82:83], s[66:67]
	s_ashr_i32 s19, s18, 31
	v_readlane_b32 s0, v23, 0
	s_add_nc_u64 s[78:79], s[78:79], s[18:19]
	v_readlane_b32 s1, v23, 1
	s_xor_b32 s49, s14, -1
	s_xor_b32 s67, s15, -1
	s_lshl_b64 s[14:15], s[78:79], 2
	s_lshl_b64 s[82:83], s[62:63], 3
	s_ashr_i32 s73, s72, 31
	s_add_nc_u64 s[78:79], s[14:15], s[76:77]
	s_add_nc_u64 s[76:77], s[82:83], s[76:77]
	s_lshl_b64 s[86:87], s[18:19], 2
	s_lshl_b64 s[80:81], s[72:73], 2
	s_add_nc_u64 s[88:89], s[76:77], s[86:87]
	s_add_nc_u64 s[90:91], s[0:1], s[58:59]
	;; [unrolled: 1-line block ×8, first 2 shown]
	s_mul_u64 s[88:89], s[62:63], 12
	s_lshl_b64 s[18:19], s[18:19], 2
	s_ashr_i32 s71, s70, 31
	v_readlane_b32 s0, v23, 5
	v_readlane_b32 s1, v23, 6
	s_add_nc_u64 s[18:19], s[88:89], s[18:19]
	s_lshl_b64 s[70:71], s[70:71], 2
	s_add_nc_u64 s[88:89], s[82:83], s[60:61]
	s_sub_nc_u64 s[18:19], s[18:19], s[70:71]
	s_add_co_i32 s84, s74, s55
	s_add_nc_u64 s[70:71], s[0:1], s[18:19]
	v_readlane_b32 s0, v23, 7
	v_readlane_b32 s1, v23, 8
	s_add_nc_u64 s[72:73], s[44:45], s[14:15]
	s_lshl_b32 s15, s62, 1
	s_add_nc_u64 s[82:83], s[88:89], s[86:87]
	s_add_co_i32 s74, s15, -2
	s_add_nc_u64 s[82:83], s[0:1], s[82:83]
	s_ashr_i32 s85, s84, 31
	v_readlane_b32 s0, v23, 9
	v_readlane_b32 s1, v23, 10
	s_ashr_i32 s75, s74, 31
	s_add_nc_u64 s[18:19], s[60:61], s[86:87]
	s_lshl_b64 s[86:87], s[84:85], 2
	s_lshl_b64 s[74:75], s[74:75], 2
	s_add_nc_u64 s[84:85], s[16:17], s[18:19]
	s_add_nc_u64 s[18:19], s[88:89], s[86:87]
	;; [unrolled: 1-line block ×3, first 2 shown]
	s_add_co_i32 s7, s54, -1
	s_mov_b32 s14, 1
	s_or_b64 s[74:75], s[74:75], 4
	s_add_nc_u64 s[86:87], s[0:1], s[18:19]
	s_add_nc_u64 s[88:89], s[12:13], s[88:89]
	s_mov_b64 s[90:91], 0
	s_branch .LBB29_118
.LBB29_117:                             ;   in Loop: Header=BB29_118 Depth=2
	v_mul_f32_e32 v9, v13, v9
	s_add_co_i32 s14, s14, 1
	s_add_nc_u64 s[90:91], s[90:91], s[74:75]
	s_cmp_eq_u32 s54, s14
	s_delay_alu instid0(VALU_DEP_1) | instskip(NEXT) | instid1(VALU_DEP_1)
	v_xor_b32_e32 v9, 0x80000000, v9
	v_fmac_f32_e32 v9, v12, v10
	s_cbranch_scc1 .LBB29_148
.LBB29_118:                             ;   Parent Loop BB29_11 Depth=1
                                        ; =>  This Inner Loop Header: Depth=2
	v_cmp_eq_f32_e32 vcc_lo, 0, v8
	s_cbranch_vccnz .LBB29_122
; %bb.119:                              ;   in Loop: Header=BB29_118 Depth=2
	s_delay_alu instid0(VALU_DEP_2)
	v_cmp_neq_f32_e32 vcc_lo, 0, v9
	s_cbranch_vccz .LBB29_123
; %bb.120:                              ;   in Loop: Header=BB29_118 Depth=2
	v_and_b32_e32 v10, 0x7fffffff, v8
	s_wait_xcnt 0x0
	v_and_b32_e32 v11, 0x7fffffff, v9
	s_delay_alu instid0(VALU_DEP_1)
	v_cmp_ngt_f32_e32 vcc_lo, v10, v11
	s_cbranch_vccz .LBB29_124
; %bb.121:                              ;   in Loop: Header=BB29_118 Depth=2
	v_div_scale_f32 v10, null, v9, v9, -v8
	v_div_scale_f32 v13, vcc_lo, -v8, v9, -v8
	s_delay_alu instid0(VALU_DEP_2)
	v_rcp_f32_e32 v11, v10
	v_nop
	v_xor_b32_e32 v10, 0x80000000, v10
	s_delay_alu instid0(TRANS32_DEP_1) | instid1(VALU_DEP_1)
	v_fma_f32 v12, v10, v11, 1.0
	s_delay_alu instid0(VALU_DEP_1) | instskip(NEXT) | instid1(VALU_DEP_1)
	v_fmac_f32_e32 v11, v12, v11
	v_mul_f32_e32 v12, v13, v11
	s_delay_alu instid0(VALU_DEP_1) | instskip(NEXT) | instid1(VALU_DEP_1)
	v_fma_f32 v16, v10, v12, v13
	v_fmac_f32_e32 v12, v16, v11
	s_delay_alu instid0(VALU_DEP_1) | instskip(NEXT) | instid1(VALU_DEP_1)
	v_fmac_f32_e32 v13, v10, v12
	v_div_fmas_f32 v10, v13, v11, v12
	s_delay_alu instid0(VALU_DEP_1) | instskip(NEXT) | instid1(VALU_DEP_1)
	v_div_fixup_f32 v10, v10, v9, -v8
	v_readfirstlane_b32 s15, v10
	s_fmaak_f32 s15, s15, s15, 0x3f800000
	s_delay_alu instid0(SALU_CYCLE_3) | instskip(SKIP_1) | instid1(SALU_CYCLE_2)
	s_mul_f32 s18, s15, 0x4f800000
	s_cmp_lt_f32 s15, 0xf800000
	s_cselect_b32 s18, s18, s15
	s_delay_alu instid0(SALU_CYCLE_1) | instskip(SKIP_1) | instid1(TRANS32_DEP_1)
	v_s_sqrt_f32 s19, s18
	s_mov_b32 s63, s18
	s_add_co_i32 s59, s19, -1
	s_delay_alu instid0(SALU_CYCLE_1) | instskip(NEXT) | instid1(SALU_CYCLE_1)
	s_xor_b32 s92, s59, 0x80000000
	s_fmac_f32 s63, s92, s19
	s_mov_b32 s92, s18
	s_delay_alu instid0(SALU_CYCLE_2) | instskip(SKIP_2) | instid1(SALU_CYCLE_1)
	s_cmp_le_f32 s63, 0
	s_cselect_b32 s59, s59, s19
	s_add_co_i32 s63, s19, 1
	s_xor_b32 s93, s63, 0x80000000
	s_delay_alu instid0(SALU_CYCLE_1) | instskip(SKIP_1) | instid1(SALU_CYCLE_2)
	s_fmac_f32 s92, s93, s19
	v_cmp_class_f32_e64 s19, s18, 0x260
	s_cmp_gt_f32 s92, 0
	s_cselect_b32 s59, s63, s59
	s_cmp_lt_f32 s15, 0xf800000
	s_mul_f32 s15, s59, 0x37800000
	s_delay_alu instid0(SALU_CYCLE_3) | instskip(SKIP_2) | instid1(SALU_CYCLE_1)
	s_cselect_b32 s15, s15, s59
	s_and_b32 s19, s19, exec_lo
	s_cselect_b32 s15, s18, s15
	v_div_scale_f32 v11, null, s15, s15, 1.0
	s_delay_alu instid0(VALU_DEP_1)
	v_rcp_f32_e32 v12, v11
	v_nop
	v_xor_b32_e32 v11, 0x80000000, v11
	s_delay_alu instid0(TRANS32_DEP_1) | instid1(VALU_DEP_1)
	v_fma_f32 v13, v11, v12, 1.0
	s_delay_alu instid0(VALU_DEP_1) | instskip(SKIP_1) | instid1(VALU_DEP_1)
	v_fmac_f32_e32 v12, v13, v12
	v_div_scale_f32 v13, vcc_lo, 1.0, s15, 1.0
	v_mul_f32_e32 v16, v13, v12
	s_delay_alu instid0(VALU_DEP_1) | instskip(NEXT) | instid1(VALU_DEP_1)
	v_fma_f32 v17, v11, v16, v13
	v_fmac_f32_e32 v16, v17, v12
	s_delay_alu instid0(VALU_DEP_1) | instskip(NEXT) | instid1(VALU_DEP_1)
	v_fmac_f32_e32 v13, v11, v16
	v_div_fmas_f32 v11, v13, v12, v16
	s_delay_alu instid0(VALU_DEP_1) | instskip(NEXT) | instid1(VALU_DEP_1)
	v_div_fixup_f32 v11, v11, s15, 1.0
	v_mul_f32_e32 v10, v10, v11
	s_cbranch_execz .LBB29_125
	s_branch .LBB29_126
.LBB29_122:                             ;   in Loop: Header=BB29_118 Depth=2
	s_wait_xcnt 0x0
	v_dual_mov_b32 v10, 0 :: v_dual_mov_b32 v11, 1.0
	s_branch .LBB29_128
.LBB29_123:                             ;   in Loop: Header=BB29_118 Depth=2
	v_xor_b32_e32 v9, 0x80000000, v8
                                        ; implicit-def: $vgpr10
	s_cbranch_execnz .LBB29_127
	s_branch .LBB29_128
.LBB29_124:                             ;   in Loop: Header=BB29_118 Depth=2
                                        ; implicit-def: $vgpr11
.LBB29_125:                             ;   in Loop: Header=BB29_118 Depth=2
	v_div_scale_f32 v10, null, v8, v8, -v9
	v_div_scale_f32 v13, vcc_lo, -v9, v8, -v9
	s_delay_alu instid0(VALU_DEP_2)
	v_rcp_f32_e32 v11, v10
	v_nop
	v_xor_b32_e32 v10, 0x80000000, v10
	s_delay_alu instid0(TRANS32_DEP_1) | instid1(VALU_DEP_1)
	v_fma_f32 v12, v10, v11, 1.0
	s_delay_alu instid0(VALU_DEP_1) | instskip(NEXT) | instid1(VALU_DEP_1)
	v_fmac_f32_e32 v11, v12, v11
	v_mul_f32_e32 v12, v13, v11
	s_delay_alu instid0(VALU_DEP_1) | instskip(NEXT) | instid1(VALU_DEP_1)
	v_fma_f32 v16, v10, v12, v13
	v_fmac_f32_e32 v12, v16, v11
	s_delay_alu instid0(VALU_DEP_1) | instskip(NEXT) | instid1(VALU_DEP_1)
	v_fmac_f32_e32 v13, v10, v12
	v_div_fmas_f32 v10, v13, v11, v12
	s_delay_alu instid0(VALU_DEP_1) | instskip(NEXT) | instid1(VALU_DEP_1)
	v_div_fixup_f32 v11, v10, v8, -v9
	v_readfirstlane_b32 s15, v11
	s_fmaak_f32 s15, s15, s15, 0x3f800000
	s_delay_alu instid0(SALU_CYCLE_3) | instskip(SKIP_1) | instid1(SALU_CYCLE_2)
	s_mul_f32 s18, s15, 0x4f800000
	s_cmp_lt_f32 s15, 0xf800000
	s_cselect_b32 s18, s18, s15
	s_delay_alu instid0(SALU_CYCLE_1) | instskip(SKIP_1) | instid1(TRANS32_DEP_1)
	v_s_sqrt_f32 s19, s18
	s_mov_b32 s63, s18
	s_add_co_i32 s59, s19, -1
	s_delay_alu instid0(SALU_CYCLE_1) | instskip(NEXT) | instid1(SALU_CYCLE_1)
	s_xor_b32 s92, s59, 0x80000000
	s_fmac_f32 s63, s92, s19
	s_mov_b32 s92, s18
	s_delay_alu instid0(SALU_CYCLE_2) | instskip(SKIP_2) | instid1(SALU_CYCLE_1)
	s_cmp_le_f32 s63, 0
	s_cselect_b32 s59, s59, s19
	s_add_co_i32 s63, s19, 1
	s_xor_b32 s93, s63, 0x80000000
	s_delay_alu instid0(SALU_CYCLE_1) | instskip(SKIP_1) | instid1(SALU_CYCLE_2)
	s_fmac_f32 s92, s93, s19
	v_cmp_class_f32_e64 s19, s18, 0x260
	s_cmp_gt_f32 s92, 0
	s_cselect_b32 s59, s63, s59
	s_cmp_lt_f32 s15, 0xf800000
	s_mul_f32 s15, s59, 0x37800000
	s_delay_alu instid0(SALU_CYCLE_3) | instskip(SKIP_2) | instid1(SALU_CYCLE_1)
	s_cselect_b32 s15, s15, s59
	s_and_b32 s19, s19, exec_lo
	s_cselect_b32 s15, s18, s15
	v_div_scale_f32 v10, null, s15, s15, 1.0
	s_delay_alu instid0(VALU_DEP_1)
	v_rcp_f32_e32 v12, v10
	v_nop
	v_xor_b32_e32 v10, 0x80000000, v10
	s_delay_alu instid0(TRANS32_DEP_1) | instid1(VALU_DEP_1)
	v_fma_f32 v13, v10, v12, 1.0
	s_delay_alu instid0(VALU_DEP_1) | instskip(SKIP_1) | instid1(VALU_DEP_1)
	v_fmac_f32_e32 v12, v13, v12
	v_div_scale_f32 v13, vcc_lo, 1.0, s15, 1.0
	v_mul_f32_e32 v16, v13, v12
	s_delay_alu instid0(VALU_DEP_1) | instskip(NEXT) | instid1(VALU_DEP_1)
	v_fma_f32 v17, v10, v16, v13
	v_fmac_f32_e32 v16, v17, v12
	s_delay_alu instid0(VALU_DEP_1) | instskip(NEXT) | instid1(VALU_DEP_1)
	v_fmac_f32_e32 v13, v10, v16
	v_div_fmas_f32 v10, v13, v12, v16
	s_delay_alu instid0(VALU_DEP_1) | instskip(NEXT) | instid1(VALU_DEP_1)
	v_div_fixup_f32 v10, v10, s15, 1.0
	v_mul_f32_e32 v11, v11, v10
.LBB29_126:                             ;   in Loop: Header=BB29_118 Depth=2
	s_delay_alu instid0(VALU_DEP_1) | instskip(NEXT) | instid1(VALU_DEP_1)
	v_pk_mul_f32 v[8:9], v[8:9], v[10:11]
	v_sub_f32_e32 v9, v9, v8
	s_branch .LBB29_128
.LBB29_127:                             ;   in Loop: Header=BB29_118 Depth=2
	s_wait_xcnt 0x0
	v_dual_mov_b32 v10, 1.0 :: v_dual_mov_b32 v11, 0
.LBB29_128:                             ;   in Loop: Header=BB29_118 Depth=2
	s_wait_xcnt 0x0
	s_add_nc_u64 s[18:19], s[84:85], s[90:91]
	s_add_nc_u64 s[100:101], s[82:83], s[90:91]
	s_clause 0x1
	global_store_b32 v3, v9, s[18:19]
	global_load_b32 v8, v3, s[100:101]
	s_wait_xcnt 0x1
	s_add_nc_u64 s[18:19], s[88:89], s[90:91]
	s_add_nc_u64 s[102:103], s[86:87], s[90:91]
	global_load_b32 v9, v3, s[18:19]
	v_cmp_ne_u32_e32 vcc_lo, 1, v14
	s_add_nc_u64 s[92:93], s[80:81], s[90:91]
	s_add_nc_u64 s[94:95], s[78:79], s[90:91]
	s_and_b32 vcc_lo, exec_lo, vcc_lo
	s_wait_loadcnt 0x1
	v_mul_f32_e32 v12, v11, v8
	s_wait_loadcnt 0x0
	s_delay_alu instid0(VALU_DEP_1)
	v_fmac_f32_e32 v12, v10, v9
	s_clause 0x1
	global_store_b32 v3, v12, s[100:101]
	global_load_b32 v12, v3, s[102:103]
	s_wait_loadcnt 0x0
	v_mul_f32_e32 v13, v11, v12
	global_store_b32 v3, v13, s[102:103]
	s_cbranch_vccnz .LBB29_130
; %bb.129:                              ;   in Loop: Header=BB29_118 Depth=2
	s_clause 0x1
	global_store_b32 v3, v11, s[92:93]
	global_store_b32 v3, v10, s[94:95]
.LBB29_130:                             ;   in Loop: Header=BB29_118 Depth=2
	s_and_not1_b32 vcc_lo, exec_lo, s49
	s_add_nc_u64 s[96:97], s[76:77], s[90:91]
	s_add_nc_u64 s[98:99], s[72:73], s[90:91]
	s_cbranch_vccnz .LBB29_132
; %bb.131:                              ;   in Loop: Header=BB29_118 Depth=2
	s_clause 0x1
	global_store_b32 v3, v11, s[96:97]
	global_store_b32 v3, v10, s[98:99]
.LBB29_132:                             ;   in Loop: Header=BB29_118 Depth=2
	s_wait_xcnt 0x0
	v_xor_b32_e32 v13, 0x80000000, v10
	s_delay_alu instid0(VALU_DEP_1) | instskip(NEXT) | instid1(VALU_DEP_1)
	v_dual_mul_f32 v10, v10, v8 :: v_dual_mul_f32 v8, v12, v13
	v_xor_b32_e32 v10, 0x80000000, v10
	s_delay_alu instid0(VALU_DEP_2) | instskip(NEXT) | instid1(VALU_DEP_2)
	v_cmp_eq_f32_e32 vcc_lo, 0, v8
	v_fmac_f32_e32 v10, v11, v9
	s_cbranch_vccnz .LBB29_136
; %bb.133:                              ;   in Loop: Header=BB29_118 Depth=2
	s_delay_alu instid0(VALU_DEP_1)
	v_cmp_neq_f32_e32 vcc_lo, 0, v10
	s_cbranch_vccz .LBB29_137
; %bb.134:                              ;   in Loop: Header=BB29_118 Depth=2
	v_and_b32_e32 v9, 0x7fffffff, v8
	v_and_b32_e32 v11, 0x7fffffff, v10
	s_delay_alu instid0(VALU_DEP_1)
	v_cmp_ngt_f32_e32 vcc_lo, v9, v11
	s_cbranch_vccz .LBB29_138
; %bb.135:                              ;   in Loop: Header=BB29_118 Depth=2
	v_div_scale_f32 v9, null, v10, v10, -v8
	v_div_scale_f32 v13, vcc_lo, -v8, v10, -v8
	s_delay_alu instid0(VALU_DEP_2)
	v_rcp_f32_e32 v11, v9
	v_nop
	v_xor_b32_e32 v9, 0x80000000, v9
	s_delay_alu instid0(TRANS32_DEP_1) | instid1(VALU_DEP_1)
	v_fma_f32 v12, v9, v11, 1.0
	s_delay_alu instid0(VALU_DEP_1) | instskip(NEXT) | instid1(VALU_DEP_1)
	v_fmac_f32_e32 v11, v12, v11
	v_mul_f32_e32 v12, v13, v11
	s_delay_alu instid0(VALU_DEP_1) | instskip(NEXT) | instid1(VALU_DEP_1)
	v_fma_f32 v16, v9, v12, v13
	v_fmac_f32_e32 v12, v16, v11
	s_delay_alu instid0(VALU_DEP_1) | instskip(NEXT) | instid1(VALU_DEP_1)
	v_fmac_f32_e32 v13, v9, v12
	v_div_fmas_f32 v9, v13, v11, v12
	s_delay_alu instid0(VALU_DEP_1) | instskip(NEXT) | instid1(VALU_DEP_1)
	v_div_fixup_f32 v9, v9, v10, -v8
	v_readfirstlane_b32 s0, v9
	s_fmaak_f32 s0, s0, s0, 0x3f800000
	s_delay_alu instid0(SALU_CYCLE_3) | instskip(SKIP_1) | instid1(SALU_CYCLE_2)
	s_mul_f32 s1, s0, 0x4f800000
	s_cmp_lt_f32 s0, 0xf800000
	s_cselect_b32 s1, s1, s0
	s_delay_alu instid0(SALU_CYCLE_1) | instskip(SKIP_1) | instid1(TRANS32_DEP_1)
	v_s_sqrt_f32 s6, s1
	s_mov_b32 s50, s1
	s_add_co_i32 s15, s6, -1
	s_delay_alu instid0(SALU_CYCLE_1) | instskip(NEXT) | instid1(SALU_CYCLE_1)
	s_xor_b32 s51, s15, 0x80000000
	s_fmac_f32 s50, s51, s6
	s_mov_b32 s51, s1
	s_delay_alu instid0(SALU_CYCLE_2) | instskip(SKIP_2) | instid1(SALU_CYCLE_1)
	s_cmp_le_f32 s50, 0
	s_cselect_b32 s15, s15, s6
	s_add_co_i32 s50, s6, 1
	s_xor_b32 s59, s50, 0x80000000
	s_delay_alu instid0(SALU_CYCLE_1) | instskip(SKIP_1) | instid1(SALU_CYCLE_2)
	s_fmac_f32 s51, s59, s6
	v_cmp_class_f32_e64 s6, s1, 0x260
	s_cmp_gt_f32 s51, 0
	s_cselect_b32 s15, s50, s15
	s_cmp_lt_f32 s0, 0xf800000
	s_mul_f32 s0, s15, 0x37800000
	s_delay_alu instid0(SALU_CYCLE_3) | instskip(SKIP_2) | instid1(SALU_CYCLE_1)
	s_cselect_b32 s0, s0, s15
	s_and_b32 s6, s6, exec_lo
	s_cselect_b32 s0, s1, s0
	v_div_scale_f32 v11, null, s0, s0, 1.0
	s_delay_alu instid0(VALU_DEP_1)
	v_rcp_f32_e32 v12, v11
	v_nop
	v_xor_b32_e32 v11, 0x80000000, v11
	s_delay_alu instid0(TRANS32_DEP_1) | instid1(VALU_DEP_1)
	v_fma_f32 v13, v11, v12, 1.0
	s_delay_alu instid0(VALU_DEP_1) | instskip(SKIP_1) | instid1(VALU_DEP_1)
	v_fmac_f32_e32 v12, v13, v12
	v_div_scale_f32 v13, vcc_lo, 1.0, s0, 1.0
	v_mul_f32_e32 v16, v13, v12
	s_delay_alu instid0(VALU_DEP_1) | instskip(NEXT) | instid1(VALU_DEP_1)
	v_fma_f32 v17, v11, v16, v13
	v_fmac_f32_e32 v16, v17, v12
	s_delay_alu instid0(VALU_DEP_1) | instskip(NEXT) | instid1(VALU_DEP_1)
	v_fmac_f32_e32 v13, v11, v16
	v_div_fmas_f32 v11, v13, v12, v16
	s_delay_alu instid0(VALU_DEP_1) | instskip(NEXT) | instid1(VALU_DEP_1)
	v_div_fixup_f32 v12, v11, s0, 1.0
	v_mul_f32_e32 v13, v9, v12
	s_cbranch_execz .LBB29_139
	s_branch .LBB29_140
.LBB29_136:                             ;   in Loop: Header=BB29_118 Depth=2
	v_dual_mov_b32 v13, 0 :: v_dual_mov_b32 v12, 1.0
	s_branch .LBB29_142
.LBB29_137:                             ;   in Loop: Header=BB29_118 Depth=2
	v_xor_b32_e32 v10, 0x80000000, v8
                                        ; implicit-def: $vgpr13
	s_cbranch_execnz .LBB29_141
	s_branch .LBB29_142
.LBB29_138:                             ;   in Loop: Header=BB29_118 Depth=2
                                        ; implicit-def: $vgpr13
.LBB29_139:                             ;   in Loop: Header=BB29_118 Depth=2
	v_div_scale_f32 v9, null, v8, v8, -v10
	v_div_scale_f32 v13, vcc_lo, -v10, v8, -v10
	s_delay_alu instid0(VALU_DEP_2)
	v_rcp_f32_e32 v11, v9
	v_nop
	v_xor_b32_e32 v9, 0x80000000, v9
	s_delay_alu instid0(TRANS32_DEP_1) | instid1(VALU_DEP_1)
	v_fma_f32 v12, v9, v11, 1.0
	s_delay_alu instid0(VALU_DEP_1) | instskip(NEXT) | instid1(VALU_DEP_1)
	v_fmac_f32_e32 v11, v12, v11
	v_mul_f32_e32 v12, v13, v11
	s_delay_alu instid0(VALU_DEP_1) | instskip(NEXT) | instid1(VALU_DEP_1)
	v_fma_f32 v16, v9, v12, v13
	v_fmac_f32_e32 v12, v16, v11
	s_delay_alu instid0(VALU_DEP_1) | instskip(NEXT) | instid1(VALU_DEP_1)
	v_fmac_f32_e32 v13, v9, v12
	v_div_fmas_f32 v9, v13, v11, v12
	s_delay_alu instid0(VALU_DEP_1) | instskip(NEXT) | instid1(VALU_DEP_1)
	v_div_fixup_f32 v9, v9, v8, -v10
	v_readfirstlane_b32 s15, v9
	s_fmaak_f32 s15, s15, s15, 0x3f800000
	s_delay_alu instid0(SALU_CYCLE_3) | instskip(SKIP_1) | instid1(SALU_CYCLE_2)
	s_mul_f32 s59, s15, 0x4f800000
	s_cmp_lt_f32 s15, 0xf800000
	s_cselect_b32 s6, s59, s15
	s_delay_alu instid0(SALU_CYCLE_1) | instskip(SKIP_2) | instid1(TRANS32_DEP_1)
	v_s_sqrt_f32 s63, s6
	s_mov_b32 s59, s6
	s_mov_b32 s0, s6
	s_add_co_i32 vcc_lo, s63, -1
	s_delay_alu instid0(SALU_CYCLE_1) | instskip(NEXT) | instid1(SALU_CYCLE_1)
	s_xor_b32 s1, vcc_lo, 0x80000000
	s_fmac_f32 s59, s1, s63
	s_delay_alu instid0(SALU_CYCLE_3) | instskip(SKIP_2) | instid1(SALU_CYCLE_1)
	s_cmp_le_f32 s59, 0
	s_cselect_b32 s1, vcc_lo, s63
	s_add_co_i32 s59, s63, 1
	s_xor_b32 s50, s59, 0x80000000
	s_delay_alu instid0(SALU_CYCLE_1) | instskip(NEXT) | instid1(SALU_CYCLE_3)
	s_fmac_f32 s0, s50, s63
	s_cmp_gt_f32 s0, 0
	v_cmp_class_f32_e64 s0, s6, 0x260
	s_cselect_b32 s1, s59, s1
	s_cmp_lt_f32 s15, 0xf800000
	s_mul_f32 s15, s1, 0x37800000
	s_delay_alu instid0(SALU_CYCLE_3) | instskip(SKIP_2) | instid1(SALU_CYCLE_1)
	s_cselect_b32 s1, s15, s1
	s_and_b32 s0, s0, exec_lo
	s_cselect_b32 s0, s6, s1
	v_div_scale_f32 v11, null, s0, s0, 1.0
	s_delay_alu instid0(VALU_DEP_1)
	v_rcp_f32_e32 v12, v11
	v_nop
	v_xor_b32_e32 v11, 0x80000000, v11
	s_delay_alu instid0(TRANS32_DEP_1) | instid1(VALU_DEP_1)
	v_fma_f32 v13, v11, v12, 1.0
	s_delay_alu instid0(VALU_DEP_1) | instskip(SKIP_1) | instid1(VALU_DEP_1)
	v_fmac_f32_e32 v12, v13, v12
	v_div_scale_f32 v13, vcc_lo, 1.0, s0, 1.0
	v_mul_f32_e32 v16, v13, v12
	s_delay_alu instid0(VALU_DEP_1) | instskip(NEXT) | instid1(VALU_DEP_1)
	v_fma_f32 v17, v11, v16, v13
	v_fmac_f32_e32 v16, v17, v12
	s_delay_alu instid0(VALU_DEP_1) | instskip(NEXT) | instid1(VALU_DEP_1)
	v_fmac_f32_e32 v13, v11, v16
	v_div_fmas_f32 v11, v13, v12, v16
	s_delay_alu instid0(VALU_DEP_1) | instskip(NEXT) | instid1(VALU_DEP_1)
	v_div_fixup_f32 v13, v11, s0, 1.0
	v_mul_f32_e32 v12, v9, v13
.LBB29_140:                             ;   in Loop: Header=BB29_118 Depth=2
	v_mov_b32_e32 v11, v8
	s_delay_alu instid0(VALU_DEP_1) | instskip(NEXT) | instid1(VALU_DEP_1)
	v_pk_mul_f32 v[10:11], v[10:11], v[12:13]
	v_sub_f32_e32 v10, v10, v11
	s_branch .LBB29_142
.LBB29_141:                             ;   in Loop: Header=BB29_118 Depth=2
	v_dual_mov_b32 v13, 1.0 :: v_dual_mov_b32 v12, 0
.LBB29_142:                             ;   in Loop: Header=BB29_118 Depth=2
	s_clause 0x2
	global_store_b32 v3, v10, s[18:19]
	global_load_b32 v9, v3, s[102:103]
	global_load_b32 v10, v3, s[100:101]
	s_cmp_ge_i32 s14, s7
	s_wait_loadcnt 0x1
	v_mul_f32_e32 v11, v12, v9
	s_wait_loadcnt 0x0
	s_delay_alu instid0(VALU_DEP_1)
	v_fmac_f32_e32 v11, v13, v10
	global_store_b32 v3, v11, s[102:103]
	s_cbranch_scc0 .LBB29_145
; %bb.143:                              ;   in Loop: Header=BB29_118 Depth=2
	v_cmp_ne_u32_e32 vcc_lo, 1, v15
	s_cbranch_vccz .LBB29_146
.LBB29_144:                             ;   in Loop: Header=BB29_118 Depth=2
	s_and_not1_b32 vcc_lo, exec_lo, s67
	s_cbranch_vccnz .LBB29_117
	s_branch .LBB29_147
.LBB29_145:                             ;   in Loop: Header=BB29_118 Depth=2
	s_add_nc_u64 s[18:19], s[70:71], s[90:91]
	s_wait_xcnt 0x0
	v_xor_b32_e32 v11, 0x80000000, v13
	global_load_b32 v8, v3, s[18:19]
	s_wait_loadcnt 0x0
	v_mul_f32_e32 v16, v12, v8
	v_mul_f32_e32 v8, v8, v11
	global_store_b32 v3, v16, s[18:19]
	v_cmp_ne_u32_e32 vcc_lo, 1, v15
	s_cbranch_vccnz .LBB29_144
.LBB29_146:                             ;   in Loop: Header=BB29_118 Depth=2
	s_clause 0x1
	global_store_b32 v3, v12, s[92:93]
	global_store_b32 v3, v13, s[94:95]
	s_and_not1_b32 vcc_lo, exec_lo, s67
	s_cbranch_vccnz .LBB29_117
.LBB29_147:                             ;   in Loop: Header=BB29_118 Depth=2
	s_clause 0x1
	global_store_b32 v3, v12, s[96:97]
	global_store_b32 v3, v13, s[98:99]
	s_branch .LBB29_117
.LBB29_148:                             ;   in Loop: Header=BB29_11 Depth=1
	s_and_b32 s14, s48, exec_lo
	s_cselect_b32 s7, s7, 0
	s_delay_alu instid0(SALU_CYCLE_1)
	v_mov_b32_e32 v8, s7
	global_store_b32 v8, v9, s[68:69] scale_offset
.LBB29_149:                             ;   in Loop: Header=BB29_11 Depth=1
	s_wait_xcnt 0x0
	s_or_b32 exec_lo, exec_lo, s57
	s_delay_alu instid0(SALU_CYCLE_1)
	s_and_not1_b32 vcc_lo, exec_lo, vcc_hi
	s_wait_storecnt 0x0
	s_barrier_signal -1
	s_barrier_wait -1
	s_cbranch_vccz .LBB29_152
; %bb.150:                              ;   in Loop: Header=BB29_11 Depth=1
	s_and_not1_b32 vcc_lo, exec_lo, s46
	s_cbranch_vccz .LBB29_158
.LBB29_151:                             ;   in Loop: Header=BB29_11 Depth=1
	s_and_not1_b32 vcc_lo, exec_lo, s47
	s_cbranch_vccnz .LBB29_10
	s_branch .LBB29_164
.LBB29_152:                             ;   in Loop: Header=BB29_11 Depth=1
	s_mov_b32 s7, exec_lo
	v_readlane_b32 s0, v23, 2
	s_and_b32 s0, s7, s0
	s_delay_alu instid0(SALU_CYCLE_1)
	s_mov_b32 exec_lo, s0
	s_cbranch_execz .LBB29_157
; %bb.153:                              ;   in Loop: Header=BB29_11 Depth=1
	s_load_b32 s0, s[38:39], 0xc
	s_add_co_i32 s1, s54, -1
	s_cmp_eq_u32 s62, 0
	v_mov_b32_e32 v22, v0
	s_cselect_b32 s48, s1, 0
	s_cselect_b32 s68, s54, 0
	s_ashr_i32 s49, s48, 31
	s_ashr_i32 s57, s56, 31
	s_lshl_b64 s[70:71], s[64:65], 2
	s_lshl_b32 s1, s62, 1
	s_lshl_b64 s[48:49], s[48:49], 2
	s_lshl_b64 s[72:73], s[56:57], 2
	s_add_co_i32 s78, s1, -2
	s_add_nc_u64 s[48:49], s[48:49], s[70:71]
	s_ashr_i32 s63, s62, 31
	s_ashr_i32 s79, s78, 31
	s_add_nc_u64 s[70:71], s[48:49], s[72:73]
	v_dual_add_nc_u32 v8, s68, v1 :: v_dual_mov_b32 v10, v1
	s_lshl_b64 s[72:73], s[78:79], 2
	s_wait_kmcnt 0x0
	s_and_b32 s15, s0, 0xffff
	v_readlane_b32 s0, v23, 11
	v_readlane_b32 s1, v23, 12
	s_sub_nc_u64 s[70:71], s[70:71], s[60:61]
	s_add_nc_u64 s[74:75], s[52:53], s[48:49]
	s_lshl_b64 s[48:49], s[62:63], 1
	s_ashr_i32 s69, s68, 31
	s_add_nc_u64 s[18:19], s[30:31], s[60:61]
	s_mov_b32 s14, 0
	s_add_nc_u64 s[70:71], s[0:1], s[70:71]
	s_or_b64 s[72:73], s[72:73], 4
	s_add_nc_u64 s[76:77], s[48:49], s[68:69]
	s_mul_i32 s48, s11, s15
	s_or_b64 s[78:79], s[78:79], 1
.LBB29_154:                             ;   Parent Loop BB29_11 Depth=1
                                        ; =>  This Loop Header: Depth=2
                                        ;       Child Loop BB29_155 Depth 3
	v_mad_u32 v9, v22, s11, s68
	v_ashrrev_i32_e32 v11, 31, v10
	s_mov_b64 s[80:81], 0
	s_mov_b32 s49, s54
	global_load_b32 v12, v9, s[18:19] scale_offset
	s_wait_xcnt 0x0
	v_ashrrev_i32_e32 v9, 31, v8
	v_add_nc_u64_e32 v[14:15], s[76:77], v[10:11]
	s_delay_alu instid0(VALU_DEP_2)
	v_lshl_add_u64 v[16:17], v[8:9], 2, s[18:19]
.LBB29_155:                             ;   Parent Loop BB29_11 Depth=1
                                        ;     Parent Loop BB29_154 Depth=2
                                        ; =>    This Inner Loop Header: Depth=3
	s_wait_xcnt 0x1
	s_delay_alu instid0(VALU_DEP_2)
	v_lshl_add_u64 v[18:19], v[14:15], 2, s[18:19]
	s_add_nc_u64 s[82:83], s[74:75], s[80:81]
	s_add_nc_u64 s[84:85], s[70:71], s[80:81]
	s_clause 0x1
	global_load_b32 v24, v3, s[82:83]
	global_load_b32 v25, v3, s[84:85]
	global_load_b32 v13, v[18:19], off offset:-4
	s_wait_xcnt 0x3
	v_add_nc_u64_e32 v[28:29], s[80:81], v[16:17]
	v_add_nc_u64_e32 v[14:15], s[78:79], v[14:15]
	s_add_co_i32 s49, s49, -1
	s_add_nc_u64 s[80:81], s[80:81], s[72:73]
	s_cmp_eq_u32 s49, 0
	s_wait_loadcnt 0x0
	v_pk_mul_f32 v[26:27], v[12:13], v[24:25]
	s_delay_alu instid0(VALU_DEP_1) | instskip(NEXT) | instid1(VALU_DEP_1)
	v_dual_mul_f32 v12, v12, v25 :: v_dual_sub_f32 v9, v26, v27
	v_fmac_f32_e32 v12, v13, v24
	global_store_b32 v[28:29], v9, off
	s_cbranch_scc0 .LBB29_155
; %bb.156:                              ;   in Loop: Header=BB29_154 Depth=2
	v_dual_add_nc_u32 v22, s15, v22 :: v_dual_add_nc_u32 v8, s48, v8
	v_add_nc_u32_e32 v10, s48, v10
	global_store_b32 v[18:19], v12, off offset:-4
	v_cmp_le_i32_e32 vcc_lo, s21, v22
	s_or_b32 s14, vcc_lo, s14
	s_wait_xcnt 0x0
	s_and_not1_b32 exec_lo, exec_lo, s14
	s_cbranch_execnz .LBB29_154
.LBB29_157:                             ;   in Loop: Header=BB29_11 Depth=1
	s_or_b32 exec_lo, exec_lo, s7
	s_delay_alu instid0(SALU_CYCLE_1)
	s_and_not1_b32 vcc_lo, exec_lo, s46
	s_cbranch_vccnz .LBB29_151
.LBB29_158:                             ;   in Loop: Header=BB29_11 Depth=1
	s_mov_b32 s7, exec_lo
	v_readlane_b32 s0, v23, 3
	s_and_b32 s0, s7, s0
	s_delay_alu instid0(SALU_CYCLE_1)
	s_mov_b32 exec_lo, s0
	s_cbranch_execz .LBB29_163
; %bb.159:                              ;   in Loop: Header=BB29_11 Depth=1
	s_mul_i32 s18, s58, s9
	s_load_b32 s0, s[38:39], 0xc
	s_ashr_i32 s19, s18, 31
	s_add_co_i32 s1, s54, -1
	s_lshl_b64 s[18:19], s[18:19], 2
	s_cmp_eq_u32 s62, 0
	s_mov_b32 s14, 0
	s_cselect_b32 s6, s54, 0
	s_cselect_b32 s1, s1, 0
	s_lshl_b32 s50, s62, 1
	s_add_co_i32 s70, s1, s66
	s_add_co_i32 s1, s6, s50
	s_ashr_i32 s57, s56, 31
	s_add_co_i32 s1, s1, -1
	s_ashr_i32 s71, s70, 31
	v_mad_u32 v12, s9, s1, v0
	s_add_co_i32 s72, s50, -2
	s_mul_i32 s15, s6, s9
	s_lshl_b64 s[68:69], s[64:65], 2
	s_lshl_b64 s[48:49], s[56:57], 2
	s_lshl_b64 s[70:71], s[70:71], 2
	s_ashr_i32 s73, s72, 31
	v_dual_mov_b32 v14, v0 :: v_dual_add_nc_u32 v13, s15, v0
	s_sub_nc_u64 s[48:49], s[48:49], s[60:61]
	s_add_nc_u64 s[68:69], s[68:69], s[70:71]
	s_lshl_b64 s[70:71], s[72:73], 2
	s_add_nc_u64 s[18:19], s[28:29], s[18:19]
	s_add_nc_u64 s[58:59], s[48:49], 20
	s_wait_kmcnt 0x0
	s_and_b32 s48, s0, 0xffff
	s_add_nc_u64 s[68:69], s[26:27], s[68:69]
	s_or_b64 s[70:71], s[70:71], 4
	s_mul_i32 s49, s9, s55
.LBB29_160:                             ;   Parent Loop BB29_11 Depth=1
                                        ; =>  This Loop Header: Depth=2
                                        ;       Child Loop BB29_161 Depth 3
	v_add_nc_u32_e32 v8, s15, v14
	s_mov_b32 s55, 0
	s_mov_b64 s[72:73], s[68:69]
	s_mov_b32 s57, s54
	global_load_b32 v8, v8, s[18:19] scale_offset
.LBB29_161:                             ;   Parent Loop BB29_11 Depth=1
                                        ;     Parent Loop BB29_160 Depth=2
                                        ; =>    This Inner Loop Header: Depth=3
	s_wait_xcnt 0x1
	v_add_nc_u32_e32 v10, s55, v12
	s_add_nc_u64 s[74:75], s[72:73], s[58:59]
	s_add_co_i32 s57, s57, -1
	s_clause 0x1
	global_load_b32 v16, v3, s[72:73] offset:16
	global_load_b32 v17, v3, s[74:75]
	global_load_b32 v9, v10, s[18:19] scale_offset
	s_wait_xcnt 0x2
	s_add_nc_u64 s[72:73], s[72:73], s[70:71]
	s_wait_loadcnt 0x0
	v_pk_mul_f32 v[18:19], v[8:9], v[16:17]
	v_mul_f32_e32 v8, v8, v17
	v_add_nc_u32_e32 v11, s55, v13
	s_add_co_i32 s55, s55, s49
	s_cmp_eq_u32 s57, 0
	s_delay_alu instid0(VALU_DEP_2)
	v_dual_sub_f32 v15, v18, v19 :: v_dual_fmac_f32 v8, v9, v16
	global_store_b32 v11, v15, s[18:19] scale_offset
	s_cbranch_scc0 .LBB29_161
; %bb.162:                              ;   in Loop: Header=BB29_160 Depth=2
	v_dual_add_nc_u32 v14, s48, v14 :: v_dual_add_nc_u32 v13, s48, v13
	s_wait_xcnt 0x0
	v_dual_ashrrev_i32 v11, 31, v10 :: v_dual_add_nc_u32 v12, s48, v12
	s_delay_alu instid0(VALU_DEP_2) | instskip(NEXT) | instid1(VALU_DEP_2)
	v_cmp_le_i32_e32 vcc_lo, s22, v14
	v_lshl_add_u64 v[10:11], v[10:11], 2, s[18:19]
	s_or_b32 s14, vcc_lo, s14
	global_store_b32 v[10:11], v8, off
	s_wait_xcnt 0x0
	s_and_not1_b32 exec_lo, exec_lo, s14
	s_cbranch_execnz .LBB29_160
.LBB29_163:                             ;   in Loop: Header=BB29_11 Depth=1
	s_or_b32 exec_lo, exec_lo, s7
	s_delay_alu instid0(SALU_CYCLE_1)
	s_and_not1_b32 vcc_lo, exec_lo, s47
	s_cbranch_vccnz .LBB29_10
.LBB29_164:                             ;   in Loop: Header=BB29_11 Depth=1
	s_mov_b32 s7, exec_lo
	v_readlane_b32 s0, v23, 4
	s_and_b32 s0, s7, s0
	s_delay_alu instid0(SALU_CYCLE_1)
	s_mov_b32 exec_lo, s0
	s_cbranch_execz .LBB29_9
; %bb.165:                              ;   in Loop: Header=BB29_11 Depth=1
	s_load_b32 s0, s[38:39], 0xc
	s_add_co_i32 s1, s54, -1
	s_cmp_eq_u32 s62, 0
	v_mov_b32_e32 v22, v0
	s_cselect_b32 s1, s1, 0
	s_cselect_b32 s58, s54, 0
	s_add_co_i32 s48, s1, s66
	s_ashr_i32 s57, s56, 31
	s_ashr_i32 s49, s48, 31
	s_lshl_b64 s[64:65], s[64:65], 2
	s_lshl_b32 s1, s62, 1
	s_lshl_b64 s[48:49], s[48:49], 2
	s_lshl_b64 s[56:57], s[56:57], 2
	s_add_nc_u64 s[48:49], s[64:65], s[48:49]
	s_add_co_i32 s66, s1, -2
	s_ashr_i32 s63, s62, 31
	s_add_nc_u64 s[56:57], s[48:49], s[56:57]
	s_ashr_i32 s67, s66, 31
	v_dual_add_nc_u32 v8, s58, v20 :: v_dual_mov_b32 v10, v20
	s_wait_kmcnt 0x0
	s_and_b32 s15, s0, 0xffff
	v_readlane_b32 s0, v23, 11
	v_readlane_b32 s1, v23, 12
	s_add_nc_u64 s[18:19], s[36:37], s[60:61]
	s_sub_nc_u64 s[56:57], s[56:57], s[60:61]
	s_lshl_b64 s[60:61], s[66:67], 2
	s_add_nc_u64 s[64:65], s[52:53], s[48:49]
	s_lshl_b64 s[48:49], s[62:63], 1
	s_ashr_i32 s59, s58, 31
	s_mov_b32 s14, 0
	s_add_nc_u64 s[56:57], s[0:1], s[56:57]
	s_or_b64 s[60:61], s[60:61], 4
	s_add_nc_u64 s[62:63], s[48:49], s[58:59]
	s_mul_i32 s48, s35, s15
	s_or_b64 s[66:67], s[66:67], 1
.LBB29_166:                             ;   Parent Loop BB29_11 Depth=1
                                        ; =>  This Loop Header: Depth=2
                                        ;       Child Loop BB29_167 Depth 3
	v_mad_u32 v9, v22, s35, s58
	v_ashrrev_i32_e32 v11, 31, v10
	s_mov_b64 s[68:69], 0
	s_mov_b32 s49, s54
	global_load_b32 v12, v9, s[18:19] scale_offset
	s_wait_xcnt 0x0
	v_ashrrev_i32_e32 v9, 31, v8
	v_add_nc_u64_e32 v[14:15], s[62:63], v[10:11]
	s_delay_alu instid0(VALU_DEP_2)
	v_lshl_add_u64 v[16:17], v[8:9], 2, s[18:19]
.LBB29_167:                             ;   Parent Loop BB29_11 Depth=1
                                        ;     Parent Loop BB29_166 Depth=2
                                        ; =>    This Inner Loop Header: Depth=3
	s_wait_xcnt 0x1
	s_delay_alu instid0(VALU_DEP_2)
	v_lshl_add_u64 v[18:19], v[14:15], 2, s[18:19]
	s_add_nc_u64 s[70:71], s[64:65], s[68:69]
	s_add_nc_u64 s[72:73], s[56:57], s[68:69]
	s_clause 0x1
	global_load_b32 v24, v3, s[70:71]
	global_load_b32 v25, v3, s[72:73]
	global_load_b32 v13, v[18:19], off offset:-4
	s_wait_xcnt 0x3
	v_add_nc_u64_e32 v[28:29], s[68:69], v[16:17]
	v_add_nc_u64_e32 v[14:15], s[66:67], v[14:15]
	s_add_co_i32 s49, s49, -1
	s_add_nc_u64 s[68:69], s[68:69], s[60:61]
	s_cmp_eq_u32 s49, 0
	s_wait_loadcnt 0x0
	v_pk_mul_f32 v[26:27], v[12:13], v[24:25]
	s_delay_alu instid0(VALU_DEP_1) | instskip(NEXT) | instid1(VALU_DEP_1)
	v_dual_mul_f32 v12, v12, v25 :: v_dual_sub_f32 v9, v26, v27
	v_fmac_f32_e32 v12, v13, v24
	global_store_b32 v[28:29], v9, off
	s_cbranch_scc0 .LBB29_167
; %bb.168:                              ;   in Loop: Header=BB29_166 Depth=2
	v_dual_add_nc_u32 v22, s15, v22 :: v_dual_add_nc_u32 v8, s48, v8
	v_add_nc_u32_e32 v10, s48, v10
	global_store_b32 v[18:19], v12, off offset:-4
	v_cmp_le_i32_e32 vcc_lo, s23, v22
	s_or_b32 s14, vcc_lo, s14
	s_wait_xcnt 0x0
	s_and_not1_b32 exec_lo, exec_lo, s14
	s_cbranch_execnz .LBB29_166
	s_branch .LBB29_9
.LBB29_169:                             ;   in Loop: Header=BB29_11 Depth=1
	s_wait_xcnt 0x0
	v_mov_b32_e32 v11, s55
	v_xor_b32_e32 v15, 0x80000000, v13
	global_load_b32 v8, v11, s[80:81] offset:-4 scale_offset
	s_wait_loadcnt 0x0
	v_mul_f32_e32 v16, v12, v8
	v_mul_f32_e32 v8, v8, v15
	global_store_b32 v11, v16, s[80:81] offset:-4 scale_offset
	s_and_b32 s7, s20, s7
	s_delay_alu instid0(SALU_CYCLE_1)
	v_cndmask_b32_e64 v15, 0, 1, s7
	s_and_not1_b32 vcc_lo, exec_lo, s7
	s_cbranch_vccnz .LBB29_113
.LBB29_170:                             ;   in Loop: Header=BB29_11 Depth=1
	s_wait_xcnt 0x0
	v_mov_b32_e32 v11, s72
	s_clause 0x1
	global_store_b32 v3, v12, s[86:87] offset:12
	global_store_b32 v11, v13, s[86:87] offset:12 scale_offset
	s_xor_b32 s7, s48, -1
	s_delay_alu instid0(SALU_CYCLE_1) | instskip(NEXT) | instid1(SALU_CYCLE_1)
	s_or_b32 s15, s104, s7
	s_and_b32 vcc_lo, exec_lo, s15
	s_cbranch_vccz .LBB29_114
	s_branch .LBB29_115
.LBB29_171:
	s_endpgm
	.section	.rodata,"a",@progbits
	.p2align	6, 0x0
	.amdhsa_kernel _ZN9rocsolver6v33100L13bdsqr_computeILi256EffPfS2_S2_EEviiiiPT1_lS4_lT2_iilT3_iilT4_iiliS3_S3_S3_S3_PiS4_ilS8_
		.amdhsa_group_segment_fixed_size 1040
		.amdhsa_private_segment_fixed_size 0
		.amdhsa_kernarg_size 440
		.amdhsa_user_sgpr_count 2
		.amdhsa_user_sgpr_dispatch_ptr 0
		.amdhsa_user_sgpr_queue_ptr 0
		.amdhsa_user_sgpr_kernarg_segment_ptr 1
		.amdhsa_user_sgpr_dispatch_id 0
		.amdhsa_user_sgpr_kernarg_preload_length 0
		.amdhsa_user_sgpr_kernarg_preload_offset 0
		.amdhsa_user_sgpr_private_segment_size 0
		.amdhsa_wavefront_size32 1
		.amdhsa_uses_dynamic_stack 0
		.amdhsa_enable_private_segment 0
		.amdhsa_system_sgpr_workgroup_id_x 1
		.amdhsa_system_sgpr_workgroup_id_y 1
		.amdhsa_system_sgpr_workgroup_id_z 1
		.amdhsa_system_sgpr_workgroup_info 0
		.amdhsa_system_vgpr_workitem_id 0
		.amdhsa_next_free_vgpr 30
		.amdhsa_next_free_sgpr 105
		.amdhsa_named_barrier_count 0
		.amdhsa_reserve_vcc 1
		.amdhsa_float_round_mode_32 0
		.amdhsa_float_round_mode_16_64 0
		.amdhsa_float_denorm_mode_32 3
		.amdhsa_float_denorm_mode_16_64 3
		.amdhsa_fp16_overflow 0
		.amdhsa_memory_ordered 1
		.amdhsa_forward_progress 1
		.amdhsa_inst_pref_size 75
		.amdhsa_round_robin_scheduling 0
		.amdhsa_exception_fp_ieee_invalid_op 0
		.amdhsa_exception_fp_denorm_src 0
		.amdhsa_exception_fp_ieee_div_zero 0
		.amdhsa_exception_fp_ieee_overflow 0
		.amdhsa_exception_fp_ieee_underflow 0
		.amdhsa_exception_fp_ieee_inexact 0
		.amdhsa_exception_int_div_zero 0
	.end_amdhsa_kernel
	.section	.text._ZN9rocsolver6v33100L13bdsqr_computeILi256EffPfS2_S2_EEviiiiPT1_lS4_lT2_iilT3_iilT4_iiliS3_S3_S3_S3_PiS4_ilS8_,"axG",@progbits,_ZN9rocsolver6v33100L13bdsqr_computeILi256EffPfS2_S2_EEviiiiPT1_lS4_lT2_iilT3_iilT4_iiliS3_S3_S3_S3_PiS4_ilS8_,comdat
.Lfunc_end29:
	.size	_ZN9rocsolver6v33100L13bdsqr_computeILi256EffPfS2_S2_EEviiiiPT1_lS4_lT2_iilT3_iilT4_iiliS3_S3_S3_S3_PiS4_ilS8_, .Lfunc_end29-_ZN9rocsolver6v33100L13bdsqr_computeILi256EffPfS2_S2_EEviiiiPT1_lS4_lT2_iilT3_iilT4_iiliS3_S3_S3_S3_PiS4_ilS8_
                                        ; -- End function
	.set _ZN9rocsolver6v33100L13bdsqr_computeILi256EffPfS2_S2_EEviiiiPT1_lS4_lT2_iilT3_iilT4_iiliS3_S3_S3_S3_PiS4_ilS8_.num_vgpr, 30
	.set _ZN9rocsolver6v33100L13bdsqr_computeILi256EffPfS2_S2_EEviiiiPT1_lS4_lT2_iilT3_iilT4_iiliS3_S3_S3_S3_PiS4_ilS8_.num_agpr, 0
	.set _ZN9rocsolver6v33100L13bdsqr_computeILi256EffPfS2_S2_EEviiiiPT1_lS4_lT2_iilT3_iilT4_iiliS3_S3_S3_S3_PiS4_ilS8_.numbered_sgpr, 105
	.set _ZN9rocsolver6v33100L13bdsqr_computeILi256EffPfS2_S2_EEviiiiPT1_lS4_lT2_iilT3_iilT4_iiliS3_S3_S3_S3_PiS4_ilS8_.num_named_barrier, 0
	.set _ZN9rocsolver6v33100L13bdsqr_computeILi256EffPfS2_S2_EEviiiiPT1_lS4_lT2_iilT3_iilT4_iiliS3_S3_S3_S3_PiS4_ilS8_.private_seg_size, 0
	.set _ZN9rocsolver6v33100L13bdsqr_computeILi256EffPfS2_S2_EEviiiiPT1_lS4_lT2_iilT3_iilT4_iiliS3_S3_S3_S3_PiS4_ilS8_.uses_vcc, 1
	.set _ZN9rocsolver6v33100L13bdsqr_computeILi256EffPfS2_S2_EEviiiiPT1_lS4_lT2_iilT3_iilT4_iiliS3_S3_S3_S3_PiS4_ilS8_.uses_flat_scratch, 0
	.set _ZN9rocsolver6v33100L13bdsqr_computeILi256EffPfS2_S2_EEviiiiPT1_lS4_lT2_iilT3_iilT4_iiliS3_S3_S3_S3_PiS4_ilS8_.has_dyn_sized_stack, 0
	.set _ZN9rocsolver6v33100L13bdsqr_computeILi256EffPfS2_S2_EEviiiiPT1_lS4_lT2_iilT3_iilT4_iiliS3_S3_S3_S3_PiS4_ilS8_.has_recursion, 0
	.set _ZN9rocsolver6v33100L13bdsqr_computeILi256EffPfS2_S2_EEviiiiPT1_lS4_lT2_iilT3_iilT4_iiliS3_S3_S3_S3_PiS4_ilS8_.has_indirect_call, 0
	.section	.AMDGPU.csdata,"",@progbits
; Kernel info:
; codeLenInByte = 9532
; TotalNumSgprs: 107
; NumVgprs: 30
; ScratchSize: 0
; MemoryBound: 0
; FloatMode: 240
; IeeeMode: 1
; LDSByteSize: 1040 bytes/workgroup (compile time only)
; SGPRBlocks: 0
; VGPRBlocks: 1
; NumSGPRsForWavesPerEU: 107
; NumVGPRsForWavesPerEU: 30
; NamedBarCnt: 0
; Occupancy: 16
; WaveLimiterHint : 1
; COMPUTE_PGM_RSRC2:SCRATCH_EN: 0
; COMPUTE_PGM_RSRC2:USER_SGPR: 2
; COMPUTE_PGM_RSRC2:TRAP_HANDLER: 0
; COMPUTE_PGM_RSRC2:TGID_X_EN: 1
; COMPUTE_PGM_RSRC2:TGID_Y_EN: 1
; COMPUTE_PGM_RSRC2:TGID_Z_EN: 1
; COMPUTE_PGM_RSRC2:TIDIG_COMP_CNT: 0
	.section	.text._ZN9rocsolver6v33100L12bdsqr_rotateIffPfS2_S2_EEviiiiT1_iilT2_iilT3_iiliPiPT0_ilS6_,"axG",@progbits,_ZN9rocsolver6v33100L12bdsqr_rotateIffPfS2_S2_EEviiiiT1_iilT2_iilT3_iiliPiPT0_ilS6_,comdat
	.globl	_ZN9rocsolver6v33100L12bdsqr_rotateIffPfS2_S2_EEviiiiT1_iilT2_iilT3_iiliPiPT0_ilS6_ ; -- Begin function _ZN9rocsolver6v33100L12bdsqr_rotateIffPfS2_S2_EEviiiiT1_iilT2_iilT3_iiliPiPT0_ilS6_
	.p2align	8
	.type	_ZN9rocsolver6v33100L12bdsqr_rotateIffPfS2_S2_EEviiiiT1_iilT2_iilT3_iiliPiPT0_ilS6_,@function
_ZN9rocsolver6v33100L12bdsqr_rotateIffPfS2_S2_EEviiiiT1_iilT2_iilT3_iiliPiPT0_ilS6_: ; @_ZN9rocsolver6v33100L12bdsqr_rotateIffPfS2_S2_EEviiiiT1_iilT2_iilT3_iiliPiPT0_ilS6_
; %bb.0:
	s_load_b128 s[12:15], s[0:1], 0x78
	s_bfe_u32 s2, ttmp6, 0x40014
	s_lshr_b32 s3, ttmp7, 16
	s_add_co_i32 s2, s2, 1
	s_bfe_u32 s4, ttmp6, 0x40008
	s_mul_i32 s2, s3, s2
	s_getreg_b32 s26, hwreg(HW_REG_IB_STS2, 6, 4)
	s_add_co_i32 s4, s4, s2
	s_cmp_eq_u32 s26, 0
	s_mov_b32 s25, 0
	s_cselect_b32 s24, s3, s4
	s_wait_kmcnt 0x0
	s_load_b32 s2, s[14:15], s24 offset:0x8 scale_offset
	s_wait_kmcnt 0x0
	s_cmp_lg_u32 s2, 0
	s_cbranch_scc1 .LBB30_25
; %bb.1:
	s_load_b256 s[4:11], s[0:1], 0x10
	s_mov_b64 s[20:21], 0
	s_mov_b64 s[22:23], 0
	s_wait_kmcnt 0x0
	s_cmp_eq_u64 s[4:5], 0
	s_cbranch_scc1 .LBB30_3
; %bb.2:
	s_mul_u64 s[2:3], s[8:9], s[24:25]
	s_ashr_i32 s9, s6, 31
	s_lshl_b64 s[2:3], s[2:3], 2
	s_mov_b32 s8, s6
	s_add_nc_u64 s[2:3], s[4:5], s[2:3]
	s_lshl_b64 s[4:5], s[8:9], 2
	s_delay_alu instid0(SALU_CYCLE_1)
	s_add_nc_u64 s[22:23], s[2:3], s[4:5]
.LBB30_3:
	s_clause 0x1
	s_load_b64 s[2:3], s[0:1], 0x30
	s_load_b128 s[16:19], s[0:1], 0x38
	s_cmp_eq_u64 s[10:11], 0
	s_cbranch_scc1 .LBB30_5
; %bb.4:
	s_wait_kmcnt 0x0
	s_mul_u64 s[4:5], s[16:17], s[24:25]
	s_ashr_i32 s9, s2, 31
	s_lshl_b64 s[4:5], s[4:5], 2
	s_mov_b32 s8, s2
	s_add_nc_u64 s[4:5], s[10:11], s[4:5]
	s_lshl_b64 s[8:9], s[8:9], 2
	s_delay_alu instid0(SALU_CYCLE_1)
	s_add_nc_u64 s[20:21], s[4:5], s[8:9]
.LBB30_5:
	s_wait_kmcnt 0x0
	s_load_b64 s[16:17], s[0:1], 0x48
	s_cmp_eq_u64 s[18:19], 0
	s_mov_b64 s[4:5], 0
	s_cbranch_scc1 .LBB30_7
; %bb.6:
	s_load_b64 s[4:5], s[0:1], 0x50
	s_wait_kmcnt 0x0
	s_ashr_i32 s9, s16, 31
	s_mov_b32 s8, s16
	s_delay_alu instid0(SALU_CYCLE_1) | instskip(SKIP_1) | instid1(SALU_CYCLE_1)
	s_lshl_b64 s[8:9], s[8:9], 2
	s_mul_u64 s[4:5], s[4:5], s[24:25]
	s_lshl_b64 s[4:5], s[4:5], 2
	s_delay_alu instid0(SALU_CYCLE_1) | instskip(NEXT) | instid1(SALU_CYCLE_1)
	s_add_nc_u64 s[4:5], s[18:19], s[4:5]
	s_add_nc_u64 s[4:5], s[4:5], s[8:9]
.LBB30_7:
	s_load_b128 s[8:11], s[0:1], 0x60
	s_bfe_u32 s2, ttmp6, 0x40010
	s_and_b32 s6, ttmp7, 0xffff
	s_add_co_i32 s2, s2, 1
	s_bfe_u32 s14, ttmp6, 0x40004
	s_mul_i32 s2, s6, s2
	s_mul_u64 s[12:13], s[12:13], s[24:25]
	s_add_co_i32 s14, s14, s2
	s_cmp_eq_u32 s26, 0
	s_cselect_b32 s30, s6, s14
	s_lshl_b64 s[12:13], s[12:13], 2
	s_wait_kmcnt 0x0
	s_add_nc_u64 s[10:11], s[10:11], s[12:13]
	s_load_b32 s2, s[10:11], 0x8
	s_wait_kmcnt 0x0
	s_cvt_i32_f32 s31, s2
	s_delay_alu instid0(SALU_CYCLE_3)
	s_cmp_ge_i32 s30, s31
	s_cbranch_scc1 .LBB30_25
; %bb.8:
	s_clause 0x3
	s_load_b128 s[12:15], s[0:1], 0x0
	s_load_b32 s2, s[0:1], 0x94
	s_load_b32 s33, s[0:1], 0x58
	;; [unrolled: 1-line block ×3, first 2 shown]
	s_bfe_u32 s6, ttmp6, 0x4000c
	s_and_b32 s16, ttmp6, 15
	s_add_co_i32 s6, s6, 1
	s_wait_xcnt 0x0
	s_add_nc_u64 s[0:1], s[0:1], 0x88
	s_mul_i32 s6, ttmp9, s6
	s_load_b32 s35, s[0:1], 0x4
	s_add_co_i32 s16, s16, s6
	v_mov_b32_e32 v11, 0
	s_wait_kmcnt 0x0
	s_mul_i32 s12, s24, s12
	s_and_b32 s2, 0xffff, s2
	s_lshl_b32 s18, s12, 1
	s_delay_alu instid0(SALU_CYCLE_1) | instskip(NEXT) | instid1(SALU_CYCLE_1)
	s_ashr_i32 s19, s18, 31
	s_lshl_b64 s[18:19], s[18:19], 2
	s_cmp_eq_u32 s26, 0
	s_cselect_b32 s6, ttmp9, s16
	s_cmp_eq_u32 s13, 0
	v_mad_u32 v8, s6, s2, v0
	s_cselect_b32 s36, -1, 0
	s_cmp_lg_u64 s[22:23], 0
	s_cselect_b32 s1, -1, 0
	s_delay_alu instid0(VALU_DEP_1)
	v_cmp_gt_i32_e32 vcc_lo, s13, v8
	v_cmp_gt_i32_e64 s0, s14, v8
	v_mul_lo_u32 v9, v8, s7
	v_mul_lo_u32 v10, v8, s17
	s_add_nc_u64 s[12:13], s[10:11], 20
	s_and_b32 s37, vcc_lo, s1
	s_cmp_lg_u64 s[20:21], 0
	v_cmp_gt_i32_e32 vcc_lo, s15, v8
	s_cselect_b32 s1, -1, 0
	s_add_nc_u64 s[6:7], s[8:9], s[18:19]
	s_and_b32 s38, s0, s1
	s_cmp_lg_u64 s[4:5], 0
	s_add_nc_u64 s[8:9], s[10:11], 16
	s_cselect_b32 s0, -1, 0
	s_delay_alu instid0(SALU_CYCLE_1)
	s_and_b32 s39, vcc_lo, s0
	s_branch .LBB30_12
.LBB30_9:                               ;   in Loop: Header=BB30_12 Depth=1
	v_sub_nc_u64_e64 v[2:3], v[2:3], s[0:1]
	s_delay_alu instid0(VALU_DEP_1) | instskip(NEXT) | instid1(VALU_DEP_1)
	v_add_nc_u64_e32 v[2:3], s[4:5], v[2:3]
	v_add_nc_u64_e32 v[2:3], s[16:17], v[2:3]
	global_store_b32 v[2:3], v0, off
.LBB30_10:                              ;   in Loop: Header=BB30_12 Depth=1
	s_wait_xcnt 0x0
	s_or_b32 exec_lo, exec_lo, s26
.LBB30_11:                              ;   in Loop: Header=BB30_12 Depth=1
	s_add_co_i32 s30, s35, s30
	s_delay_alu instid0(SALU_CYCLE_1)
	s_cmp_lt_i32 s30, s31
	s_cbranch_scc0 .LBB30_25
.LBB30_12:                              ; =>This Loop Header: Depth=1
                                        ;     Child Loop BB30_16 Depth 2
                                        ;     Child Loop BB30_20 Depth 2
                                        ;     Child Loop BB30_24 Depth 2
	s_lshl_b32 s0, s30, 2
	s_delay_alu instid0(SALU_CYCLE_1) | instskip(NEXT) | instid1(SALU_CYCLE_1)
	s_ashr_i32 s1, s0, 31
	s_lshl_b64 s[0:1], s[0:1], 2
	s_wait_xcnt 0x0
	s_add_nc_u64 s[14:15], s[6:7], s[0:1]
	s_load_b96 s[0:2], s[14:15], 0x0
	s_wait_kmcnt 0x0
	s_cmp_le_i32 s2, s1
	s_cbranch_scc1 .LBB30_11
; %bb.13:                               ;   in Loop: Header=BB30_12 Depth=1
	s_wait_xcnt 0x0
	s_load_b32 s14, s[14:15], 0xc
	s_wait_kmcnt 0x0
	s_cmp_lt_i32 s14, s33
	s_wait_xcnt 0x0
	s_cselect_b32 s14, -1, 0
	s_cmp_lg_u32 s0, 0
	s_cselect_b32 s15, -1, 0
	s_delay_alu instid0(SALU_CYCLE_1) | instskip(NEXT) | instid1(SALU_CYCLE_1)
	s_and_b32 s14, s14, s15
	s_and_not1_b32 vcc_lo, exec_lo, s14
	s_cbranch_vccnz .LBB30_11
; %bb.14:                               ;   in Loop: Header=BB30_12 Depth=1
	s_mul_i32 s16, s1, s34
	s_delay_alu instid0(SALU_CYCLE_1)
	s_ashr_i32 s17, s16, 31
	s_cmp_gt_i32 s0, 0
	s_cselect_b32 s40, -1, 0
	s_sub_co_i32 s14, s2, s1
	s_and_saveexec_b32 s15, s37
	s_cbranch_execz .LBB30_18
; %bb.15:                               ;   in Loop: Header=BB30_12 Depth=1
	s_and_b32 s18, s40, exec_lo
	s_cselect_b32 s18, s1, s2
	s_mov_b32 s24, s2
	v_add_nc_u32_e32 v4, s18, v9
	s_add_co_i32 s18, s14, -1
	s_and_b32 s19, s40, exec_lo
	s_cselect_b32 s18, 0, s18
	s_ashr_i32 s25, s2, 31
	v_add_nc_u32_e32 v2, s0, v4
	s_ashr_i32 s19, s18, 31
	s_lshl_b64 s[26:27], s[16:17], 2
	s_lshl_b64 s[18:19], s[18:19], 2
	;; [unrolled: 1-line block ×3, first 2 shown]
	v_ashrrev_i32_e32 v3, 31, v2
	global_load_b32 v0, v4, s[22:23] scale_offset
	v_ashrrev_i32_e32 v5, 31, v4
	s_add_nc_u64 s[28:29], s[18:19], s[26:27]
	s_ashr_i32 s19, s1, 31
	v_lshlrev_b64_e32 v[2:3], 2, v[2:3]
	s_mov_b32 s18, s1
	s_add_nc_u64 s[24:25], s[28:29], s[24:25]
	s_lshl_b64 s[18:19], s[18:19], 2
	s_wait_xcnt 0x0
	v_lshl_add_u64 v[4:5], v[4:5], 2, s[22:23]
	s_sub_nc_u64 s[18:19], s[24:25], s[18:19]
	s_ashr_i32 s25, s0, 31
	v_add_nc_u64_e32 v[6:7], s[22:23], v[2:3]
	s_mov_b32 s24, s0
	s_add_nc_u64 s[26:27], s[12:13], s[18:19]
	s_lshl_b64 s[18:19], s[24:25], 2
	s_add_nc_u64 s[28:29], s[8:9], s[28:29]
	s_mov_b64 s[24:25], 0
	s_mov_b32 s41, s14
.LBB30_16:                              ;   Parent Loop BB30_12 Depth=1
                                        ; =>  This Inner Loop Header: Depth=2
	s_wait_xcnt 0x0
	v_add_nc_u64_e32 v[12:13], s[24:25], v[6:7]
	s_add_nc_u64 s[42:43], s[28:29], s[24:25]
	s_add_nc_u64 s[44:45], s[26:27], s[24:25]
	v_add_nc_u64_e32 v[16:17], s[24:25], v[4:5]
	s_add_co_i32 s41, s41, -1
	s_clause 0x1
	global_load_b32 v14, v11, s[42:43]
	global_load_b32 v15, v11, s[44:45]
	global_load_b32 v1, v[12:13], off
	s_cmp_eq_u32 s41, 0
	s_add_nc_u64 s[24:25], s[24:25], s[18:19]
	s_wait_loadcnt 0x0
	s_wait_xcnt 0x0
	v_pk_mul_f32 v[12:13], v[0:1], v[14:15]
	v_mul_f32_e32 v0, v0, v15
	s_delay_alu instid0(VALU_DEP_1)
	v_dual_sub_f32 v12, v12, v13 :: v_dual_fmac_f32 v0, v1, v14
	global_store_b32 v[16:17], v12, off
	s_cbranch_scc0 .LBB30_16
; %bb.17:                               ;   in Loop: Header=BB30_12 Depth=1
	v_sub_nc_u64_e64 v[2:3], v[2:3], s[18:19]
	s_delay_alu instid0(VALU_DEP_1) | instskip(NEXT) | instid1(VALU_DEP_1)
	v_add_nc_u64_e32 v[2:3], s[22:23], v[2:3]
	v_add_nc_u64_e32 v[2:3], s[24:25], v[2:3]
	global_store_b32 v[2:3], v0, off
.LBB30_18:                              ;   in Loop: Header=BB30_12 Depth=1
	s_wait_xcnt 0x0
	s_or_b32 exec_lo, exec_lo, s15
	s_lshl_b32 s15, s14, 1
	s_delay_alu instid0(SALU_CYCLE_1)
	s_add_co_i32 s15, s15, 2
	s_and_b32 s18, s36, exec_lo
	s_cselect_b32 s28, 0, s15
	s_and_saveexec_b32 s29, s38
	s_cbranch_execz .LBB30_22
; %bb.19:                               ;   in Loop: Header=BB30_12 Depth=1
	s_and_b32 s15, s40, exec_lo
	s_cselect_b32 s44, s1, s2
	s_add_co_i32 s15, s14, -1
	s_mul_i32 s41, s44, s3
	s_and_b32 s18, s40, exec_lo
	v_dual_mov_b32 v3, v8 :: v_dual_add_nc_u32 v0, s41, v8
	s_cselect_b32 s18, 0, s15
	s_ashr_i32 s15, s14, 31
	s_add_co_i32 s18, s28, s18
	global_load_b32 v0, v0, s[20:21] scale_offset
	s_ashr_i32 s19, s18, 31
	s_lshl_b64 s[24:25], s[14:15], 2
	s_lshl_b64 s[26:27], s[16:17], 2
	;; [unrolled: 1-line block ×3, first 2 shown]
	s_add_nc_u64 s[18:19], s[24:25], 20
	s_add_nc_u64 s[24:25], s[26:27], s[42:43]
	s_ashr_i32 s27, s0, 31
	s_mov_b32 s26, s0
	s_add_co_i32 s44, s44, s0
	s_add_nc_u64 s[24:25], s[10:11], s[24:25]
	s_lshl_b64 s[26:27], s[26:27], 2
	s_mul_i32 s15, s3, s44
	s_mul_i32 s42, s3, s0
	s_mov_b32 s43, s14
.LBB30_20:                              ;   Parent Loop BB30_12 Depth=1
                                        ; =>  This Inner Loop Header: Depth=2
	s_wait_xcnt 0x1
	v_add_nc_u32_e32 v2, s15, v3
	s_add_nc_u64 s[44:45], s[24:25], s[18:19]
	s_add_co_i32 s43, s43, -1
	s_clause 0x1
	global_load_b32 v4, v11, s[24:25] offset:16
	global_load_b32 v5, v11, s[44:45]
	global_load_b32 v1, v2, s[20:21] scale_offset
	s_cmp_eq_u32 s43, 0
	s_wait_xcnt 0x2
	s_add_nc_u64 s[24:25], s[24:25], s[26:27]
	s_wait_loadcnt 0x0
	v_pk_mul_f32 v[6:7], v[0:1], v[4:5]
	v_dual_mul_f32 v0, v0, v5 :: v_dual_add_nc_u32 v5, s41, v3
	v_add_nc_u32_e32 v3, s42, v3
	s_delay_alu instid0(VALU_DEP_2)
	v_dual_sub_f32 v6, v6, v7 :: v_dual_fmac_f32 v0, v1, v4
	global_store_b32 v5, v6, s[20:21] scale_offset
	s_cbranch_scc0 .LBB30_20
; %bb.21:                               ;   in Loop: Header=BB30_12 Depth=1
	v_ashrrev_i32_e32 v3, 31, v2
	s_wait_xcnt 0x1
	s_delay_alu instid0(VALU_DEP_1)
	v_lshl_add_u64 v[2:3], v[2:3], 2, s[20:21]
	global_store_b32 v[2:3], v0, off
.LBB30_22:                              ;   in Loop: Header=BB30_12 Depth=1
	s_wait_xcnt 0x0
	s_or_b32 exec_lo, exec_lo, s29
	s_and_saveexec_b32 s26, s39
	s_cbranch_execz .LBB30_10
; %bb.23:                               ;   in Loop: Header=BB30_12 Depth=1
	s_and_b32 s15, s40, exec_lo
	s_cselect_b32 s1, s1, s2
	s_delay_alu instid0(SALU_CYCLE_1)
	v_add_nc_u32_e32 v4, s1, v10
	s_add_co_i32 s1, s14, -1
	s_and_b32 s2, s40, exec_lo
	s_cselect_b32 s1, 0, s1
	s_lshl_b64 s[16:17], s[16:17], 2
	global_load_b32 v0, v4, s[4:5] scale_offset
	v_dual_add_nc_u32 v2, s0, v4 :: v_dual_ashrrev_i32 v5, 31, v4
	s_add_co_i32 s18, s28, s1
	s_ashr_i32 s15, s14, 31
	s_ashr_i32 s19, s18, 31
	s_delay_alu instid0(VALU_DEP_1)
	v_ashrrev_i32_e32 v3, 31, v2
	s_lshl_b64 s[18:19], s[18:19], 2
	s_wait_xcnt 0x0
	v_lshl_add_u64 v[4:5], v[4:5], 2, s[4:5]
	s_add_nc_u64 s[16:17], s[16:17], s[18:19]
	s_lshl_b64 s[18:19], s[14:15], 2
	v_lshlrev_b64_e32 v[2:3], 2, v[2:3]
	s_add_nc_u64 s[18:19], s[16:17], s[18:19]
	s_ashr_i32 s1, s0, 31
	s_add_nc_u64 s[18:19], s[12:13], s[18:19]
	s_lshl_b64 s[0:1], s[0:1], 2
	s_add_nc_u64 s[24:25], s[8:9], s[16:17]
	s_mov_b64 s[16:17], 0
	v_add_nc_u64_e32 v[6:7], s[4:5], v[2:3]
.LBB30_24:                              ;   Parent Loop BB30_12 Depth=1
                                        ; =>  This Inner Loop Header: Depth=2
	s_wait_xcnt 0x0
	s_delay_alu instid0(VALU_DEP_1)
	v_add_nc_u64_e32 v[12:13], s[16:17], v[6:7]
	s_add_nc_u64 s[28:29], s[24:25], s[16:17]
	s_add_nc_u64 s[40:41], s[18:19], s[16:17]
	v_add_nc_u64_e32 v[16:17], s[16:17], v[4:5]
	s_add_co_i32 s14, s14, -1
	s_clause 0x1
	global_load_b32 v14, v11, s[28:29]
	global_load_b32 v15, v11, s[40:41]
	global_load_b32 v1, v[12:13], off
	s_cmp_eq_u32 s14, 0
	s_add_nc_u64 s[16:17], s[16:17], s[0:1]
	s_wait_loadcnt 0x0
	s_wait_xcnt 0x0
	v_pk_mul_f32 v[12:13], v[0:1], v[14:15]
	v_mul_f32_e32 v0, v0, v15
	s_delay_alu instid0(VALU_DEP_1)
	v_dual_sub_f32 v12, v12, v13 :: v_dual_fmac_f32 v0, v1, v14
	global_store_b32 v[16:17], v12, off
	s_cbranch_scc0 .LBB30_24
	s_branch .LBB30_9
.LBB30_25:
	s_endpgm
	.section	.rodata,"a",@progbits
	.p2align	6, 0x0
	.amdhsa_kernel _ZN9rocsolver6v33100L12bdsqr_rotateIffPfS2_S2_EEviiiiT1_iilT2_iilT3_iiliPiPT0_ilS6_
		.amdhsa_group_segment_fixed_size 0
		.amdhsa_private_segment_fixed_size 0
		.amdhsa_kernarg_size 392
		.amdhsa_user_sgpr_count 2
		.amdhsa_user_sgpr_dispatch_ptr 0
		.amdhsa_user_sgpr_queue_ptr 0
		.amdhsa_user_sgpr_kernarg_segment_ptr 1
		.amdhsa_user_sgpr_dispatch_id 0
		.amdhsa_user_sgpr_kernarg_preload_length 0
		.amdhsa_user_sgpr_kernarg_preload_offset 0
		.amdhsa_user_sgpr_private_segment_size 0
		.amdhsa_wavefront_size32 1
		.amdhsa_uses_dynamic_stack 0
		.amdhsa_enable_private_segment 0
		.amdhsa_system_sgpr_workgroup_id_x 1
		.amdhsa_system_sgpr_workgroup_id_y 1
		.amdhsa_system_sgpr_workgroup_id_z 1
		.amdhsa_system_sgpr_workgroup_info 0
		.amdhsa_system_vgpr_workitem_id 0
		.amdhsa_next_free_vgpr 18
		.amdhsa_next_free_sgpr 46
		.amdhsa_named_barrier_count 0
		.amdhsa_reserve_vcc 1
		.amdhsa_float_round_mode_32 0
		.amdhsa_float_round_mode_16_64 0
		.amdhsa_float_denorm_mode_32 3
		.amdhsa_float_denorm_mode_16_64 3
		.amdhsa_fp16_overflow 0
		.amdhsa_memory_ordered 1
		.amdhsa_forward_progress 1
		.amdhsa_inst_pref_size 14
		.amdhsa_round_robin_scheduling 0
		.amdhsa_exception_fp_ieee_invalid_op 0
		.amdhsa_exception_fp_denorm_src 0
		.amdhsa_exception_fp_ieee_div_zero 0
		.amdhsa_exception_fp_ieee_overflow 0
		.amdhsa_exception_fp_ieee_underflow 0
		.amdhsa_exception_fp_ieee_inexact 0
		.amdhsa_exception_int_div_zero 0
	.end_amdhsa_kernel
	.section	.text._ZN9rocsolver6v33100L12bdsqr_rotateIffPfS2_S2_EEviiiiT1_iilT2_iilT3_iiliPiPT0_ilS6_,"axG",@progbits,_ZN9rocsolver6v33100L12bdsqr_rotateIffPfS2_S2_EEviiiiT1_iilT2_iilT3_iiliPiPT0_ilS6_,comdat
.Lfunc_end30:
	.size	_ZN9rocsolver6v33100L12bdsqr_rotateIffPfS2_S2_EEviiiiT1_iilT2_iilT3_iiliPiPT0_ilS6_, .Lfunc_end30-_ZN9rocsolver6v33100L12bdsqr_rotateIffPfS2_S2_EEviiiiT1_iilT2_iilT3_iiliPiPT0_ilS6_
                                        ; -- End function
	.set _ZN9rocsolver6v33100L12bdsqr_rotateIffPfS2_S2_EEviiiiT1_iilT2_iilT3_iiliPiPT0_ilS6_.num_vgpr, 18
	.set _ZN9rocsolver6v33100L12bdsqr_rotateIffPfS2_S2_EEviiiiT1_iilT2_iilT3_iiliPiPT0_ilS6_.num_agpr, 0
	.set _ZN9rocsolver6v33100L12bdsqr_rotateIffPfS2_S2_EEviiiiT1_iilT2_iilT3_iiliPiPT0_ilS6_.numbered_sgpr, 46
	.set _ZN9rocsolver6v33100L12bdsqr_rotateIffPfS2_S2_EEviiiiT1_iilT2_iilT3_iiliPiPT0_ilS6_.num_named_barrier, 0
	.set _ZN9rocsolver6v33100L12bdsqr_rotateIffPfS2_S2_EEviiiiT1_iilT2_iilT3_iiliPiPT0_ilS6_.private_seg_size, 0
	.set _ZN9rocsolver6v33100L12bdsqr_rotateIffPfS2_S2_EEviiiiT1_iilT2_iilT3_iiliPiPT0_ilS6_.uses_vcc, 1
	.set _ZN9rocsolver6v33100L12bdsqr_rotateIffPfS2_S2_EEviiiiT1_iilT2_iilT3_iiliPiPT0_ilS6_.uses_flat_scratch, 0
	.set _ZN9rocsolver6v33100L12bdsqr_rotateIffPfS2_S2_EEviiiiT1_iilT2_iilT3_iiliPiPT0_ilS6_.has_dyn_sized_stack, 0
	.set _ZN9rocsolver6v33100L12bdsqr_rotateIffPfS2_S2_EEviiiiT1_iilT2_iilT3_iiliPiPT0_ilS6_.has_recursion, 0
	.set _ZN9rocsolver6v33100L12bdsqr_rotateIffPfS2_S2_EEviiiiT1_iilT2_iilT3_iiliPiPT0_ilS6_.has_indirect_call, 0
	.section	.AMDGPU.csdata,"",@progbits
; Kernel info:
; codeLenInByte = 1672
; TotalNumSgprs: 48
; NumVgprs: 18
; ScratchSize: 0
; MemoryBound: 0
; FloatMode: 240
; IeeeMode: 1
; LDSByteSize: 0 bytes/workgroup (compile time only)
; SGPRBlocks: 0
; VGPRBlocks: 1
; NumSGPRsForWavesPerEU: 48
; NumVGPRsForWavesPerEU: 18
; NamedBarCnt: 0
; Occupancy: 16
; WaveLimiterHint : 1
; COMPUTE_PGM_RSRC2:SCRATCH_EN: 0
; COMPUTE_PGM_RSRC2:USER_SGPR: 2
; COMPUTE_PGM_RSRC2:TRAP_HANDLER: 0
; COMPUTE_PGM_RSRC2:TGID_X_EN: 1
; COMPUTE_PGM_RSRC2:TGID_Y_EN: 1
; COMPUTE_PGM_RSRC2:TGID_Z_EN: 1
; COMPUTE_PGM_RSRC2:TIDIG_COMP_CNT: 0
	.section	.text._ZN9rocsolver6v33100L22bdsqr_update_endpointsIffEEviPT0_lPiS3_lS4_,"axG",@progbits,_ZN9rocsolver6v33100L22bdsqr_update_endpointsIffEEviPT0_lPiS3_lS4_,comdat
	.globl	_ZN9rocsolver6v33100L22bdsqr_update_endpointsIffEEviPT0_lPiS3_lS4_ ; -- Begin function _ZN9rocsolver6v33100L22bdsqr_update_endpointsIffEEviPT0_lPiS3_lS4_
	.p2align	8
	.type	_ZN9rocsolver6v33100L22bdsqr_update_endpointsIffEEviPT0_lPiS3_lS4_,@function
_ZN9rocsolver6v33100L22bdsqr_update_endpointsIffEEviPT0_lPiS3_lS4_: ; @_ZN9rocsolver6v33100L22bdsqr_update_endpointsIffEEviPT0_lPiS3_lS4_
; %bb.0:
	s_load_b128 s[12:15], s[0:1], 0x28
	s_bfe_u32 s2, ttmp6, 0x40014
	s_lshr_b32 s3, ttmp7, 16
	s_add_co_i32 s2, s2, 1
	s_bfe_u32 s5, ttmp6, 0x40008
	s_mul_i32 s4, s3, s2
	s_getreg_b32 s2, hwreg(HW_REG_IB_STS2, 6, 4)
	s_add_co_i32 s5, s5, s4
	s_cmp_eq_u32 s2, 0
	s_mov_b32 s17, 0
	s_cselect_b32 s16, s3, s5
	s_wait_kmcnt 0x0
	s_load_b32 s3, s[14:15], s16 offset:0x8 scale_offset
	s_wait_kmcnt 0x0
	s_cmp_lg_u32 s3, 0
	s_cbranch_scc1 .LBB31_28
; %bb.1:
	s_load_b256 s[4:11], s[0:1], 0x8
	s_bfe_u32 s3, ttmp6, 0x40010
	s_and_b32 s14, ttmp7, 0xffff
	s_add_co_i32 s3, s3, 1
	s_bfe_u32 s15, ttmp6, 0x40004
	s_mul_i32 s3, s14, s3
	s_delay_alu instid0(SALU_CYCLE_1)
	s_add_co_i32 s15, s15, s3
	s_cmp_eq_u32 s2, 0
	s_mul_u64 s[2:3], s[12:13], s[16:17]
	s_cselect_b32 s20, s14, s15
	s_lshl_b64 s[2:3], s[2:3], 2
	s_wait_kmcnt 0x0
	s_add_nc_u64 s[2:3], s[10:11], s[2:3]
	s_load_b64 s[10:11], s[2:3], 0x4
	s_wait_kmcnt 0x0
	s_cvt_i32_f32 s11, s11
	s_delay_alu instid0(SALU_CYCLE_3)
	s_cmp_ge_i32 s20, s11
	s_cbranch_scc1 .LBB31_28
; %bb.2:
	s_clause 0x1
	s_load_b32 s12, s[0:1], 0x0
	s_load_b32 s21, s[0:1], 0x3c
	s_wait_xcnt 0x0
	s_mul_u64 s[0:1], s[6:7], s[16:17]
	v_mov_b32_e32 v4, 0
	s_lshl_b64 s[0:1], s[0:1], 2
	s_cvt_f32_i32 s22, s11
	s_add_nc_u64 s[4:5], s[4:5], s[0:1]
	s_wait_kmcnt 0x0
	s_mul_i32 s6, s16, s12
	s_delay_alu instid0(SALU_CYCLE_1) | instskip(NEXT) | instid1(SALU_CYCLE_1)
	s_lshl_b32 s6, s6, 1
	s_ashr_i32 s7, s6, 31
	s_delay_alu instid0(SALU_CYCLE_1) | instskip(NEXT) | instid1(SALU_CYCLE_1)
	s_lshl_b64 s[6:7], s[6:7], 2
	s_add_nc_u64 s[6:7], s[8:9], s[6:7]
	s_add_nc_u64 s[8:9], s[4:5], -4
	s_branch .LBB31_4
.LBB31_3:                               ;   in Loop: Header=BB31_4 Depth=1
	s_wait_xcnt 0x0
	v_dual_mov_b32 v0, s23 :: v_dual_mov_b32 v1, s15
	s_add_co_i32 s20, s21, s20
	s_delay_alu instid0(SALU_CYCLE_1)
	s_cmp_lt_i32 s20, s11
	global_store_b64 v4, v[0:1], s[12:13] offset:4
	s_cbranch_scc0 .LBB31_28
.LBB31_4:                               ; =>This Loop Header: Depth=1
                                        ;     Child Loop BB31_9 Depth 2
                                        ;     Child Loop BB31_14 Depth 2
	;; [unrolled: 1-line block ×3, first 2 shown]
	s_lshl_b32 s0, s20, 2
	s_delay_alu instid0(SALU_CYCLE_1) | instskip(NEXT) | instid1(SALU_CYCLE_1)
	s_ashr_i32 s1, s0, 31
	s_lshl_b64 s[0:1], s[0:1], 2
	s_wait_xcnt 0x0
	s_add_nc_u64 s[12:13], s[6:7], s[0:1]
	global_load_b128 v[0:3], v4, s[12:13]
	s_wait_loadcnt 0x0
	v_cmp_eq_u32_e64 s0, 0, v0
	v_readfirstlane_b32 s16, v1
	v_readfirstlane_b32 s14, v2
	v_mov_b32_e32 v2, v3
	s_and_b32 vcc_lo, exec_lo, s0
	s_cbranch_vccnz .LBB31_6
; %bb.5:                                ;   in Loop: Header=BB31_4 Depth=1
	s_sub_co_i32 s1, s14, s16
	s_delay_alu instid0(SALU_CYCLE_1)
	v_add_nc_u32_e32 v2, s1, v3
	global_store_b32 v4, v2, s[12:13] offset:12
.LBB31_6:                               ;   in Loop: Header=BB31_4 Depth=1
	s_cmp_le_i32 s14, s16
	s_cbranch_scc1 .LBB31_16
; %bb.7:                                ;   in Loop: Header=BB31_4 Depth=1
	s_ashr_i32 s17, s16, 31
	s_delay_alu instid0(SALU_CYCLE_1) | instskip(NEXT) | instid1(SALU_CYCLE_1)
	s_lshl_b64 s[18:19], s[16:17], 2
	s_add_nc_u64 s[18:19], s[4:5], s[18:19]
	s_branch .LBB31_9
.LBB31_8:                               ;   in Loop: Header=BB31_9 Depth=2
	s_add_co_i32 s16, s16, 1
	global_store_b32 v4, v4, s[18:19]
	s_cmp_ge_i32 s16, s14
	s_wait_xcnt 0x0
	s_add_nc_u64 s[18:19], s[18:19], 4
	s_cselect_b32 s1, -1, 0
	s_mov_b32 s23, s14
	s_and_not1_b32 vcc_lo, exec_lo, s1
	s_cbranch_vccz .LBB31_11
.LBB31_9:                               ;   Parent Loop BB31_4 Depth=1
                                        ; =>  This Inner Loop Header: Depth=2
	global_load_b32 v0, v4, s[18:19]
	s_mov_b32 s1, -1
	s_wait_loadcnt 0x0
	v_and_b32_e32 v0, 0x7fffffff, v0
	s_delay_alu instid0(VALU_DEP_1)
	v_cmp_ngt_f32_e32 vcc_lo, s10, v0
	s_cbranch_vccz .LBB31_8
; %bb.10:                               ;   in Loop: Header=BB31_9 Depth=2
	s_mov_b32 s23, s16
                                        ; implicit-def: $sgpr16
                                        ; implicit-def: $sgpr18_sgpr19
	s_and_not1_b32 vcc_lo, exec_lo, s1
	s_cbranch_vccnz .LBB31_9
.LBB31_11:                              ;   in Loop: Header=BB31_4 Depth=1
	s_cmp_le_i32 s14, s23
	s_cbranch_scc1 .LBB31_17
.LBB31_12:                              ;   in Loop: Header=BB31_4 Depth=1
	s_ashr_i32 s15, s14, 31
	s_delay_alu instid0(SALU_CYCLE_1) | instskip(NEXT) | instid1(SALU_CYCLE_1)
	s_lshl_b64 s[16:17], s[14:15], 2
	s_add_nc_u64 s[16:17], s[8:9], s[16:17]
	s_branch .LBB31_14
.LBB31_13:                              ;   in Loop: Header=BB31_14 Depth=2
	s_add_co_i32 s14, s14, -1
	global_store_b32 v4, v4, s[16:17]
	s_cmp_le_i32 s14, s23
	s_wait_xcnt 0x0
	s_add_nc_u64 s[16:17], s[16:17], -4
	s_cselect_b32 s1, -1, 0
	s_mov_b32 s15, s23
	s_and_not1_b32 vcc_lo, exec_lo, s1
	s_cbranch_vccz .LBB31_18
.LBB31_14:                              ;   Parent Loop BB31_4 Depth=1
                                        ; =>  This Inner Loop Header: Depth=2
	global_load_b32 v0, v4, s[16:17]
	s_mov_b32 s1, -1
	s_wait_loadcnt 0x0
	v_and_b32_e32 v0, 0x7fffffff, v0
	s_delay_alu instid0(VALU_DEP_1)
	v_cmp_ngt_f32_e32 vcc_lo, s10, v0
	s_cbranch_vccz .LBB31_13
; %bb.15:                               ;   in Loop: Header=BB31_14 Depth=2
	s_mov_b32 s15, s14
                                        ; implicit-def: $sgpr14
                                        ; implicit-def: $sgpr16_sgpr17
	s_and_not1_b32 vcc_lo, exec_lo, s1
	s_cbranch_vccnz .LBB31_14
	s_branch .LBB31_18
.LBB31_16:                              ;   in Loop: Header=BB31_4 Depth=1
	s_mov_b32 s23, s16
	s_delay_alu instid0(SALU_CYCLE_1)
	s_cmp_le_i32 s14, s23
	s_cbranch_scc0 .LBB31_12
.LBB31_17:                              ;   in Loop: Header=BB31_4 Depth=1
	s_mov_b32 s15, s14
.LBB31_18:                              ;   in Loop: Header=BB31_4 Depth=1
	s_delay_alu instid0(SALU_CYCLE_1) | instskip(SKIP_1) | instid1(SALU_CYCLE_1)
	s_cmp_lt_i32 s23, s15
	s_cselect_b32 s1, -1, 0
	s_and_b32 s0, s0, s1
	s_delay_alu instid0(SALU_CYCLE_1)
	s_and_not1_b32 vcc_lo, exec_lo, s0
	s_mov_b32 s0, s23
	s_cbranch_vccz .LBB31_20
	s_branch .LBB31_3
.LBB31_19:                              ;   in Loop: Header=BB31_20 Depth=2
	s_mov_b32 s0, s1
	s_delay_alu instid0(SALU_CYCLE_1)
	s_cmp_lt_i32 s0, s15
	s_cbranch_scc0 .LBB31_3
.LBB31_20:                              ;   Parent Loop BB31_4 Depth=1
                                        ; =>  This Inner Loop Header: Depth=2
	s_wait_xcnt 0x0
	v_mov_b32_e32 v0, s0
	s_mov_b32 s14, -1
                                        ; implicit-def: $sgpr1
	global_load_b32 v0, v0, s[4:5] scale_offset
	s_wait_loadcnt 0x0
	s_wait_xcnt 0x0
	v_and_b32_e32 v0, 0x7fffffff, v0
	s_delay_alu instid0(VALU_DEP_1)
	v_cmp_gt_f32_e32 vcc_lo, s10, v0
	s_cbranch_vccnz .LBB31_22
; %bb.21:                               ;   in Loop: Header=BB31_20 Depth=2
	s_add_co_i32 s1, s0, 1
	s_mov_b32 s14, 0
.LBB31_22:                              ;   in Loop: Header=BB31_20 Depth=2
	s_delay_alu instid0(SALU_CYCLE_1)
	s_and_not1_b32 vcc_lo, exec_lo, s14
	s_cbranch_vccnz .LBB31_19
; %bb.23:                               ;   in Loop: Header=BB31_20 Depth=2
	s_ashr_i32 s1, s0, 31
	s_delay_alu instid0(SALU_CYCLE_1)
	s_lshl_b64 s[16:17], s[0:1], 2
	s_cmp_ge_i32 s23, s0
	s_add_nc_u64 s[16:17], s[4:5], s[16:17]
	global_store_b32 v4, v4, s[16:17]
	s_cbranch_scc1 .LBB31_27
; %bb.24:                               ;   in Loop: Header=BB31_20 Depth=2
	s_mov_b32 s14, exec_lo
                                        ; implicit-def: $vgpr1
	s_delay_alu instid0(SALU_CYCLE_1) | instskip(NEXT) | instid1(VALU_DEP_1)
	v_mbcnt_lo_u32_b32 v0, s14, 0
	v_cmp_eq_u32_e32 vcc_lo, 0, v0
	s_wait_xcnt 0x0
	s_and_saveexec_b32 s1, vcc_lo
	s_cbranch_execz .LBB31_26
; %bb.25:                               ;   in Loop: Header=BB31_20 Depth=2
	s_bcnt1_i32_b32 s14, s14
	s_delay_alu instid0(SALU_CYCLE_1)
	v_cvt_f32_ubyte0_e32 v1, s14
	global_atomic_add_f32 v1, v4, v1, s[2:3] offset:12 th:TH_ATOMIC_RETURN scope:SCOPE_DEV
.LBB31_26:                              ;   in Loop: Header=BB31_20 Depth=2
	s_wait_xcnt 0x0
	s_or_b32 exec_lo, exec_lo, s1
	s_wait_loadcnt 0x0
	v_readfirstlane_b32 s1, v1
	v_cvt_f32_ubyte0_e32 v0, v0
	s_delay_alu instid0(VALU_DEP_1) | instskip(NEXT) | instid1(VALU_DEP_1)
	v_dual_mov_b32 v1, s0 :: v_dual_add_f32 v0, s1, v0
	v_cndmask_b32_e64 v0, v0, s1, vcc_lo
	s_delay_alu instid0(VALU_DEP_1) | instskip(NEXT) | instid1(VALU_DEP_1)
	v_add_f32_e32 v0, s22, v0
	v_cvt_i32_f32_e32 v0, v0
	s_delay_alu instid0(VALU_DEP_1) | instskip(NEXT) | instid1(VALU_DEP_1)
	v_dual_lshlrev_b32 v6, 2, v0 :: v_dual_mov_b32 v0, s23
	v_ashrrev_i32_e32 v7, 31, v6
	s_delay_alu instid0(VALU_DEP_1)
	v_lshl_add_u64 v[6:7], v[6:7], 2, s[6:7]
	global_store_b96 v[6:7], v[0:2], off offset:4
.LBB31_27:                              ;   in Loop: Header=BB31_20 Depth=2
	s_add_co_i32 s0, s0, 1
	s_delay_alu instid0(SALU_CYCLE_1)
	s_mov_b32 s23, s0
	s_cmp_lt_i32 s0, s15
	s_cbranch_scc1 .LBB31_20
	s_branch .LBB31_3
.LBB31_28:
	s_endpgm
	.section	.rodata,"a",@progbits
	.p2align	6, 0x0
	.amdhsa_kernel _ZN9rocsolver6v33100L22bdsqr_update_endpointsIffEEviPT0_lPiS3_lS4_
		.amdhsa_group_segment_fixed_size 0
		.amdhsa_private_segment_fixed_size 0
		.amdhsa_kernarg_size 312
		.amdhsa_user_sgpr_count 2
		.amdhsa_user_sgpr_dispatch_ptr 0
		.amdhsa_user_sgpr_queue_ptr 0
		.amdhsa_user_sgpr_kernarg_segment_ptr 1
		.amdhsa_user_sgpr_dispatch_id 0
		.amdhsa_user_sgpr_kernarg_preload_length 0
		.amdhsa_user_sgpr_kernarg_preload_offset 0
		.amdhsa_user_sgpr_private_segment_size 0
		.amdhsa_wavefront_size32 1
		.amdhsa_uses_dynamic_stack 0
		.amdhsa_enable_private_segment 0
		.amdhsa_system_sgpr_workgroup_id_x 1
		.amdhsa_system_sgpr_workgroup_id_y 1
		.amdhsa_system_sgpr_workgroup_id_z 1
		.amdhsa_system_sgpr_workgroup_info 0
		.amdhsa_system_vgpr_workitem_id 0
		.amdhsa_next_free_vgpr 8
		.amdhsa_next_free_sgpr 24
		.amdhsa_named_barrier_count 0
		.amdhsa_reserve_vcc 1
		.amdhsa_float_round_mode_32 0
		.amdhsa_float_round_mode_16_64 0
		.amdhsa_float_denorm_mode_32 3
		.amdhsa_float_denorm_mode_16_64 3
		.amdhsa_fp16_overflow 0
		.amdhsa_memory_ordered 1
		.amdhsa_forward_progress 1
		.amdhsa_inst_pref_size 8
		.amdhsa_round_robin_scheduling 0
		.amdhsa_exception_fp_ieee_invalid_op 0
		.amdhsa_exception_fp_denorm_src 0
		.amdhsa_exception_fp_ieee_div_zero 0
		.amdhsa_exception_fp_ieee_overflow 0
		.amdhsa_exception_fp_ieee_underflow 0
		.amdhsa_exception_fp_ieee_inexact 0
		.amdhsa_exception_int_div_zero 0
	.end_amdhsa_kernel
	.section	.text._ZN9rocsolver6v33100L22bdsqr_update_endpointsIffEEviPT0_lPiS3_lS4_,"axG",@progbits,_ZN9rocsolver6v33100L22bdsqr_update_endpointsIffEEviPT0_lPiS3_lS4_,comdat
.Lfunc_end31:
	.size	_ZN9rocsolver6v33100L22bdsqr_update_endpointsIffEEviPT0_lPiS3_lS4_, .Lfunc_end31-_ZN9rocsolver6v33100L22bdsqr_update_endpointsIffEEviPT0_lPiS3_lS4_
                                        ; -- End function
	.set _ZN9rocsolver6v33100L22bdsqr_update_endpointsIffEEviPT0_lPiS3_lS4_.num_vgpr, 8
	.set _ZN9rocsolver6v33100L22bdsqr_update_endpointsIffEEviPT0_lPiS3_lS4_.num_agpr, 0
	.set _ZN9rocsolver6v33100L22bdsqr_update_endpointsIffEEviPT0_lPiS3_lS4_.numbered_sgpr, 24
	.set _ZN9rocsolver6v33100L22bdsqr_update_endpointsIffEEviPT0_lPiS3_lS4_.num_named_barrier, 0
	.set _ZN9rocsolver6v33100L22bdsqr_update_endpointsIffEEviPT0_lPiS3_lS4_.private_seg_size, 0
	.set _ZN9rocsolver6v33100L22bdsqr_update_endpointsIffEEviPT0_lPiS3_lS4_.uses_vcc, 1
	.set _ZN9rocsolver6v33100L22bdsqr_update_endpointsIffEEviPT0_lPiS3_lS4_.uses_flat_scratch, 0
	.set _ZN9rocsolver6v33100L22bdsqr_update_endpointsIffEEviPT0_lPiS3_lS4_.has_dyn_sized_stack, 0
	.set _ZN9rocsolver6v33100L22bdsqr_update_endpointsIffEEviPT0_lPiS3_lS4_.has_recursion, 0
	.set _ZN9rocsolver6v33100L22bdsqr_update_endpointsIffEEviPT0_lPiS3_lS4_.has_indirect_call, 0
	.section	.AMDGPU.csdata,"",@progbits
; Kernel info:
; codeLenInByte = 1008
; TotalNumSgprs: 26
; NumVgprs: 8
; ScratchSize: 0
; MemoryBound: 0
; FloatMode: 240
; IeeeMode: 1
; LDSByteSize: 0 bytes/workgroup (compile time only)
; SGPRBlocks: 0
; VGPRBlocks: 0
; NumSGPRsForWavesPerEU: 26
; NumVGPRsForWavesPerEU: 8
; NamedBarCnt: 0
; Occupancy: 16
; WaveLimiterHint : 1
; COMPUTE_PGM_RSRC2:SCRATCH_EN: 0
; COMPUTE_PGM_RSRC2:USER_SGPR: 2
; COMPUTE_PGM_RSRC2:TRAP_HANDLER: 0
; COMPUTE_PGM_RSRC2:TGID_X_EN: 1
; COMPUTE_PGM_RSRC2:TGID_Y_EN: 1
; COMPUTE_PGM_RSRC2:TGID_Z_EN: 1
; COMPUTE_PGM_RSRC2:TIDIG_COMP_CNT: 0
	.section	.text._ZN9rocsolver6v33100L19bdsqr_chk_completedIffEEviiPiPT0_lS2_,"axG",@progbits,_ZN9rocsolver6v33100L19bdsqr_chk_completedIffEEviiPiPT0_lS2_,comdat
	.globl	_ZN9rocsolver6v33100L19bdsqr_chk_completedIffEEviiPiPT0_lS2_ ; -- Begin function _ZN9rocsolver6v33100L19bdsqr_chk_completedIffEEviiPiPT0_lS2_
	.p2align	8
	.type	_ZN9rocsolver6v33100L19bdsqr_chk_completedIffEEviiPiPT0_lS2_,@function
_ZN9rocsolver6v33100L19bdsqr_chk_completedIffEEviiPiPT0_lS2_: ; @_ZN9rocsolver6v33100L19bdsqr_chk_completedIffEEviiPiPT0_lS2_
; %bb.0:
	s_load_b256 s[4:11], s[0:1], 0x8
	s_bfe_u32 s2, ttmp6, 0x40010
	s_bfe_u32 s3, ttmp6, 0x40004
	s_add_co_i32 s2, s2, 1
	s_getreg_b32 s12, hwreg(HW_REG_IB_STS2, 6, 4)
	s_mul_i32 s2, ttmp7, s2
	s_delay_alu instid0(SALU_CYCLE_1) | instskip(SKIP_2) | instid1(SALU_CYCLE_1)
	s_add_co_i32 s3, s3, s2
	s_cmp_eq_u32 s12, 0
	s_cselect_b32 s12, ttmp7, s3
	s_ashr_i32 s13, s12, 31
	s_delay_alu instid0(SALU_CYCLE_1)
	s_lshl_b64 s[2:3], s[12:13], 2
	s_wait_kmcnt 0x0
	s_add_nc_u64 s[2:3], s[10:11], s[2:3]
	s_load_b32 s14, s[2:3], 0x8
	s_wait_kmcnt 0x0
	s_cmp_lg_u32 s14, 0
	s_cbranch_scc0 .LBB32_2
.LBB32_1:
	s_endpgm
.LBB32_2:
	s_mul_u64 s[8:9], s[8:9], s[12:13]
	s_delay_alu instid0(SALU_CYCLE_1) | instskip(NEXT) | instid1(SALU_CYCLE_1)
	s_lshl_b64 s[8:9], s[8:9], 2
	s_add_nc_u64 s[14:15], s[6:7], s[8:9]
	s_load_b64 s[6:7], s[14:15], 0x8
	s_load_b32 s8, s[10:11], 0x4
	s_wait_kmcnt 0x0
	s_add_f32 s6, s6, s7
	s_delay_alu instid0(SALU_CYCLE_3) | instskip(NEXT) | instid1(SALU_CYCLE_3)
	s_cvt_i32_f32 s6, s6
	s_cvt_f32_i32 s7, s6
	v_mov_b32_e32 v1, 0
	s_cmp_ge_i32 s8, s6
	s_delay_alu instid0(SALU_CYCLE_1)
	v_mov_b32_e32 v0, s7
	s_mov_b32 s7, 0
	global_store_b64 v1, v[0:1], s[14:15] offset:8
	s_cbranch_scc1 .LBB32_6
; %bb.3:
	v_mov_b32_e32 v3, s8
.LBB32_4:                               ; =>This Inner Loop Header: Depth=1
	v_mov_b32_e32 v2, s6
	s_wait_xcnt 0x0
	global_atomic_cmpswap_b32 v3, v1, v[2:3], s[10:11] offset:4 th:TH_ATOMIC_RETURN scope:SCOPE_DEV
	s_wait_loadcnt 0x0
	v_cmp_le_i32_e32 vcc_lo, s6, v3
	s_or_b32 s7, vcc_lo, s7
	s_wait_xcnt 0x0
	s_and_not1_b32 exec_lo, exec_lo, s7
	s_cbranch_execnz .LBB32_4
; %bb.5:
	s_or_b32 exec_lo, exec_lo, s7
.LBB32_6:
	s_cmp_lt_i32 s6, 1
	s_cbranch_scc1 .LBB32_14
; %bb.7:
	s_load_b64 s[0:1], s[0:1], 0x0
	v_mov_b32_e32 v0, 0
	s_wait_kmcnt 0x0
	s_mul_i32 s0, s12, s0
	s_delay_alu instid0(SALU_CYCLE_1) | instskip(NEXT) | instid1(SALU_CYCLE_1)
	s_lshl_b32 s8, s0, 1
	s_ashr_i32 s9, s8, 31
	s_delay_alu instid0(SALU_CYCLE_1) | instskip(NEXT) | instid1(SALU_CYCLE_1)
	s_lshl_b64 s[8:9], s[8:9], 2
	s_add_nc_u64 s[4:5], s[4:5], s[8:9]
	s_delay_alu instid0(SALU_CYCLE_1)
	s_add_nc_u64 s[4:5], s[4:5], 12
	s_branch .LBB32_9
.LBB32_8:                               ;   in Loop: Header=BB32_9 Depth=1
	s_and_not1_b32 vcc_lo, exec_lo, s7
	s_cbranch_vccz .LBB32_13
.LBB32_9:                               ; =>This Inner Loop Header: Depth=1
	global_load_b64 v[2:3], v0, s[4:5] offset:-8
	s_mov_b32 s7, -1
	s_wait_loadcnt 0x0
	v_cmp_ge_i32_e32 vcc_lo, v2, v3
	s_cbranch_vccz .LBB32_11
; %bb.10:                               ;   in Loop: Header=BB32_9 Depth=1
	s_mov_b32 s0, -1
	s_and_not1_b32 vcc_lo, exec_lo, s7
	s_mov_b32 s7, -1
	s_cbranch_vccnz .LBB32_8
	s_branch .LBB32_12
.LBB32_11:                              ;   in Loop: Header=BB32_9 Depth=1
	global_load_b32 v1, v0, s[4:5]
	s_wait_loadcnt 0x0
	v_cmp_le_i32_e64 s7, s1, v1
	s_mov_b32 s0, -1
	s_and_not1_b32 vcc_lo, exec_lo, s7
	s_mov_b32 s7, -1
	s_cbranch_vccnz .LBB32_8
.LBB32_12:                              ;   in Loop: Header=BB32_9 Depth=1
	s_add_co_i32 s6, s6, -1
	s_wait_xcnt 0x0
	s_add_nc_u64 s[4:5], s[4:5], 16
	s_cmp_eq_u32 s6, 0
	s_mov_b32 s0, 0
	s_cselect_b32 s7, -1, 0
	s_branch .LBB32_8
.LBB32_13:
	s_xor_b32 s0, s0, -1
	s_delay_alu instid0(SALU_CYCLE_1)
	s_and_b32 vcc_lo, exec_lo, s0
	s_cbranch_vccz .LBB32_1
	s_branch .LBB32_15
.LBB32_14:
	s_cbranch_execz .LBB32_1
.LBB32_15:
	s_mov_b32 s0, exec_lo
	s_wait_xcnt 0x0
	v_dual_mov_b32 v0, 0 :: v_dual_mov_b32 v2, 1
	v_mbcnt_lo_u32_b32 v1, s0, 0
	s_mov_b32 s1, exec_lo
	global_store_b32 v0, v2, s[2:3] offset:8
	s_wait_xcnt 0x0
	v_cmpx_eq_u32_e32 0, v1
	s_cbranch_execz .LBB32_1
; %bb.16:
	s_bcnt1_i32_b32 s0, s0
	s_delay_alu instid0(SALU_CYCLE_1)
	v_mov_b32_e32 v1, s0
	global_atomic_add_u32 v0, v1, s[10:11] scope:SCOPE_DEV
	s_endpgm
	.section	.rodata,"a",@progbits
	.p2align	6, 0x0
	.amdhsa_kernel _ZN9rocsolver6v33100L19bdsqr_chk_completedIffEEviiPiPT0_lS2_
		.amdhsa_group_segment_fixed_size 0
		.amdhsa_private_segment_fixed_size 0
		.amdhsa_kernarg_size 40
		.amdhsa_user_sgpr_count 2
		.amdhsa_user_sgpr_dispatch_ptr 0
		.amdhsa_user_sgpr_queue_ptr 0
		.amdhsa_user_sgpr_kernarg_segment_ptr 1
		.amdhsa_user_sgpr_dispatch_id 0
		.amdhsa_user_sgpr_kernarg_preload_length 0
		.amdhsa_user_sgpr_kernarg_preload_offset 0
		.amdhsa_user_sgpr_private_segment_size 0
		.amdhsa_wavefront_size32 1
		.amdhsa_uses_dynamic_stack 0
		.amdhsa_enable_private_segment 0
		.amdhsa_system_sgpr_workgroup_id_x 1
		.amdhsa_system_sgpr_workgroup_id_y 1
		.amdhsa_system_sgpr_workgroup_id_z 0
		.amdhsa_system_sgpr_workgroup_info 0
		.amdhsa_system_vgpr_workitem_id 0
		.amdhsa_next_free_vgpr 4
		.amdhsa_next_free_sgpr 16
		.amdhsa_named_barrier_count 0
		.amdhsa_reserve_vcc 1
		.amdhsa_float_round_mode_32 0
		.amdhsa_float_round_mode_16_64 0
		.amdhsa_float_denorm_mode_32 3
		.amdhsa_float_denorm_mode_16_64 3
		.amdhsa_fp16_overflow 0
		.amdhsa_memory_ordered 1
		.amdhsa_forward_progress 1
		.amdhsa_inst_pref_size 5
		.amdhsa_round_robin_scheduling 0
		.amdhsa_exception_fp_ieee_invalid_op 0
		.amdhsa_exception_fp_denorm_src 0
		.amdhsa_exception_fp_ieee_div_zero 0
		.amdhsa_exception_fp_ieee_overflow 0
		.amdhsa_exception_fp_ieee_underflow 0
		.amdhsa_exception_fp_ieee_inexact 0
		.amdhsa_exception_int_div_zero 0
	.end_amdhsa_kernel
	.section	.text._ZN9rocsolver6v33100L19bdsqr_chk_completedIffEEviiPiPT0_lS2_,"axG",@progbits,_ZN9rocsolver6v33100L19bdsqr_chk_completedIffEEviiPiPT0_lS2_,comdat
.Lfunc_end32:
	.size	_ZN9rocsolver6v33100L19bdsqr_chk_completedIffEEviiPiPT0_lS2_, .Lfunc_end32-_ZN9rocsolver6v33100L19bdsqr_chk_completedIffEEviiPiPT0_lS2_
                                        ; -- End function
	.set _ZN9rocsolver6v33100L19bdsqr_chk_completedIffEEviiPiPT0_lS2_.num_vgpr, 4
	.set _ZN9rocsolver6v33100L19bdsqr_chk_completedIffEEviiPiPT0_lS2_.num_agpr, 0
	.set _ZN9rocsolver6v33100L19bdsqr_chk_completedIffEEviiPiPT0_lS2_.numbered_sgpr, 16
	.set _ZN9rocsolver6v33100L19bdsqr_chk_completedIffEEviiPiPT0_lS2_.num_named_barrier, 0
	.set _ZN9rocsolver6v33100L19bdsqr_chk_completedIffEEviiPiPT0_lS2_.private_seg_size, 0
	.set _ZN9rocsolver6v33100L19bdsqr_chk_completedIffEEviiPiPT0_lS2_.uses_vcc, 1
	.set _ZN9rocsolver6v33100L19bdsqr_chk_completedIffEEviiPiPT0_lS2_.uses_flat_scratch, 0
	.set _ZN9rocsolver6v33100L19bdsqr_chk_completedIffEEviiPiPT0_lS2_.has_dyn_sized_stack, 0
	.set _ZN9rocsolver6v33100L19bdsqr_chk_completedIffEEviiPiPT0_lS2_.has_recursion, 0
	.set _ZN9rocsolver6v33100L19bdsqr_chk_completedIffEEviiPiPT0_lS2_.has_indirect_call, 0
	.section	.AMDGPU.csdata,"",@progbits
; Kernel info:
; codeLenInByte = 532
; TotalNumSgprs: 18
; NumVgprs: 4
; ScratchSize: 0
; MemoryBound: 0
; FloatMode: 240
; IeeeMode: 1
; LDSByteSize: 0 bytes/workgroup (compile time only)
; SGPRBlocks: 0
; VGPRBlocks: 0
; NumSGPRsForWavesPerEU: 18
; NumVGPRsForWavesPerEU: 4
; NamedBarCnt: 0
; Occupancy: 16
; WaveLimiterHint : 0
; COMPUTE_PGM_RSRC2:SCRATCH_EN: 0
; COMPUTE_PGM_RSRC2:USER_SGPR: 2
; COMPUTE_PGM_RSRC2:TRAP_HANDLER: 0
; COMPUTE_PGM_RSRC2:TGID_X_EN: 1
; COMPUTE_PGM_RSRC2:TGID_Y_EN: 1
; COMPUTE_PGM_RSRC2:TGID_Z_EN: 0
; COMPUTE_PGM_RSRC2:TIDIG_COMP_CNT: 0
	.text
	.p2align	2                               ; -- Begin function __ockl_fprintf_append_string_n
	.type	__ockl_fprintf_append_string_n,@function
__ockl_fprintf_append_string_n:         ; @__ockl_fprintf_append_string_n
; %bb.0:
	s_wait_loadcnt_dscnt 0x0
	s_wait_kmcnt 0x0
	v_or_b32_e32 v2, 2, v0
	v_cmp_eq_u32_e32 vcc_lo, 0, v6
	v_mbcnt_lo_u32_b32 v30, -1, 0
	s_get_pc_i64 s[0:1]
	s_add_nc_u64 s[0:1], s[0:1], .str.5@rel64+4
	s_mov_b32 s6, 0
	s_cmp_lg_u64 s[0:1], 0
	v_cndmask_b32_e32 v3, v2, v0, vcc_lo
	s_cbranch_scc0 .LBB33_113
; %bb.1:
	s_load_b64 s[2:3], s[8:9], 0x50
	s_delay_alu instid0(VALU_DEP_1) | instskip(SKIP_3) | instid1(VALU_DEP_4)
	v_dual_mov_b32 v7, 0 :: v_dual_bitop2_b32 v0, -3, v3 bitop3:0x40
	v_mov_b64_e32 v[8:9], 0x100000002
	v_mov_b64_e32 v[32:33], s[0:1]
	v_and_b32_e32 v2, 2, v3
	v_mov_b64_e32 v[10:11], v[0:1]
	s_mov_b32 s7, 0
	s_branch .LBB33_3
.LBB33_2:                               ;   in Loop: Header=BB33_3 Depth=1
	s_or_b32 exec_lo, exec_lo, s10
	v_sub_nc_u64_e32 v[4:5], v[4:5], v[34:35]
	v_add_nc_u64_e32 v[32:33], v[32:33], v[34:35]
	s_delay_alu instid0(VALU_DEP_2) | instskip(SKIP_1) | instid1(SALU_CYCLE_1)
	v_cmp_eq_u64_e32 vcc_lo, 0, v[4:5]
	s_or_b32 s7, vcc_lo, s7
	s_and_not1_b32 exec_lo, exec_lo, s7
	s_cbranch_execz .LBB33_85
.LBB33_3:                               ; =>This Loop Header: Depth=1
                                        ;     Child Loop BB33_6 Depth 2
                                        ;     Child Loop BB33_14 Depth 2
	;; [unrolled: 1-line block ×11, first 2 shown]
	v_min_u64 v[34:35], v[4:5], 56
	s_delay_alu instid0(VALU_DEP_3)
	v_add_nc_u64_e32 v[16:17], 8, v[32:33]
	s_mov_b32 s0, exec_lo
	v_cmpx_gt_u64_e32 8, v[4:5]
	s_xor_b32 s4, exec_lo, s0
	s_cbranch_execz .LBB33_9
; %bb.4:                                ;   in Loop: Header=BB33_3 Depth=1
	s_wait_loadcnt 0x0
	v_mov_b64_e32 v[12:13], 0
	s_mov_b32 s5, exec_lo
	v_cmpx_ne_u64_e32 0, v[4:5]
	s_cbranch_execz .LBB33_8
; %bb.5:                                ;   in Loop: Header=BB33_3 Depth=1
	v_mov_b64_e32 v[12:13], 0
	v_mov_b64_e32 v[14:15], v[32:33]
	v_lshlrev_b32_e32 v0, 3, v34
	s_mov_b64 s[0:1], 0
	s_mov_b32 s10, 0
.LBB33_6:                               ;   Parent Loop BB33_3 Depth=1
                                        ; =>  This Inner Loop Header: Depth=2
	global_load_u8 v6, v[14:15], off
	v_mov_b32_e32 v17, s6
	s_wait_xcnt 0x0
	v_add_nc_u64_e32 v[14:15], 1, v[14:15]
	s_wait_loadcnt 0x0
	v_and_b32_e32 v16, 0xffff, v6
	s_delay_alu instid0(VALU_DEP_1) | instskip(SKIP_1) | instid1(SALU_CYCLE_1)
	v_lshlrev_b64_e32 v[16:17], s0, v[16:17]
	s_add_nc_u64 s[0:1], s[0:1], 8
	v_cmp_eq_u32_e32 vcc_lo, s0, v0
	s_delay_alu instid0(VALU_DEP_2) | instskip(NEXT) | instid1(VALU_DEP_3)
	v_or_b32_e32 v13, v17, v13
	v_or_b32_e32 v12, v16, v12
	s_or_b32 s10, vcc_lo, s10
	s_delay_alu instid0(SALU_CYCLE_1)
	s_and_not1_b32 exec_lo, exec_lo, s10
	s_cbranch_execnz .LBB33_6
; %bb.7:                                ;   in Loop: Header=BB33_3 Depth=1
	s_or_b32 exec_lo, exec_lo, s10
.LBB33_8:                               ;   in Loop: Header=BB33_3 Depth=1
	s_delay_alu instid0(SALU_CYCLE_1)
	s_or_b32 exec_lo, exec_lo, s5
	v_mov_b64_e32 v[16:17], v[32:33]
.LBB33_9:                               ;   in Loop: Header=BB33_3 Depth=1
	s_or_saveexec_b32 s0, s4
	v_mov_b32_e32 v0, 0
	s_xor_b32 exec_lo, exec_lo, s0
	s_cbranch_execz .LBB33_11
; %bb.10:                               ;   in Loop: Header=BB33_3 Depth=1
	s_wait_loadcnt 0x0
	global_load_b64 v[12:13], v[32:33], off
	v_add_nc_u32_e32 v0, -8, v34
.LBB33_11:                              ;   in Loop: Header=BB33_3 Depth=1
	s_wait_xcnt 0x0
	s_or_b32 exec_lo, exec_lo, s0
	v_add_nc_u64_e32 v[18:19], 8, v[16:17]
                                        ; implicit-def: $vgpr14_vgpr15
	s_mov_b32 s0, exec_lo
	v_cmpx_gt_u32_e32 8, v0
	s_xor_b32 s10, exec_lo, s0
	s_cbranch_execz .LBB33_17
; %bb.12:                               ;   in Loop: Header=BB33_3 Depth=1
	v_mov_b64_e32 v[14:15], 0
	s_mov_b32 s11, exec_lo
	v_cmpx_ne_u32_e32 0, v0
	s_cbranch_execz .LBB33_16
; %bb.13:                               ;   in Loop: Header=BB33_3 Depth=1
	v_mov_b64_e32 v[14:15], 0
	s_mov_b64 s[0:1], 0
	s_mov_b32 s12, 0
	s_mov_b64 s[4:5], 0
.LBB33_14:                              ;   Parent Loop BB33_3 Depth=1
                                        ; =>  This Inner Loop Header: Depth=2
	s_delay_alu instid0(SALU_CYCLE_1) | instskip(SKIP_1) | instid1(SALU_CYCLE_1)
	v_add_nc_u64_e32 v[18:19], s[4:5], v[16:17]
	s_add_nc_u64 s[4:5], s[4:5], 1
	v_cmp_eq_u32_e32 vcc_lo, s4, v0
	global_load_u8 v6, v[18:19], off
	s_wait_xcnt 0x0
	v_mov_b32_e32 v19, s6
	s_or_b32 s12, vcc_lo, s12
	s_wait_loadcnt 0x0
	v_and_b32_e32 v18, 0xffff, v6
	s_delay_alu instid0(VALU_DEP_1) | instskip(SKIP_1) | instid1(VALU_DEP_1)
	v_lshlrev_b64_e32 v[18:19], s0, v[18:19]
	s_add_nc_u64 s[0:1], s[0:1], 8
	v_or_b32_e32 v15, v19, v15
	s_delay_alu instid0(VALU_DEP_2)
	v_or_b32_e32 v14, v18, v14
	s_and_not1_b32 exec_lo, exec_lo, s12
	s_cbranch_execnz .LBB33_14
; %bb.15:                               ;   in Loop: Header=BB33_3 Depth=1
	s_or_b32 exec_lo, exec_lo, s12
.LBB33_16:                              ;   in Loop: Header=BB33_3 Depth=1
	s_delay_alu instid0(SALU_CYCLE_1)
	s_or_b32 exec_lo, exec_lo, s11
	v_mov_b64_e32 v[18:19], v[16:17]
                                        ; implicit-def: $vgpr0
.LBB33_17:                              ;   in Loop: Header=BB33_3 Depth=1
	s_or_saveexec_b32 s0, s10
	v_mov_b32_e32 v6, 0
	s_xor_b32 exec_lo, exec_lo, s0
	s_cbranch_execz .LBB33_19
; %bb.18:                               ;   in Loop: Header=BB33_3 Depth=1
	global_load_b64 v[14:15], v[16:17], off
	v_add_nc_u32_e32 v6, -8, v0
.LBB33_19:                              ;   in Loop: Header=BB33_3 Depth=1
	s_wait_xcnt 0x0
	s_or_b32 exec_lo, exec_lo, s0
	v_add_nc_u64_e32 v[20:21], 8, v[18:19]
	s_mov_b32 s0, exec_lo
	v_cmpx_gt_u32_e32 8, v6
	s_xor_b32 s10, exec_lo, s0
	s_cbranch_execz .LBB33_25
; %bb.20:                               ;   in Loop: Header=BB33_3 Depth=1
	v_mov_b64_e32 v[16:17], 0
	s_mov_b32 s11, exec_lo
	v_cmpx_ne_u32_e32 0, v6
	s_cbranch_execz .LBB33_24
; %bb.21:                               ;   in Loop: Header=BB33_3 Depth=1
	v_mov_b64_e32 v[16:17], 0
	s_mov_b64 s[0:1], 0
	s_mov_b32 s12, 0
	s_mov_b64 s[4:5], 0
.LBB33_22:                              ;   Parent Loop BB33_3 Depth=1
                                        ; =>  This Inner Loop Header: Depth=2
	s_delay_alu instid0(SALU_CYCLE_1) | instskip(SKIP_1) | instid1(SALU_CYCLE_1)
	v_add_nc_u64_e32 v[20:21], s[4:5], v[18:19]
	s_add_nc_u64 s[4:5], s[4:5], 1
	v_cmp_eq_u32_e32 vcc_lo, s4, v6
	global_load_u8 v0, v[20:21], off
	s_wait_xcnt 0x0
	v_mov_b32_e32 v21, s6
	s_or_b32 s12, vcc_lo, s12
	s_wait_loadcnt 0x0
	v_and_b32_e32 v20, 0xffff, v0
	s_delay_alu instid0(VALU_DEP_1) | instskip(SKIP_1) | instid1(VALU_DEP_1)
	v_lshlrev_b64_e32 v[20:21], s0, v[20:21]
	s_add_nc_u64 s[0:1], s[0:1], 8
	v_or_b32_e32 v17, v21, v17
	s_delay_alu instid0(VALU_DEP_2)
	v_or_b32_e32 v16, v20, v16
	s_and_not1_b32 exec_lo, exec_lo, s12
	s_cbranch_execnz .LBB33_22
; %bb.23:                               ;   in Loop: Header=BB33_3 Depth=1
	s_or_b32 exec_lo, exec_lo, s12
.LBB33_24:                              ;   in Loop: Header=BB33_3 Depth=1
	s_delay_alu instid0(SALU_CYCLE_1)
	s_or_b32 exec_lo, exec_lo, s11
	v_mov_b64_e32 v[20:21], v[18:19]
                                        ; implicit-def: $vgpr6
.LBB33_25:                              ;   in Loop: Header=BB33_3 Depth=1
	s_or_saveexec_b32 s0, s10
	v_mov_b32_e32 v0, 0
	s_xor_b32 exec_lo, exec_lo, s0
	s_cbranch_execz .LBB33_27
; %bb.26:                               ;   in Loop: Header=BB33_3 Depth=1
	global_load_b64 v[16:17], v[18:19], off
	v_add_nc_u32_e32 v0, -8, v6
.LBB33_27:                              ;   in Loop: Header=BB33_3 Depth=1
	s_wait_xcnt 0x0
	s_or_b32 exec_lo, exec_lo, s0
	v_add_nc_u64_e32 v[22:23], 8, v[20:21]
                                        ; implicit-def: $vgpr18_vgpr19
	s_mov_b32 s0, exec_lo
	v_cmpx_gt_u32_e32 8, v0
	s_xor_b32 s10, exec_lo, s0
	s_cbranch_execz .LBB33_33
; %bb.28:                               ;   in Loop: Header=BB33_3 Depth=1
	v_mov_b64_e32 v[18:19], 0
	s_mov_b32 s11, exec_lo
	v_cmpx_ne_u32_e32 0, v0
	s_cbranch_execz .LBB33_32
; %bb.29:                               ;   in Loop: Header=BB33_3 Depth=1
	v_mov_b64_e32 v[18:19], 0
	s_mov_b64 s[0:1], 0
	s_mov_b32 s12, 0
	s_mov_b64 s[4:5], 0
.LBB33_30:                              ;   Parent Loop BB33_3 Depth=1
                                        ; =>  This Inner Loop Header: Depth=2
	s_delay_alu instid0(SALU_CYCLE_1) | instskip(SKIP_1) | instid1(SALU_CYCLE_1)
	v_add_nc_u64_e32 v[22:23], s[4:5], v[20:21]
	s_add_nc_u64 s[4:5], s[4:5], 1
	v_cmp_eq_u32_e32 vcc_lo, s4, v0
	global_load_u8 v6, v[22:23], off
	s_wait_xcnt 0x0
	v_mov_b32_e32 v23, s6
	s_or_b32 s12, vcc_lo, s12
	s_wait_loadcnt 0x0
	v_and_b32_e32 v22, 0xffff, v6
	s_delay_alu instid0(VALU_DEP_1) | instskip(SKIP_1) | instid1(VALU_DEP_1)
	v_lshlrev_b64_e32 v[22:23], s0, v[22:23]
	s_add_nc_u64 s[0:1], s[0:1], 8
	v_or_b32_e32 v19, v23, v19
	s_delay_alu instid0(VALU_DEP_2)
	v_or_b32_e32 v18, v22, v18
	s_and_not1_b32 exec_lo, exec_lo, s12
	s_cbranch_execnz .LBB33_30
; %bb.31:                               ;   in Loop: Header=BB33_3 Depth=1
	s_or_b32 exec_lo, exec_lo, s12
.LBB33_32:                              ;   in Loop: Header=BB33_3 Depth=1
	s_delay_alu instid0(SALU_CYCLE_1)
	s_or_b32 exec_lo, exec_lo, s11
	v_mov_b64_e32 v[22:23], v[20:21]
                                        ; implicit-def: $vgpr0
.LBB33_33:                              ;   in Loop: Header=BB33_3 Depth=1
	s_or_saveexec_b32 s0, s10
	v_mov_b32_e32 v6, 0
	s_xor_b32 exec_lo, exec_lo, s0
	s_cbranch_execz .LBB33_35
; %bb.34:                               ;   in Loop: Header=BB33_3 Depth=1
	global_load_b64 v[18:19], v[20:21], off
	v_add_nc_u32_e32 v6, -8, v0
.LBB33_35:                              ;   in Loop: Header=BB33_3 Depth=1
	s_wait_xcnt 0x0
	s_or_b32 exec_lo, exec_lo, s0
	v_add_nc_u64_e32 v[24:25], 8, v[22:23]
	s_mov_b32 s0, exec_lo
	v_cmpx_gt_u32_e32 8, v6
	s_xor_b32 s10, exec_lo, s0
	s_cbranch_execz .LBB33_41
; %bb.36:                               ;   in Loop: Header=BB33_3 Depth=1
	v_mov_b64_e32 v[20:21], 0
	s_mov_b32 s11, exec_lo
	v_cmpx_ne_u32_e32 0, v6
	s_cbranch_execz .LBB33_40
; %bb.37:                               ;   in Loop: Header=BB33_3 Depth=1
	v_mov_b64_e32 v[20:21], 0
	s_mov_b64 s[0:1], 0
	s_mov_b32 s12, 0
	s_mov_b64 s[4:5], 0
.LBB33_38:                              ;   Parent Loop BB33_3 Depth=1
                                        ; =>  This Inner Loop Header: Depth=2
	s_delay_alu instid0(SALU_CYCLE_1) | instskip(SKIP_1) | instid1(SALU_CYCLE_1)
	v_add_nc_u64_e32 v[24:25], s[4:5], v[22:23]
	s_add_nc_u64 s[4:5], s[4:5], 1
	v_cmp_eq_u32_e32 vcc_lo, s4, v6
	global_load_u8 v0, v[24:25], off
	s_wait_xcnt 0x0
	v_mov_b32_e32 v25, s6
	s_or_b32 s12, vcc_lo, s12
	s_wait_loadcnt 0x0
	v_and_b32_e32 v24, 0xffff, v0
	s_delay_alu instid0(VALU_DEP_1) | instskip(SKIP_1) | instid1(VALU_DEP_1)
	v_lshlrev_b64_e32 v[24:25], s0, v[24:25]
	s_add_nc_u64 s[0:1], s[0:1], 8
	v_or_b32_e32 v21, v25, v21
	s_delay_alu instid0(VALU_DEP_2)
	v_or_b32_e32 v20, v24, v20
	s_and_not1_b32 exec_lo, exec_lo, s12
	s_cbranch_execnz .LBB33_38
; %bb.39:                               ;   in Loop: Header=BB33_3 Depth=1
	s_or_b32 exec_lo, exec_lo, s12
.LBB33_40:                              ;   in Loop: Header=BB33_3 Depth=1
	s_delay_alu instid0(SALU_CYCLE_1)
	s_or_b32 exec_lo, exec_lo, s11
	v_mov_b64_e32 v[24:25], v[22:23]
                                        ; implicit-def: $vgpr6
.LBB33_41:                              ;   in Loop: Header=BB33_3 Depth=1
	s_or_saveexec_b32 s0, s10
	v_mov_b32_e32 v0, 0
	s_xor_b32 exec_lo, exec_lo, s0
	s_cbranch_execz .LBB33_43
; %bb.42:                               ;   in Loop: Header=BB33_3 Depth=1
	global_load_b64 v[20:21], v[22:23], off
	v_add_nc_u32_e32 v0, -8, v6
.LBB33_43:                              ;   in Loop: Header=BB33_3 Depth=1
	s_wait_xcnt 0x0
	s_or_b32 exec_lo, exec_lo, s0
	v_add_nc_u64_e32 v[26:27], 8, v[24:25]
                                        ; implicit-def: $vgpr22_vgpr23
	s_mov_b32 s0, exec_lo
	v_cmpx_gt_u32_e32 8, v0
	s_xor_b32 s10, exec_lo, s0
	s_cbranch_execz .LBB33_49
; %bb.44:                               ;   in Loop: Header=BB33_3 Depth=1
	v_mov_b64_e32 v[22:23], 0
	s_mov_b32 s11, exec_lo
	v_cmpx_ne_u32_e32 0, v0
	s_cbranch_execz .LBB33_48
; %bb.45:                               ;   in Loop: Header=BB33_3 Depth=1
	v_mov_b64_e32 v[22:23], 0
	s_mov_b64 s[0:1], 0
	s_mov_b32 s12, 0
	s_mov_b64 s[4:5], 0
.LBB33_46:                              ;   Parent Loop BB33_3 Depth=1
                                        ; =>  This Inner Loop Header: Depth=2
	s_delay_alu instid0(SALU_CYCLE_1) | instskip(SKIP_1) | instid1(SALU_CYCLE_1)
	v_add_nc_u64_e32 v[26:27], s[4:5], v[24:25]
	s_add_nc_u64 s[4:5], s[4:5], 1
	v_cmp_eq_u32_e32 vcc_lo, s4, v0
	global_load_u8 v6, v[26:27], off
	s_wait_xcnt 0x0
	v_mov_b32_e32 v27, s6
	s_or_b32 s12, vcc_lo, s12
	s_wait_loadcnt 0x0
	v_and_b32_e32 v26, 0xffff, v6
	s_delay_alu instid0(VALU_DEP_1) | instskip(SKIP_1) | instid1(VALU_DEP_1)
	v_lshlrev_b64_e32 v[26:27], s0, v[26:27]
	s_add_nc_u64 s[0:1], s[0:1], 8
	v_or_b32_e32 v23, v27, v23
	s_delay_alu instid0(VALU_DEP_2)
	v_or_b32_e32 v22, v26, v22
	s_and_not1_b32 exec_lo, exec_lo, s12
	s_cbranch_execnz .LBB33_46
; %bb.47:                               ;   in Loop: Header=BB33_3 Depth=1
	s_or_b32 exec_lo, exec_lo, s12
.LBB33_48:                              ;   in Loop: Header=BB33_3 Depth=1
	s_delay_alu instid0(SALU_CYCLE_1)
	s_or_b32 exec_lo, exec_lo, s11
	v_mov_b64_e32 v[26:27], v[24:25]
                                        ; implicit-def: $vgpr0
.LBB33_49:                              ;   in Loop: Header=BB33_3 Depth=1
	s_or_saveexec_b32 s0, s10
	v_mov_b32_e32 v6, 0
	s_xor_b32 exec_lo, exec_lo, s0
	s_cbranch_execz .LBB33_51
; %bb.50:                               ;   in Loop: Header=BB33_3 Depth=1
	global_load_b64 v[22:23], v[24:25], off
	v_add_nc_u32_e32 v6, -8, v0
.LBB33_51:                              ;   in Loop: Header=BB33_3 Depth=1
	s_wait_xcnt 0x0
	s_or_b32 exec_lo, exec_lo, s0
	s_delay_alu instid0(SALU_CYCLE_1) | instskip(NEXT) | instid1(VALU_DEP_1)
	s_mov_b32 s0, exec_lo
	v_cmpx_gt_u32_e32 8, v6
	s_xor_b32 s4, exec_lo, s0
	s_cbranch_execz .LBB33_57
; %bb.52:                               ;   in Loop: Header=BB33_3 Depth=1
	v_mov_b64_e32 v[24:25], 0
	s_mov_b32 s5, exec_lo
	v_cmpx_ne_u32_e32 0, v6
	s_cbranch_execz .LBB33_56
; %bb.53:                               ;   in Loop: Header=BB33_3 Depth=1
	v_mov_b64_e32 v[24:25], 0
	s_mov_b64 s[0:1], 0
	s_mov_b32 s10, 0
.LBB33_54:                              ;   Parent Loop BB33_3 Depth=1
                                        ; =>  This Inner Loop Header: Depth=2
	global_load_u8 v0, v[26:27], off
	v_dual_mov_b32 v29, s6 :: v_dual_add_nc_u32 v6, -1, v6
	s_wait_xcnt 0x0
	v_add_nc_u64_e32 v[26:27], 1, v[26:27]
	s_delay_alu instid0(VALU_DEP_2) | instskip(SKIP_3) | instid1(VALU_DEP_1)
	v_cmp_eq_u32_e32 vcc_lo, 0, v6
	s_or_b32 s10, vcc_lo, s10
	s_wait_loadcnt 0x0
	v_and_b32_e32 v28, 0xffff, v0
	v_lshlrev_b64_e32 v[28:29], s0, v[28:29]
	s_add_nc_u64 s[0:1], s[0:1], 8
	s_delay_alu instid0(VALU_DEP_1) | instskip(NEXT) | instid1(VALU_DEP_2)
	v_or_b32_e32 v25, v29, v25
	v_or_b32_e32 v24, v28, v24
	s_and_not1_b32 exec_lo, exec_lo, s10
	s_cbranch_execnz .LBB33_54
; %bb.55:                               ;   in Loop: Header=BB33_3 Depth=1
	s_or_b32 exec_lo, exec_lo, s10
.LBB33_56:                              ;   in Loop: Header=BB33_3 Depth=1
	s_delay_alu instid0(SALU_CYCLE_1)
	s_or_b32 exec_lo, exec_lo, s5
                                        ; implicit-def: $vgpr26_vgpr27
.LBB33_57:                              ;   in Loop: Header=BB33_3 Depth=1
	s_and_not1_saveexec_b32 s0, s4
	s_cbranch_execz .LBB33_59
; %bb.58:                               ;   in Loop: Header=BB33_3 Depth=1
	global_load_b64 v[24:25], v[26:27], off
.LBB33_59:                              ;   in Loop: Header=BB33_3 Depth=1
	s_wait_xcnt 0x0
	s_or_b32 exec_lo, exec_lo, s0
	v_readfirstlane_b32 s0, v30
	v_mov_b64_e32 v[36:37], 0
	s_delay_alu instid0(VALU_DEP_2)
	v_cmp_eq_u32_e64 s0, s0, v30
	s_and_saveexec_b32 s1, s0
	s_cbranch_execz .LBB33_65
; %bb.60:                               ;   in Loop: Header=BB33_3 Depth=1
	s_wait_kmcnt 0x0
	global_load_b64 v[28:29], v7, s[2:3] offset:24 scope:SCOPE_SYS
	s_wait_loadcnt 0x0
	global_inv scope:SCOPE_SYS
	s_clause 0x1
	global_load_b64 v[26:27], v7, s[2:3] offset:40
	global_load_b64 v[36:37], v7, s[2:3]
	s_mov_b32 s4, exec_lo
	s_wait_loadcnt 0x1
	v_and_b32_e32 v26, v26, v28
	v_and_b32_e32 v27, v27, v29
	s_delay_alu instid0(VALU_DEP_1) | instskip(SKIP_1) | instid1(VALU_DEP_1)
	v_mul_u64_e32 v[26:27], 24, v[26:27]
	s_wait_loadcnt 0x0
	v_add_nc_u64_e32 v[26:27], v[36:37], v[26:27]
	global_load_b64 v[26:27], v[26:27], off scope:SCOPE_SYS
	s_wait_xcnt 0x0
	s_wait_loadcnt 0x0
	global_atomic_cmpswap_b64 v[36:37], v7, v[26:29], s[2:3] offset:24 th:TH_ATOMIC_RETURN scope:SCOPE_SYS
	s_wait_loadcnt 0x0
	global_inv scope:SCOPE_SYS
	s_wait_xcnt 0x0
	v_cmpx_ne_u64_e64 v[36:37], v[28:29]
	s_cbranch_execz .LBB33_64
; %bb.61:                               ;   in Loop: Header=BB33_3 Depth=1
	s_mov_b32 s5, 0
.LBB33_62:                              ;   Parent Loop BB33_3 Depth=1
                                        ; =>  This Inner Loop Header: Depth=2
	s_sleep 1
	s_clause 0x1
	global_load_b64 v[26:27], v7, s[2:3] offset:40
	global_load_b64 v[38:39], v7, s[2:3]
	v_mov_b64_e32 v[28:29], v[36:37]
	s_wait_loadcnt 0x1
	s_delay_alu instid0(VALU_DEP_1) | instskip(SKIP_1) | instid1(VALU_DEP_1)
	v_and_b32_e32 v0, v26, v28
	s_wait_loadcnt 0x0
	v_mad_nc_u64_u32 v[36:37], v0, 24, v[38:39]
	s_delay_alu instid0(VALU_DEP_3) | instskip(NEXT) | instid1(VALU_DEP_1)
	v_and_b32_e32 v0, v27, v29
	v_mad_u32 v37, v0, 24, v37
	global_load_b64 v[26:27], v[36:37], off scope:SCOPE_SYS
	s_wait_xcnt 0x0
	s_wait_loadcnt 0x0
	global_atomic_cmpswap_b64 v[36:37], v7, v[26:29], s[2:3] offset:24 th:TH_ATOMIC_RETURN scope:SCOPE_SYS
	s_wait_loadcnt 0x0
	global_inv scope:SCOPE_SYS
	v_cmp_eq_u64_e32 vcc_lo, v[36:37], v[28:29]
	s_or_b32 s5, vcc_lo, s5
	s_wait_xcnt 0x0
	s_and_not1_b32 exec_lo, exec_lo, s5
	s_cbranch_execnz .LBB33_62
; %bb.63:                               ;   in Loop: Header=BB33_3 Depth=1
	s_or_b32 exec_lo, exec_lo, s5
.LBB33_64:                              ;   in Loop: Header=BB33_3 Depth=1
	s_delay_alu instid0(SALU_CYCLE_1)
	s_or_b32 exec_lo, exec_lo, s4
.LBB33_65:                              ;   in Loop: Header=BB33_3 Depth=1
	s_delay_alu instid0(SALU_CYCLE_1)
	s_or_b32 exec_lo, exec_lo, s1
	s_wait_kmcnt 0x0
	s_clause 0x1
	global_load_b64 v[38:39], v7, s[2:3] offset:40
	global_load_b128 v[26:29], v7, s[2:3]
	v_readfirstlane_b32 s4, v36
	v_readfirstlane_b32 s5, v37
	s_mov_b32 s1, exec_lo
	s_wait_loadcnt 0x1
	v_and_b32_e32 v38, s4, v38
	v_and_b32_e32 v39, s5, v39
	s_delay_alu instid0(VALU_DEP_1) | instskip(SKIP_1) | instid1(VALU_DEP_1)
	v_mul_u64_e32 v[36:37], 24, v[38:39]
	s_wait_loadcnt 0x0
	v_add_nc_u64_e32 v[36:37], v[26:27], v[36:37]
	s_wait_xcnt 0x0
	s_and_saveexec_b32 s10, s0
	s_cbranch_execz .LBB33_67
; %bb.66:                               ;   in Loop: Header=BB33_3 Depth=1
	v_mov_b32_e32 v6, s1
	global_store_b128 v[36:37], v[6:9], off offset:8
.LBB33_67:                              ;   in Loop: Header=BB33_3 Depth=1
	s_wait_xcnt 0x0
	s_or_b32 exec_lo, exec_lo, s10
	v_cmp_gt_u64_e32 vcc_lo, 57, v[4:5]
	v_lshlrev_b64_e32 v[38:39], 12, v[38:39]
	v_and_b32_e32 v6, 0xffffff1f, v10
	v_lshl_add_u32 v10, v34, 2, 28
	v_cndmask_b32_e32 v0, 0, v2, vcc_lo
	s_delay_alu instid0(VALU_DEP_4) | instskip(NEXT) | instid1(VALU_DEP_2)
	v_add_nc_u64_e32 v[28:29], v[28:29], v[38:39]
	v_dual_lshlrev_b32 v6, 6, v30 :: v_dual_bitop2_b32 v0, v6, v0 bitop3:0x54
	s_delay_alu instid0(VALU_DEP_2) | instskip(NEXT) | instid1(VALU_DEP_3)
	v_readfirstlane_b32 s10, v28
	v_readfirstlane_b32 s11, v29
	s_delay_alu instid0(VALU_DEP_3)
	v_and_or_b32 v10, 0x1e0, v10, v0
	s_clause 0x3
	global_store_b128 v6, v[10:13], s[10:11]
	global_store_b128 v6, v[14:17], s[10:11] offset:16
	global_store_b128 v6, v[18:21], s[10:11] offset:32
	;; [unrolled: 1-line block ×3, first 2 shown]
	s_wait_xcnt 0x0
	s_and_saveexec_b32 s1, s0
	s_cbranch_execz .LBB33_75
; %bb.68:                               ;   in Loop: Header=BB33_3 Depth=1
	s_clause 0x1
	global_load_b64 v[18:19], v7, s[2:3] offset:32 scope:SCOPE_SYS
	global_load_b64 v[10:11], v7, s[2:3] offset:40
	s_mov_b32 s10, exec_lo
	v_dual_mov_b32 v16, s4 :: v_dual_mov_b32 v17, s5
	s_wait_loadcnt 0x0
	v_and_b32_e32 v11, s5, v11
	v_and_b32_e32 v10, s4, v10
	s_delay_alu instid0(VALU_DEP_1) | instskip(NEXT) | instid1(VALU_DEP_1)
	v_mul_u64_e32 v[10:11], 24, v[10:11]
	v_add_nc_u64_e32 v[14:15], v[26:27], v[10:11]
	global_store_b64 v[14:15], v[18:19], off
	global_wb scope:SCOPE_SYS
	s_wait_storecnt 0x0
	s_wait_xcnt 0x0
	global_atomic_cmpswap_b64 v[12:13], v7, v[16:19], s[2:3] offset:32 th:TH_ATOMIC_RETURN scope:SCOPE_SYS
	s_wait_loadcnt 0x0
	v_cmpx_ne_u64_e64 v[12:13], v[18:19]
	s_cbranch_execz .LBB33_71
; %bb.69:                               ;   in Loop: Header=BB33_3 Depth=1
	s_mov_b32 s11, 0
.LBB33_70:                              ;   Parent Loop BB33_3 Depth=1
                                        ; =>  This Inner Loop Header: Depth=2
	v_dual_mov_b32 v10, s4 :: v_dual_mov_b32 v11, s5
	s_sleep 1
	global_store_b64 v[14:15], v[12:13], off
	global_wb scope:SCOPE_SYS
	s_wait_storecnt 0x0
	s_wait_xcnt 0x0
	global_atomic_cmpswap_b64 v[10:11], v7, v[10:13], s[2:3] offset:32 th:TH_ATOMIC_RETURN scope:SCOPE_SYS
	s_wait_loadcnt 0x0
	v_cmp_eq_u64_e32 vcc_lo, v[10:11], v[12:13]
	v_mov_b64_e32 v[12:13], v[10:11]
	s_or_b32 s11, vcc_lo, s11
	s_delay_alu instid0(SALU_CYCLE_1)
	s_and_not1_b32 exec_lo, exec_lo, s11
	s_cbranch_execnz .LBB33_70
.LBB33_71:                              ;   in Loop: Header=BB33_3 Depth=1
	s_or_b32 exec_lo, exec_lo, s10
	global_load_b64 v[10:11], v7, s[2:3] offset:16
	s_mov_b32 s11, exec_lo
	s_mov_b32 s10, exec_lo
	v_mbcnt_lo_u32_b32 v0, s11, 0
	s_wait_xcnt 0x0
	s_delay_alu instid0(VALU_DEP_1)
	v_cmpx_eq_u32_e32 0, v0
	s_cbranch_execz .LBB33_73
; %bb.72:                               ;   in Loop: Header=BB33_3 Depth=1
	s_bcnt1_i32_b32 s11, s11
	s_delay_alu instid0(SALU_CYCLE_1)
	v_dual_mov_b32 v13, v7 :: v_dual_mov_b32 v12, s11
	global_wb scope:SCOPE_SYS
	s_wait_loadcnt 0x0
	s_wait_storecnt 0x0
	global_atomic_add_u64 v[10:11], v[12:13], off offset:8 scope:SCOPE_SYS
.LBB33_73:                              ;   in Loop: Header=BB33_3 Depth=1
	s_wait_xcnt 0x0
	s_or_b32 exec_lo, exec_lo, s10
	s_wait_loadcnt 0x0
	global_load_b64 v[12:13], v[10:11], off offset:16
	s_wait_loadcnt 0x0
	v_cmp_eq_u64_e32 vcc_lo, 0, v[12:13]
	s_cbranch_vccnz .LBB33_75
; %bb.74:                               ;   in Loop: Header=BB33_3 Depth=1
	global_load_b32 v10, v[10:11], off offset:24
	s_wait_xcnt 0x0
	v_mov_b32_e32 v11, v7
	s_wait_loadcnt 0x0
	v_readfirstlane_b32 s10, v10
	global_wb scope:SCOPE_SYS
	s_wait_storecnt 0x0
	global_store_b64 v[12:13], v[10:11], off scope:SCOPE_SYS
	s_and_b32 m0, s10, 0xffffff
	s_sendmsg sendmsg(MSG_INTERRUPT)
.LBB33_75:                              ;   in Loop: Header=BB33_3 Depth=1
	s_wait_xcnt 0x0
	s_or_b32 exec_lo, exec_lo, s1
	v_add_nc_u64_e32 v[10:11], v[28:29], v[6:7]
	s_branch .LBB33_79
.LBB33_76:                              ;   in Loop: Header=BB33_79 Depth=2
	s_wait_xcnt 0x0
	s_or_b32 exec_lo, exec_lo, s1
	s_delay_alu instid0(VALU_DEP_1)
	v_readfirstlane_b32 s1, v0
	s_cmp_eq_u32 s1, 0
	s_cbranch_scc1 .LBB33_78
; %bb.77:                               ;   in Loop: Header=BB33_79 Depth=2
	s_sleep 1
	s_cbranch_execnz .LBB33_79
	s_branch .LBB33_81
.LBB33_78:                              ;   in Loop: Header=BB33_3 Depth=1
	s_branch .LBB33_81
.LBB33_79:                              ;   Parent Loop BB33_3 Depth=1
                                        ; =>  This Inner Loop Header: Depth=2
	v_mov_b32_e32 v0, 1
	s_and_saveexec_b32 s1, s0
	s_cbranch_execz .LBB33_76
; %bb.80:                               ;   in Loop: Header=BB33_79 Depth=2
	global_load_b32 v0, v[36:37], off offset:20 scope:SCOPE_SYS
	s_wait_loadcnt 0x0
	global_inv scope:SCOPE_SYS
	v_and_b32_e32 v0, 1, v0
	s_branch .LBB33_76
.LBB33_81:                              ;   in Loop: Header=BB33_3 Depth=1
	global_load_b128 v[10:13], v[10:11], off
	s_wait_xcnt 0x0
	s_and_saveexec_b32 s10, s0
	s_cbranch_execz .LBB33_2
; %bb.82:                               ;   in Loop: Header=BB33_3 Depth=1
	s_wait_loadcnt 0x0
	s_clause 0x2
	global_load_b64 v[12:13], v7, s[2:3] offset:40
	global_load_b64 v[20:21], v7, s[2:3] offset:24 scope:SCOPE_SYS
	global_load_b64 v[14:15], v7, s[2:3]
	s_wait_loadcnt 0x2
	v_readfirstlane_b32 s12, v12
	v_readfirstlane_b32 s13, v13
	s_add_nc_u64 s[0:1], s[12:13], 1
	s_delay_alu instid0(SALU_CYCLE_1) | instskip(NEXT) | instid1(SALU_CYCLE_1)
	s_add_nc_u64 s[4:5], s[0:1], s[4:5]
	s_cmp_eq_u64 s[4:5], 0
	s_cselect_b32 s1, s1, s5
	s_cselect_b32 s0, s0, s4
	s_delay_alu instid0(SALU_CYCLE_1) | instskip(SKIP_1) | instid1(SALU_CYCLE_1)
	v_dual_mov_b32 v19, s1 :: v_dual_mov_b32 v18, s0
	s_and_b64 s[4:5], s[0:1], s[12:13]
	s_mul_u64 s[4:5], s[4:5], 24
	s_wait_loadcnt 0x0
	v_add_nc_u64_e32 v[16:17], s[4:5], v[14:15]
	global_store_b64 v[16:17], v[20:21], off
	global_wb scope:SCOPE_SYS
	s_wait_storecnt 0x0
	s_wait_xcnt 0x0
	global_atomic_cmpswap_b64 v[14:15], v7, v[18:21], s[2:3] offset:24 th:TH_ATOMIC_RETURN scope:SCOPE_SYS
	s_wait_loadcnt 0x0
	v_cmp_ne_u64_e32 vcc_lo, v[14:15], v[20:21]
	s_and_b32 exec_lo, exec_lo, vcc_lo
	s_cbranch_execz .LBB33_2
; %bb.83:                               ;   in Loop: Header=BB33_3 Depth=1
	s_mov_b32 s4, 0
.LBB33_84:                              ;   Parent Loop BB33_3 Depth=1
                                        ; =>  This Inner Loop Header: Depth=2
	v_dual_mov_b32 v12, s0 :: v_dual_mov_b32 v13, s1
	s_sleep 1
	global_store_b64 v[16:17], v[14:15], off
	global_wb scope:SCOPE_SYS
	s_wait_storecnt 0x0
	s_wait_xcnt 0x0
	global_atomic_cmpswap_b64 v[12:13], v7, v[12:15], s[2:3] offset:24 th:TH_ATOMIC_RETURN scope:SCOPE_SYS
	s_wait_loadcnt 0x0
	v_cmp_eq_u64_e32 vcc_lo, v[12:13], v[14:15]
	v_mov_b64_e32 v[14:15], v[12:13]
	s_or_b32 s4, vcc_lo, s4
	s_delay_alu instid0(SALU_CYCLE_1)
	s_and_not1_b32 exec_lo, exec_lo, s4
	s_cbranch_execnz .LBB33_84
	s_branch .LBB33_2
.LBB33_85:
	s_or_b32 exec_lo, exec_lo, s7
	s_branch .LBB33_114
.LBB33_86:
	s_load_b64 s[2:3], s[8:9], 0x50
	v_readfirstlane_b32 s0, v30
	v_mov_b64_e32 v[8:9], 0
	s_delay_alu instid0(VALU_DEP_2)
	v_cmp_eq_u32_e64 s0, s0, v30
	s_and_saveexec_b32 s1, s0
	s_cbranch_execz .LBB33_92
; %bb.87:
	v_mov_b32_e32 v0, 0
	s_mov_b32 s4, exec_lo
	s_wait_kmcnt 0x0
	global_load_b64 v[6:7], v0, s[2:3] offset:24 scope:SCOPE_SYS
	s_wait_loadcnt 0x0
	global_inv scope:SCOPE_SYS
	s_clause 0x1
	global_load_b64 v[4:5], v0, s[2:3] offset:40
	global_load_b64 v[8:9], v0, s[2:3]
	s_wait_loadcnt 0x1
	v_and_b32_e32 v4, v4, v6
	v_and_b32_e32 v5, v5, v7
	s_delay_alu instid0(VALU_DEP_1) | instskip(SKIP_1) | instid1(VALU_DEP_1)
	v_mul_u64_e32 v[4:5], 24, v[4:5]
	s_wait_loadcnt 0x0
	v_add_nc_u64_e32 v[4:5], v[8:9], v[4:5]
	global_load_b64 v[4:5], v[4:5], off scope:SCOPE_SYS
	s_wait_xcnt 0x0
	s_wait_loadcnt 0x0
	global_atomic_cmpswap_b64 v[8:9], v0, v[4:7], s[2:3] offset:24 th:TH_ATOMIC_RETURN scope:SCOPE_SYS
	s_wait_loadcnt 0x0
	global_inv scope:SCOPE_SYS
	s_wait_xcnt 0x0
	v_cmpx_ne_u64_e64 v[8:9], v[6:7]
	s_cbranch_execz .LBB33_91
; %bb.88:
	s_mov_b32 s5, 0
.LBB33_89:                              ; =>This Inner Loop Header: Depth=1
	s_sleep 1
	s_clause 0x1
	global_load_b64 v[4:5], v0, s[2:3] offset:40
	global_load_b64 v[10:11], v0, s[2:3]
	v_mov_b64_e32 v[6:7], v[8:9]
	s_wait_loadcnt 0x1
	s_delay_alu instid0(VALU_DEP_1) | instskip(SKIP_1) | instid1(VALU_DEP_1)
	v_and_b32_e32 v2, v4, v6
	s_wait_loadcnt 0x0
	v_mad_nc_u64_u32 v[8:9], v2, 24, v[10:11]
	s_delay_alu instid0(VALU_DEP_3) | instskip(NEXT) | instid1(VALU_DEP_1)
	v_and_b32_e32 v2, v5, v7
	v_mad_u32 v9, v2, 24, v9
	global_load_b64 v[4:5], v[8:9], off scope:SCOPE_SYS
	s_wait_xcnt 0x0
	s_wait_loadcnt 0x0
	global_atomic_cmpswap_b64 v[8:9], v0, v[4:7], s[2:3] offset:24 th:TH_ATOMIC_RETURN scope:SCOPE_SYS
	s_wait_loadcnt 0x0
	global_inv scope:SCOPE_SYS
	v_cmp_eq_u64_e32 vcc_lo, v[8:9], v[6:7]
	s_or_b32 s5, vcc_lo, s5
	s_wait_xcnt 0x0
	s_and_not1_b32 exec_lo, exec_lo, s5
	s_cbranch_execnz .LBB33_89
; %bb.90:
	s_or_b32 exec_lo, exec_lo, s5
.LBB33_91:
	s_delay_alu instid0(SALU_CYCLE_1)
	s_or_b32 exec_lo, exec_lo, s4
.LBB33_92:
	s_delay_alu instid0(SALU_CYCLE_1)
	s_or_b32 exec_lo, exec_lo, s1
	v_readfirstlane_b32 s4, v8
	v_mov_b32_e32 v2, 0
	v_readfirstlane_b32 s5, v9
	s_mov_b32 s1, exec_lo
	s_wait_loadcnt 0x0
	s_wait_kmcnt 0x0
	s_clause 0x1
	global_load_b64 v[10:11], v2, s[2:3] offset:40
	global_load_b128 v[4:7], v2, s[2:3]
	s_wait_loadcnt 0x1
	v_and_b32_e32 v10, s4, v10
	v_and_b32_e32 v11, s5, v11
	s_delay_alu instid0(VALU_DEP_1) | instskip(SKIP_1) | instid1(VALU_DEP_1)
	v_mul_u64_e32 v[8:9], 24, v[10:11]
	s_wait_loadcnt 0x0
	v_add_nc_u64_e32 v[8:9], v[4:5], v[8:9]
	s_wait_xcnt 0x0
	s_and_saveexec_b32 s6, s0
	s_cbranch_execz .LBB33_94
; %bb.93:
	v_mov_b64_e32 v[14:15], 0x100000002
	v_dual_mov_b32 v12, s1 :: v_dual_mov_b32 v13, v2
	global_store_b128 v[8:9], v[12:15], off offset:8
.LBB33_94:
	s_wait_xcnt 0x0
	s_or_b32 exec_lo, exec_lo, s6
	v_lshlrev_b64_e32 v[10:11], 12, v[10:11]
	s_mov_b32 s8, 0
	v_and_or_b32 v0, 0xffffff1f, v3, 32
	s_mov_b32 s10, s8
	s_mov_b32 s11, s8
	;; [unrolled: 1-line block ×3, first 2 shown]
	v_dual_mov_b32 v3, v2 :: v_dual_lshlrev_b32 v14, 6, v30
	v_add_nc_u64_e32 v[6:7], v[6:7], v[10:11]
	v_mov_b64_e32 v[12:13], s[10:11]
	v_mov_b64_e32 v[10:11], s[8:9]
	s_delay_alu instid0(VALU_DEP_3) | instskip(NEXT) | instid1(VALU_DEP_4)
	v_readfirstlane_b32 s6, v6
	v_readfirstlane_b32 s7, v7
	s_clause 0x3
	global_store_b128 v14, v[0:3], s[6:7]
	global_store_b128 v14, v[10:13], s[6:7] offset:16
	global_store_b128 v14, v[10:13], s[6:7] offset:32
	;; [unrolled: 1-line block ×3, first 2 shown]
	s_wait_xcnt 0x0
	s_and_saveexec_b32 s1, s0
	s_cbranch_execz .LBB33_102
; %bb.95:
	v_dual_mov_b32 v6, 0 :: v_dual_mov_b32 v11, s5
	s_mov_b32 s6, exec_lo
	s_clause 0x1
	global_load_b64 v[12:13], v6, s[2:3] offset:32 scope:SCOPE_SYS
	global_load_b64 v[0:1], v6, s[2:3] offset:40
	s_wait_loadcnt 0x0
	v_dual_mov_b32 v10, s4 :: v_dual_bitop2_b32 v1, s5, v1 bitop3:0x40
	v_and_b32_e32 v0, s4, v0
	s_delay_alu instid0(VALU_DEP_1) | instskip(NEXT) | instid1(VALU_DEP_1)
	v_mul_u64_e32 v[0:1], 24, v[0:1]
	v_add_nc_u64_e32 v[4:5], v[4:5], v[0:1]
	global_store_b64 v[4:5], v[12:13], off
	global_wb scope:SCOPE_SYS
	s_wait_storecnt 0x0
	s_wait_xcnt 0x0
	global_atomic_cmpswap_b64 v[2:3], v6, v[10:13], s[2:3] offset:32 th:TH_ATOMIC_RETURN scope:SCOPE_SYS
	s_wait_loadcnt 0x0
	v_cmpx_ne_u64_e64 v[2:3], v[12:13]
	s_cbranch_execz .LBB33_98
; %bb.96:
	s_mov_b32 s7, 0
.LBB33_97:                              ; =>This Inner Loop Header: Depth=1
	v_dual_mov_b32 v0, s4 :: v_dual_mov_b32 v1, s5
	s_sleep 1
	global_store_b64 v[4:5], v[2:3], off
	global_wb scope:SCOPE_SYS
	s_wait_storecnt 0x0
	s_wait_xcnt 0x0
	global_atomic_cmpswap_b64 v[0:1], v6, v[0:3], s[2:3] offset:32 th:TH_ATOMIC_RETURN scope:SCOPE_SYS
	s_wait_loadcnt 0x0
	v_cmp_eq_u64_e32 vcc_lo, v[0:1], v[2:3]
	v_mov_b64_e32 v[2:3], v[0:1]
	s_or_b32 s7, vcc_lo, s7
	s_delay_alu instid0(SALU_CYCLE_1)
	s_and_not1_b32 exec_lo, exec_lo, s7
	s_cbranch_execnz .LBB33_97
.LBB33_98:
	s_or_b32 exec_lo, exec_lo, s6
	v_mov_b32_e32 v3, 0
	s_mov_b32 s7, exec_lo
	s_mov_b32 s6, exec_lo
	v_mbcnt_lo_u32_b32 v2, s7, 0
	global_load_b64 v[0:1], v3, s[2:3] offset:16
	s_wait_xcnt 0x0
	v_cmpx_eq_u32_e32 0, v2
	s_cbranch_execz .LBB33_100
; %bb.99:
	s_bcnt1_i32_b32 s7, s7
	s_delay_alu instid0(SALU_CYCLE_1)
	v_mov_b32_e32 v2, s7
	global_wb scope:SCOPE_SYS
	s_wait_loadcnt 0x0
	s_wait_storecnt 0x0
	global_atomic_add_u64 v[0:1], v[2:3], off offset:8 scope:SCOPE_SYS
.LBB33_100:
	s_wait_xcnt 0x0
	s_or_b32 exec_lo, exec_lo, s6
	s_wait_loadcnt 0x0
	global_load_b64 v[2:3], v[0:1], off offset:16
	s_wait_loadcnt 0x0
	v_cmp_eq_u64_e32 vcc_lo, 0, v[2:3]
	s_cbranch_vccnz .LBB33_102
; %bb.101:
	global_load_b32 v0, v[0:1], off offset:24
	s_wait_xcnt 0x0
	v_mov_b32_e32 v1, 0
	s_wait_loadcnt 0x0
	v_readfirstlane_b32 s6, v0
	global_wb scope:SCOPE_SYS
	s_wait_storecnt 0x0
	global_store_b64 v[2:3], v[0:1], off scope:SCOPE_SYS
	s_and_b32 m0, s6, 0xffffff
	s_sendmsg sendmsg(MSG_INTERRUPT)
.LBB33_102:
	s_wait_xcnt 0x0
	s_or_b32 exec_lo, exec_lo, s1
	s_branch .LBB33_106
.LBB33_103:                             ;   in Loop: Header=BB33_106 Depth=1
	s_wait_xcnt 0x0
	s_or_b32 exec_lo, exec_lo, s1
	s_delay_alu instid0(VALU_DEP_1)
	v_readfirstlane_b32 s1, v0
	s_cmp_eq_u32 s1, 0
	s_cbranch_scc1 .LBB33_105
; %bb.104:                              ;   in Loop: Header=BB33_106 Depth=1
	s_sleep 1
	s_cbranch_execnz .LBB33_106
	s_branch .LBB33_108
.LBB33_105:
	s_branch .LBB33_108
.LBB33_106:                             ; =>This Inner Loop Header: Depth=1
	v_mov_b32_e32 v0, 1
	s_and_saveexec_b32 s1, s0
	s_cbranch_execz .LBB33_103
; %bb.107:                              ;   in Loop: Header=BB33_106 Depth=1
	global_load_b32 v0, v[8:9], off offset:20 scope:SCOPE_SYS
	s_wait_loadcnt 0x0
	global_inv scope:SCOPE_SYS
	v_and_b32_e32 v0, 1, v0
	s_branch .LBB33_103
.LBB33_108:
	s_and_saveexec_b32 s6, s0
	s_cbranch_execz .LBB33_112
; %bb.109:
	v_mov_b32_e32 v6, 0
	s_clause 0x2
	global_load_b64 v[0:1], v6, s[2:3] offset:40
	global_load_b64 v[10:11], v6, s[2:3] offset:24 scope:SCOPE_SYS
	global_load_b64 v[2:3], v6, s[2:3]
	s_wait_loadcnt 0x2
	v_readfirstlane_b32 s8, v0
	v_readfirstlane_b32 s9, v1
	s_add_nc_u64 s[0:1], s[8:9], 1
	s_delay_alu instid0(SALU_CYCLE_1) | instskip(NEXT) | instid1(SALU_CYCLE_1)
	s_add_nc_u64 s[4:5], s[0:1], s[4:5]
	s_cmp_eq_u64 s[4:5], 0
	s_cselect_b32 s1, s1, s5
	s_cselect_b32 s0, s0, s4
	v_mov_b32_e32 v9, s1
	s_and_b64 s[4:5], s[0:1], s[8:9]
	v_mov_b32_e32 v8, s0
	s_mul_u64 s[4:5], s[4:5], 24
	s_wait_loadcnt 0x0
	v_add_nc_u64_e32 v[4:5], s[4:5], v[2:3]
	global_store_b64 v[4:5], v[10:11], off
	global_wb scope:SCOPE_SYS
	s_wait_storecnt 0x0
	s_wait_xcnt 0x0
	global_atomic_cmpswap_b64 v[2:3], v6, v[8:11], s[2:3] offset:24 th:TH_ATOMIC_RETURN scope:SCOPE_SYS
	s_wait_loadcnt 0x0
	v_cmp_ne_u64_e32 vcc_lo, v[2:3], v[10:11]
	s_and_b32 exec_lo, exec_lo, vcc_lo
	s_cbranch_execz .LBB33_112
; %bb.110:
	s_mov_b32 s4, 0
.LBB33_111:                             ; =>This Inner Loop Header: Depth=1
	v_dual_mov_b32 v0, s0 :: v_dual_mov_b32 v1, s1
	s_sleep 1
	global_store_b64 v[4:5], v[2:3], off
	global_wb scope:SCOPE_SYS
	s_wait_storecnt 0x0
	s_wait_xcnt 0x0
	global_atomic_cmpswap_b64 v[0:1], v6, v[0:3], s[2:3] offset:24 th:TH_ATOMIC_RETURN scope:SCOPE_SYS
	s_wait_loadcnt 0x0
	v_cmp_eq_u64_e32 vcc_lo, v[0:1], v[2:3]
	v_mov_b64_e32 v[2:3], v[0:1]
	s_or_b32 s4, vcc_lo, s4
	s_delay_alu instid0(SALU_CYCLE_1)
	s_and_not1_b32 exec_lo, exec_lo, s4
	s_cbranch_execnz .LBB33_111
.LBB33_112:
	s_or_b32 exec_lo, exec_lo, s6
	s_wait_loadcnt 0x0
	s_wait_kmcnt 0x0
	s_set_pc_i64 s[30:31]
.LBB33_113:
	s_cbranch_execnz .LBB33_86
.LBB33_114:
	s_wait_loadcnt 0x0
	s_wait_kmcnt 0x0
	s_set_pc_i64 s[30:31]
.Lfunc_end33:
	.size	__ockl_fprintf_append_string_n, .Lfunc_end33-__ockl_fprintf_append_string_n
                                        ; -- End function
	.set .L__ockl_fprintf_append_string_n.num_vgpr, 40
	.set .L__ockl_fprintf_append_string_n.num_agpr, 0
	.set .L__ockl_fprintf_append_string_n.numbered_sgpr, 32
	.set .L__ockl_fprintf_append_string_n.num_named_barrier, 0
	.set .L__ockl_fprintf_append_string_n.private_seg_size, 0
	.set .L__ockl_fprintf_append_string_n.uses_vcc, 1
	.set .L__ockl_fprintf_append_string_n.uses_flat_scratch, 0
	.set .L__ockl_fprintf_append_string_n.has_dyn_sized_stack, 0
	.set .L__ockl_fprintf_append_string_n.has_recursion, 0
	.set .L__ockl_fprintf_append_string_n.has_indirect_call, 0
	.section	.AMDGPU.csdata,"",@progbits
; Function info:
; codeLenInByte = 4324
; TotalNumSgprs: 34
; NumVgprs: 40
; ScratchSize: 0
; MemoryBound: 0
	.text
	.p2align	2                               ; -- Begin function __assert_fail
	.type	__assert_fail,@function
__assert_fail:                          ; @__assert_fail
; %bb.0:
	s_wait_loadcnt_dscnt 0x0
	s_wait_kmcnt 0x0
	s_mov_b32 s20, s33
	s_mov_b32 s33, s32
	s_or_saveexec_b32 s0, -1
	scratch_store_b32 off, v40, s33 offset:48 ; 4-byte Folded Spill
	s_wait_xcnt 0x0
	s_mov_b32 exec_lo, s0
	v_writelane_b32 v40, s30, 0
	s_add_co_i32 s32, s32, 64
	v_writelane_b32 v40, s31, 1
	v_mov_b32_e32 v8, 0
	s_get_pc_i64 s[0:1]
	s_add_nc_u64 s[0:1], s[0:1], __const.__assert_fail.fmt@rel64+35
	v_dual_mov_b32 v5, v1 :: v_dual_mov_b32 v4, v0
	s_get_pc_i64 s[10:11]
	s_add_nc_u64 s[10:11], s[10:11], __const.__assert_fail.fmt@rel64+20
	global_load_b128 v[0:3], v8, s[0:1]
	s_wait_xcnt 0x0
	s_get_pc_i64 s[0:1]
	s_add_nc_u64 s[0:1], s[0:1], __const.__assert_fail.fmt@rel64+4
	s_clause 0x1
	s_load_b128 s[4:7], s[0:1], 0x0
	s_load_b128 s[12:15], s[10:11], 0x0
	s_load_b64 s[2:3], s[8:9], 0x50
	v_mbcnt_lo_u32_b32 v48, -1, 0
	v_mov_b64_e32 v[6:7], 0
	s_wait_xcnt 0x0
	s_delay_alu instid0(VALU_DEP_2) | instskip(NEXT) | instid1(VALU_DEP_1)
	v_readfirstlane_b32 s0, v48
	v_cmp_eq_u32_e64 s0, s0, v48
	s_wait_kmcnt 0x0
	v_mov_b64_e32 v[12:13], s[6:7]
	v_mov_b64_e32 v[10:11], s[4:5]
	;; [unrolled: 1-line block ×4, first 2 shown]
	s_clause 0x1
	scratch_store_b128 off, v[10:13], s33
	scratch_store_b128 off, v[14:17], s33 offset:16
	s_wait_loadcnt 0x0
	scratch_store_b128 off, v[0:3], s33 offset:31
	s_wait_xcnt 0x0
	s_and_saveexec_b32 s1, s0
	s_cbranch_execz .LBB34_6
; %bb.1:
	global_load_b64 v[2:3], v8, s[2:3] offset:24 scope:SCOPE_SYS
	s_wait_loadcnt 0x0
	global_inv scope:SCOPE_SYS
	s_clause 0x1
	global_load_b64 v[0:1], v8, s[2:3] offset:40
	global_load_b64 v[6:7], v8, s[2:3]
	s_mov_b32 s4, exec_lo
	s_wait_loadcnt 0x1
	v_and_b32_e32 v0, v0, v2
	v_and_b32_e32 v1, v1, v3
	s_delay_alu instid0(VALU_DEP_1) | instskip(SKIP_1) | instid1(VALU_DEP_1)
	v_mul_u64_e32 v[0:1], 24, v[0:1]
	s_wait_loadcnt 0x0
	v_add_nc_u64_e32 v[0:1], v[6:7], v[0:1]
	global_load_b64 v[0:1], v[0:1], off scope:SCOPE_SYS
	s_wait_xcnt 0x0
	s_wait_loadcnt 0x0
	global_atomic_cmpswap_b64 v[6:7], v8, v[0:3], s[2:3] offset:24 th:TH_ATOMIC_RETURN scope:SCOPE_SYS
	s_wait_loadcnt 0x0
	global_inv scope:SCOPE_SYS
	s_wait_xcnt 0x0
	v_cmpx_ne_u64_e64 v[6:7], v[2:3]
	s_cbranch_execz .LBB34_5
; %bb.2:
	v_mov_b32_e32 v0, 0
	s_mov_b32 s5, 0
.LBB34_3:                               ; =>This Inner Loop Header: Depth=1
	s_sleep 1
	s_clause 0x1
	global_load_b64 v[2:3], v0, s[2:3] offset:40
	global_load_b64 v[10:11], v0, s[2:3]
	v_mov_b64_e32 v[12:13], v[6:7]
	s_wait_loadcnt 0x1
	s_delay_alu instid0(VALU_DEP_1) | instskip(SKIP_1) | instid1(VALU_DEP_1)
	v_and_b32_e32 v1, v2, v12
	s_wait_loadcnt 0x0
	v_mad_nc_u64_u32 v[6:7], v1, 24, v[10:11]
	s_delay_alu instid0(VALU_DEP_3) | instskip(NEXT) | instid1(VALU_DEP_1)
	v_and_b32_e32 v1, v3, v13
	v_mad_u32 v7, v1, 24, v7
	global_load_b64 v[10:11], v[6:7], off scope:SCOPE_SYS
	s_wait_xcnt 0x0
	s_wait_loadcnt 0x0
	global_atomic_cmpswap_b64 v[6:7], v0, v[10:13], s[2:3] offset:24 th:TH_ATOMIC_RETURN scope:SCOPE_SYS
	s_wait_loadcnt 0x0
	global_inv scope:SCOPE_SYS
	v_cmp_eq_u64_e32 vcc_lo, v[6:7], v[12:13]
	s_or_b32 s5, vcc_lo, s5
	s_wait_xcnt 0x0
	s_and_not1_b32 exec_lo, exec_lo, s5
	s_cbranch_execnz .LBB34_3
; %bb.4:
	s_or_b32 exec_lo, exec_lo, s5
.LBB34_5:
	s_delay_alu instid0(SALU_CYCLE_1)
	s_or_b32 exec_lo, exec_lo, s4
.LBB34_6:
	s_delay_alu instid0(SALU_CYCLE_1)
	s_or_b32 exec_lo, exec_lo, s1
	s_clause 0x1
	global_load_b64 v[10:11], v8, s[2:3] offset:40
	global_load_b128 v[0:3], v8, s[2:3]
	v_readfirstlane_b32 s4, v6
	v_readfirstlane_b32 s5, v7
	s_mov_b32 s1, exec_lo
	s_wait_loadcnt 0x1
	s_wait_xcnt 0x0
	v_and_b32_e32 v8, s4, v10
	v_and_b32_e32 v9, s5, v11
	s_delay_alu instid0(VALU_DEP_1) | instskip(SKIP_1) | instid1(VALU_DEP_1)
	v_mul_u64_e32 v[6:7], 24, v[8:9]
	s_wait_loadcnt 0x0
	v_add_nc_u64_e32 v[6:7], v[0:1], v[6:7]
	s_and_saveexec_b32 s6, s0
	s_cbranch_execz .LBB34_8
; %bb.7:
	v_mov_b64_e32 v[12:13], 0x100000002
	v_dual_mov_b32 v10, s1 :: v_dual_mov_b32 v11, 0
	global_store_b128 v[6:7], v[10:13], off offset:8
.LBB34_8:
	s_wait_xcnt 0x0
	s_or_b32 exec_lo, exec_lo, s6
	v_lshlrev_b64_e32 v[8:9], 12, v[8:9]
	s_mov_b32 s12, 0
	v_dual_mov_b32 v31, 0 :: v_dual_lshlrev_b32 v30, 6, v48
	s_mov_b32 s14, s12
	s_mov_b32 s15, s12
	s_mov_b32 s13, s12
	s_delay_alu instid0(VALU_DEP_2)
	v_add_nc_u64_e32 v[8:9], v[2:3], v[8:9]
	v_mov_b64_e32 v[16:17], s[14:15]
	v_mov_b64_e32 v[14:15], s[12:13]
	v_dual_mov_b32 v10, 33 :: v_dual_mov_b32 v12, 1
	v_dual_mov_b32 v11, v31 :: v_dual_mov_b32 v13, v31
	v_readfirstlane_b32 s6, v8
	v_readfirstlane_b32 s7, v9
	s_clause 0x3
	global_store_b128 v30, v[10:13], s[6:7]
	global_store_b128 v30, v[14:17], s[6:7] offset:16
	global_store_b128 v30, v[14:17], s[6:7] offset:32
	;; [unrolled: 1-line block ×3, first 2 shown]
	s_wait_xcnt 0x0
	s_and_saveexec_b32 s1, s0
	s_cbranch_execz .LBB34_16
; %bb.9:
	s_clause 0x1
	global_load_b64 v[14:15], v31, s[2:3] offset:32 scope:SCOPE_SYS
	global_load_b64 v[2:3], v31, s[2:3] offset:40
	s_mov_b32 s6, exec_lo
	v_dual_mov_b32 v12, s4 :: v_dual_mov_b32 v13, s5
	s_wait_loadcnt 0x0
	v_and_b32_e32 v3, s5, v3
	v_and_b32_e32 v2, s4, v2
	s_delay_alu instid0(VALU_DEP_1) | instskip(NEXT) | instid1(VALU_DEP_1)
	v_mul_u64_e32 v[2:3], 24, v[2:3]
	v_add_nc_u64_e32 v[10:11], v[0:1], v[2:3]
	global_store_b64 v[10:11], v[14:15], off
	global_wb scope:SCOPE_SYS
	s_wait_storecnt 0x0
	s_wait_xcnt 0x0
	global_atomic_cmpswap_b64 v[2:3], v31, v[12:15], s[2:3] offset:32 th:TH_ATOMIC_RETURN scope:SCOPE_SYS
	s_wait_loadcnt 0x0
	v_cmpx_ne_u64_e64 v[2:3], v[14:15]
	s_cbranch_execz .LBB34_12
; %bb.10:
	v_mov_b32_e32 v12, 0
	s_mov_b32 s7, 0
.LBB34_11:                              ; =>This Inner Loop Header: Depth=1
	v_dual_mov_b32 v0, s4 :: v_dual_mov_b32 v1, s5
	s_sleep 1
	global_store_b64 v[10:11], v[2:3], off
	global_wb scope:SCOPE_SYS
	s_wait_storecnt 0x0
	s_wait_xcnt 0x0
	global_atomic_cmpswap_b64 v[0:1], v12, v[0:3], s[2:3] offset:32 th:TH_ATOMIC_RETURN scope:SCOPE_SYS
	s_wait_loadcnt 0x0
	v_cmp_eq_u64_e32 vcc_lo, v[0:1], v[2:3]
	v_mov_b64_e32 v[2:3], v[0:1]
	s_or_b32 s7, vcc_lo, s7
	s_delay_alu instid0(SALU_CYCLE_1)
	s_and_not1_b32 exec_lo, exec_lo, s7
	s_cbranch_execnz .LBB34_11
.LBB34_12:
	s_or_b32 exec_lo, exec_lo, s6
	v_mov_b32_e32 v3, 0
	s_mov_b32 s7, exec_lo
	s_mov_b32 s6, exec_lo
	v_mbcnt_lo_u32_b32 v2, s7, 0
	global_load_b64 v[0:1], v3, s[2:3] offset:16
	s_wait_xcnt 0x0
	v_cmpx_eq_u32_e32 0, v2
	s_cbranch_execz .LBB34_14
; %bb.13:
	s_bcnt1_i32_b32 s7, s7
	s_delay_alu instid0(SALU_CYCLE_1)
	v_mov_b32_e32 v2, s7
	global_wb scope:SCOPE_SYS
	s_wait_loadcnt 0x0
	s_wait_storecnt 0x0
	global_atomic_add_u64 v[0:1], v[2:3], off offset:8 scope:SCOPE_SYS
.LBB34_14:
	s_wait_xcnt 0x0
	s_or_b32 exec_lo, exec_lo, s6
	s_wait_loadcnt 0x0
	global_load_b64 v[2:3], v[0:1], off offset:16
	s_wait_loadcnt 0x0
	v_cmp_eq_u64_e32 vcc_lo, 0, v[2:3]
	s_cbranch_vccnz .LBB34_16
; %bb.15:
	global_load_b32 v0, v[0:1], off offset:24
	s_wait_xcnt 0x0
	v_mov_b32_e32 v1, 0
	s_wait_loadcnt 0x0
	v_readfirstlane_b32 s6, v0
	global_wb scope:SCOPE_SYS
	s_wait_storecnt 0x0
	global_store_b64 v[2:3], v[0:1], off scope:SCOPE_SYS
	s_and_b32 m0, s6, 0xffffff
	s_sendmsg sendmsg(MSG_INTERRUPT)
.LBB34_16:
	s_wait_xcnt 0x0
	s_or_b32 exec_lo, exec_lo, s1
	v_add_nc_u64_e32 v[0:1], v[8:9], v[30:31]
	s_branch .LBB34_20
.LBB34_17:                              ;   in Loop: Header=BB34_20 Depth=1
	s_wait_xcnt 0x0
	s_or_b32 exec_lo, exec_lo, s1
	s_delay_alu instid0(VALU_DEP_1)
	v_readfirstlane_b32 s1, v2
	s_cmp_eq_u32 s1, 0
	s_cbranch_scc1 .LBB34_19
; %bb.18:                               ;   in Loop: Header=BB34_20 Depth=1
	s_sleep 1
	s_cbranch_execnz .LBB34_20
	s_branch .LBB34_22
.LBB34_19:
	s_branch .LBB34_22
.LBB34_20:                              ; =>This Inner Loop Header: Depth=1
	v_mov_b32_e32 v2, 1
	s_and_saveexec_b32 s1, s0
	s_cbranch_execz .LBB34_17
; %bb.21:                               ;   in Loop: Header=BB34_20 Depth=1
	global_load_b32 v2, v[6:7], off offset:20 scope:SCOPE_SYS
	s_wait_loadcnt 0x0
	global_inv scope:SCOPE_SYS
	v_and_b32_e32 v2, 1, v2
	s_branch .LBB34_17
.LBB34_22:
	global_load_b64 v[6:7], v[0:1], off
	s_wait_xcnt 0x0
	s_and_saveexec_b32 s6, s0
	s_cbranch_execz .LBB34_26
; %bb.23:
	v_mov_b32_e32 v10, 0
	s_clause 0x2
	global_load_b64 v[0:1], v10, s[2:3] offset:40
	global_load_b64 v[14:15], v10, s[2:3] offset:24 scope:SCOPE_SYS
	global_load_b64 v[2:3], v10, s[2:3]
	s_wait_loadcnt 0x2
	v_readfirstlane_b32 s10, v0
	v_readfirstlane_b32 s11, v1
	s_add_nc_u64 s[0:1], s[10:11], 1
	s_delay_alu instid0(SALU_CYCLE_1) | instskip(NEXT) | instid1(SALU_CYCLE_1)
	s_add_nc_u64 s[4:5], s[0:1], s[4:5]
	s_cmp_eq_u64 s[4:5], 0
	s_cselect_b32 s1, s1, s5
	s_cselect_b32 s0, s0, s4
	v_mov_b32_e32 v13, s1
	s_and_b64 s[4:5], s[0:1], s[10:11]
	v_mov_b32_e32 v12, s0
	s_mul_u64 s[4:5], s[4:5], 24
	s_wait_loadcnt 0x0
	v_add_nc_u64_e32 v[8:9], s[4:5], v[2:3]
	global_store_b64 v[8:9], v[14:15], off
	global_wb scope:SCOPE_SYS
	s_wait_storecnt 0x0
	s_wait_xcnt 0x0
	global_atomic_cmpswap_b64 v[2:3], v10, v[12:15], s[2:3] offset:24 th:TH_ATOMIC_RETURN scope:SCOPE_SYS
	s_wait_loadcnt 0x0
	v_cmp_ne_u64_e32 vcc_lo, v[2:3], v[14:15]
	s_and_b32 exec_lo, exec_lo, vcc_lo
	s_cbranch_execz .LBB34_26
; %bb.24:
	s_mov_b32 s4, 0
.LBB34_25:                              ; =>This Inner Loop Header: Depth=1
	v_dual_mov_b32 v0, s0 :: v_dual_mov_b32 v1, s1
	s_sleep 1
	global_store_b64 v[8:9], v[2:3], off
	global_wb scope:SCOPE_SYS
	s_wait_storecnt 0x0
	s_wait_xcnt 0x0
	global_atomic_cmpswap_b64 v[0:1], v10, v[0:3], s[2:3] offset:24 th:TH_ATOMIC_RETURN scope:SCOPE_SYS
	s_wait_loadcnt 0x0
	v_cmp_eq_u64_e32 vcc_lo, v[0:1], v[2:3]
	v_mov_b64_e32 v[2:3], v[0:1]
	s_or_b32 s4, vcc_lo, s4
	s_delay_alu instid0(SALU_CYCLE_1)
	s_and_not1_b32 exec_lo, exec_lo, s4
	s_cbranch_execnz .LBB34_25
.LBB34_26:
	s_or_b32 exec_lo, exec_lo, s6
	s_mov_b32 s1, s33
	s_mov_b32 s0, 0
.LBB34_27:                              ; =>This Inner Loop Header: Depth=1
	scratch_load_u8 v0, off, s1
	s_wait_xcnt 0x0
	s_add_co_i32 s1, s1, 1
	s_wait_loadcnt 0x0
	v_cmp_eq_u16_e32 vcc_lo, 0, v0
	v_mov_b32_e32 v0, s1
	s_or_b32 s0, vcc_lo, s0
	s_delay_alu instid0(SALU_CYCLE_1)
	s_and_not1_b32 exec_lo, exec_lo, s0
	s_cbranch_execnz .LBB34_27
; %bb.28:
	s_or_b32 exec_lo, exec_lo, s0
	s_cmp_lg_u32 s33, -1
	s_cbranch_scc0 .LBB34_113
; %bb.29:
	s_mov_b64 s[0:1], src_flat_scratch_base_lo
	v_mov_b64_e32 v[10:11], 0x100000002
	v_dual_add_nc_u32 v0, s0, v0 :: v_dual_bitop2_b32 v28, 2, v6 bitop3:0x40
	s_add_co_i32 s0, s33, s0
	v_dual_mov_b32 v31, 0 :: v_dual_mov_b32 v29, s33
	s_delay_alu instid0(VALU_DEP_2) | instskip(SKIP_3) | instid1(VALU_DEP_2)
	v_subrev_nc_u32_e32 v32, s0, v0
	v_dual_mov_b32 v1, v7 :: v_dual_bitop2_b32 v0, -3, v6 bitop3:0x40
	s_mov_b32 s7, 0
	s_mov_b32 s6, 0
	v_ashrrev_i32_e32 v33, 31, v32
	s_branch .LBB34_31
.LBB34_30:                              ;   in Loop: Header=BB34_31 Depth=1
	s_or_b32 exec_lo, exec_lo, s10
	v_sub_nc_u64_e32 v[32:33], v[32:33], v[34:35]
	v_add_nc_u32_e32 v29, v29, v34
	s_delay_alu instid0(VALU_DEP_2) | instskip(SKIP_1) | instid1(SALU_CYCLE_1)
	v_cmp_eq_u64_e32 vcc_lo, 0, v[32:33]
	s_or_b32 s6, vcc_lo, s6
	s_and_not1_b32 exec_lo, exec_lo, s6
	s_cbranch_execz .LBB34_192
.LBB34_31:                              ; =>This Loop Header: Depth=1
                                        ;     Child Loop BB34_34 Depth 2
                                        ;     Child Loop BB34_42 Depth 2
	;; [unrolled: 1-line block ×11, first 2 shown]
	s_delay_alu instid0(VALU_DEP_1)
	v_min_u64 v[34:35], v[32:33], 56
	v_add_nc_u32_e32 v9, 8, v29
	s_mov_b32 s0, exec_lo
	v_cmpx_gt_u64_e32 8, v[32:33]
	s_xor_b32 s4, exec_lo, s0
	s_cbranch_execz .LBB34_37
; %bb.32:                               ;   in Loop: Header=BB34_31 Depth=1
	v_mov_b64_e32 v[2:3], 0
	s_mov_b32 s5, exec_lo
	v_cmpx_ne_u64_e32 0, v[32:33]
	s_cbranch_execz .LBB34_36
; %bb.33:                               ;   in Loop: Header=BB34_31 Depth=1
	v_mov_b64_e32 v[2:3], 0
	v_dual_mov_b32 v9, v29 :: v_dual_lshlrev_b32 v8, 3, v34
	s_mov_b64 s[0:1], 0
	s_mov_b32 s10, 0
.LBB34_34:                              ;   Parent Loop BB34_31 Depth=1
                                        ; =>  This Inner Loop Header: Depth=2
	scratch_load_u8 v12, v9, off
	s_wait_xcnt 0x0
	v_dual_mov_b32 v13, s7 :: v_dual_add_nc_u32 v9, 1, v9
	s_wait_loadcnt 0x0
	v_and_b32_e32 v12, 0xffff, v12
	s_delay_alu instid0(VALU_DEP_1) | instskip(SKIP_1) | instid1(SALU_CYCLE_1)
	v_lshlrev_b64_e32 v[12:13], s0, v[12:13]
	s_add_nc_u64 s[0:1], s[0:1], 8
	v_cmp_eq_u32_e32 vcc_lo, s0, v8
	s_delay_alu instid0(VALU_DEP_2) | instskip(NEXT) | instid1(VALU_DEP_3)
	v_or_b32_e32 v3, v13, v3
	v_or_b32_e32 v2, v12, v2
	s_or_b32 s10, vcc_lo, s10
	s_delay_alu instid0(SALU_CYCLE_1)
	s_and_not1_b32 exec_lo, exec_lo, s10
	s_cbranch_execnz .LBB34_34
; %bb.35:                               ;   in Loop: Header=BB34_31 Depth=1
	s_or_b32 exec_lo, exec_lo, s10
.LBB34_36:                              ;   in Loop: Header=BB34_31 Depth=1
	s_delay_alu instid0(SALU_CYCLE_1)
	s_or_b32 exec_lo, exec_lo, s5
	v_mov_b32_e32 v9, v29
.LBB34_37:                              ;   in Loop: Header=BB34_31 Depth=1
	s_or_saveexec_b32 s0, s4
	v_mov_b32_e32 v14, 0
	s_xor_b32 exec_lo, exec_lo, s0
	s_cbranch_execz .LBB34_39
; %bb.38:                               ;   in Loop: Header=BB34_31 Depth=1
	scratch_load_b64 v[2:3], v29, off
	v_add_nc_u32_e32 v14, -8, v34
.LBB34_39:                              ;   in Loop: Header=BB34_31 Depth=1
	s_wait_xcnt 0x0
	s_or_b32 exec_lo, exec_lo, s0
	v_add_nc_u32_e32 v8, 8, v9
                                        ; implicit-def: $vgpr12_vgpr13
	s_mov_b32 s0, exec_lo
	v_cmpx_gt_u32_e32 8, v14
	s_xor_b32 s4, exec_lo, s0
	s_cbranch_execz .LBB34_45
; %bb.40:                               ;   in Loop: Header=BB34_31 Depth=1
	v_mov_b64_e32 v[12:13], 0
	s_mov_b32 s5, exec_lo
	v_cmpx_ne_u32_e32 0, v14
	s_cbranch_execz .LBB34_44
; %bb.41:                               ;   in Loop: Header=BB34_31 Depth=1
	v_mov_b64_e32 v[12:13], 0
	s_mov_b64 s[0:1], 0
	s_mov_b32 s10, 0
	s_mov_b32 s11, 0
.LBB34_42:                              ;   Parent Loop BB34_31 Depth=1
                                        ; =>  This Inner Loop Header: Depth=2
	scratch_load_u8 v8, v9, s11
	v_mov_b32_e32 v17, s7
	s_wait_xcnt 0x0
	s_add_co_i32 s11, s11, 1
	s_delay_alu instid0(SALU_CYCLE_1) | instskip(SKIP_3) | instid1(VALU_DEP_1)
	v_cmp_eq_u32_e32 vcc_lo, s11, v14
	s_or_b32 s10, vcc_lo, s10
	s_wait_loadcnt 0x0
	v_and_b32_e32 v16, 0xffff, v8
	v_lshlrev_b64_e32 v[16:17], s0, v[16:17]
	s_add_nc_u64 s[0:1], s[0:1], 8
	s_delay_alu instid0(VALU_DEP_1) | instskip(NEXT) | instid1(VALU_DEP_2)
	v_or_b32_e32 v13, v17, v13
	v_or_b32_e32 v12, v16, v12
	s_and_not1_b32 exec_lo, exec_lo, s10
	s_cbranch_execnz .LBB34_42
; %bb.43:                               ;   in Loop: Header=BB34_31 Depth=1
	s_or_b32 exec_lo, exec_lo, s10
.LBB34_44:                              ;   in Loop: Header=BB34_31 Depth=1
	s_delay_alu instid0(SALU_CYCLE_1)
	s_or_b32 exec_lo, exec_lo, s5
	v_mov_b32_e32 v8, v9
                                        ; implicit-def: $vgpr14
.LBB34_45:                              ;   in Loop: Header=BB34_31 Depth=1
	s_or_saveexec_b32 s0, s4
	v_mov_b32_e32 v16, 0
	s_xor_b32 exec_lo, exec_lo, s0
	s_cbranch_execz .LBB34_47
; %bb.46:                               ;   in Loop: Header=BB34_31 Depth=1
	scratch_load_b64 v[12:13], v9, off
	v_add_nc_u32_e32 v16, -8, v14
.LBB34_47:                              ;   in Loop: Header=BB34_31 Depth=1
	s_wait_xcnt 0x0
	s_or_b32 exec_lo, exec_lo, s0
	v_add_nc_u32_e32 v9, 8, v8
	s_mov_b32 s0, exec_lo
	v_cmpx_gt_u32_e32 8, v16
	s_xor_b32 s4, exec_lo, s0
	s_cbranch_execz .LBB34_53
; %bb.48:                               ;   in Loop: Header=BB34_31 Depth=1
	v_mov_b64_e32 v[14:15], 0
	s_mov_b32 s5, exec_lo
	v_cmpx_ne_u32_e32 0, v16
	s_cbranch_execz .LBB34_52
; %bb.49:                               ;   in Loop: Header=BB34_31 Depth=1
	v_mov_b64_e32 v[14:15], 0
	s_mov_b64 s[0:1], 0
	s_mov_b32 s10, 0
	s_mov_b32 s11, 0
.LBB34_50:                              ;   Parent Loop BB34_31 Depth=1
                                        ; =>  This Inner Loop Header: Depth=2
	scratch_load_u8 v9, v8, s11
	v_mov_b32_e32 v19, s7
	s_wait_xcnt 0x0
	s_add_co_i32 s11, s11, 1
	s_delay_alu instid0(SALU_CYCLE_1) | instskip(SKIP_3) | instid1(VALU_DEP_1)
	v_cmp_eq_u32_e32 vcc_lo, s11, v16
	s_or_b32 s10, vcc_lo, s10
	s_wait_loadcnt 0x0
	v_and_b32_e32 v18, 0xffff, v9
	v_lshlrev_b64_e32 v[18:19], s0, v[18:19]
	s_add_nc_u64 s[0:1], s[0:1], 8
	s_delay_alu instid0(VALU_DEP_1) | instskip(NEXT) | instid1(VALU_DEP_2)
	v_or_b32_e32 v15, v19, v15
	v_or_b32_e32 v14, v18, v14
	s_and_not1_b32 exec_lo, exec_lo, s10
	s_cbranch_execnz .LBB34_50
; %bb.51:                               ;   in Loop: Header=BB34_31 Depth=1
	s_or_b32 exec_lo, exec_lo, s10
.LBB34_52:                              ;   in Loop: Header=BB34_31 Depth=1
	s_delay_alu instid0(SALU_CYCLE_1)
	s_or_b32 exec_lo, exec_lo, s5
	v_mov_b32_e32 v9, v8
                                        ; implicit-def: $vgpr16
.LBB34_53:                              ;   in Loop: Header=BB34_31 Depth=1
	s_or_saveexec_b32 s0, s4
	v_mov_b32_e32 v18, 0
	s_xor_b32 exec_lo, exec_lo, s0
	s_cbranch_execz .LBB34_55
; %bb.54:                               ;   in Loop: Header=BB34_31 Depth=1
	scratch_load_b64 v[14:15], v8, off
	v_add_nc_u32_e32 v18, -8, v16
.LBB34_55:                              ;   in Loop: Header=BB34_31 Depth=1
	s_wait_xcnt 0x0
	s_or_b32 exec_lo, exec_lo, s0
	v_add_nc_u32_e32 v8, 8, v9
                                        ; implicit-def: $vgpr16_vgpr17
	s_mov_b32 s0, exec_lo
	v_cmpx_gt_u32_e32 8, v18
	s_xor_b32 s4, exec_lo, s0
	s_cbranch_execz .LBB34_61
; %bb.56:                               ;   in Loop: Header=BB34_31 Depth=1
	v_mov_b64_e32 v[16:17], 0
	s_mov_b32 s5, exec_lo
	v_cmpx_ne_u32_e32 0, v18
	s_cbranch_execz .LBB34_60
; %bb.57:                               ;   in Loop: Header=BB34_31 Depth=1
	v_mov_b64_e32 v[16:17], 0
	s_mov_b64 s[0:1], 0
	s_mov_b32 s10, 0
	s_mov_b32 s11, 0
.LBB34_58:                              ;   Parent Loop BB34_31 Depth=1
                                        ; =>  This Inner Loop Header: Depth=2
	scratch_load_u8 v8, v9, s11
	v_mov_b32_e32 v21, s7
	s_wait_xcnt 0x0
	s_add_co_i32 s11, s11, 1
	s_delay_alu instid0(SALU_CYCLE_1) | instskip(SKIP_3) | instid1(VALU_DEP_1)
	v_cmp_eq_u32_e32 vcc_lo, s11, v18
	s_or_b32 s10, vcc_lo, s10
	s_wait_loadcnt 0x0
	v_and_b32_e32 v20, 0xffff, v8
	v_lshlrev_b64_e32 v[20:21], s0, v[20:21]
	s_add_nc_u64 s[0:1], s[0:1], 8
	s_delay_alu instid0(VALU_DEP_1) | instskip(NEXT) | instid1(VALU_DEP_2)
	v_or_b32_e32 v17, v21, v17
	v_or_b32_e32 v16, v20, v16
	s_and_not1_b32 exec_lo, exec_lo, s10
	s_cbranch_execnz .LBB34_58
; %bb.59:                               ;   in Loop: Header=BB34_31 Depth=1
	s_or_b32 exec_lo, exec_lo, s10
.LBB34_60:                              ;   in Loop: Header=BB34_31 Depth=1
	s_delay_alu instid0(SALU_CYCLE_1)
	s_or_b32 exec_lo, exec_lo, s5
	v_mov_b32_e32 v8, v9
                                        ; implicit-def: $vgpr18
.LBB34_61:                              ;   in Loop: Header=BB34_31 Depth=1
	s_or_saveexec_b32 s0, s4
	v_mov_b32_e32 v20, 0
	s_xor_b32 exec_lo, exec_lo, s0
	s_cbranch_execz .LBB34_63
; %bb.62:                               ;   in Loop: Header=BB34_31 Depth=1
	scratch_load_b64 v[16:17], v9, off
	v_add_nc_u32_e32 v20, -8, v18
.LBB34_63:                              ;   in Loop: Header=BB34_31 Depth=1
	s_wait_xcnt 0x0
	s_or_b32 exec_lo, exec_lo, s0
	v_add_nc_u32_e32 v9, 8, v8
	s_mov_b32 s0, exec_lo
	v_cmpx_gt_u32_e32 8, v20
	s_xor_b32 s4, exec_lo, s0
	s_cbranch_execz .LBB34_69
; %bb.64:                               ;   in Loop: Header=BB34_31 Depth=1
	v_mov_b64_e32 v[18:19], 0
	s_mov_b32 s5, exec_lo
	v_cmpx_ne_u32_e32 0, v20
	s_cbranch_execz .LBB34_68
; %bb.65:                               ;   in Loop: Header=BB34_31 Depth=1
	v_mov_b64_e32 v[18:19], 0
	s_mov_b64 s[0:1], 0
	s_mov_b32 s10, 0
	s_mov_b32 s11, 0
.LBB34_66:                              ;   Parent Loop BB34_31 Depth=1
                                        ; =>  This Inner Loop Header: Depth=2
	scratch_load_u8 v9, v8, s11
	v_mov_b32_e32 v23, s7
	s_wait_xcnt 0x0
	s_add_co_i32 s11, s11, 1
	s_delay_alu instid0(SALU_CYCLE_1) | instskip(SKIP_3) | instid1(VALU_DEP_1)
	v_cmp_eq_u32_e32 vcc_lo, s11, v20
	s_or_b32 s10, vcc_lo, s10
	s_wait_loadcnt 0x0
	v_and_b32_e32 v22, 0xffff, v9
	v_lshlrev_b64_e32 v[22:23], s0, v[22:23]
	s_add_nc_u64 s[0:1], s[0:1], 8
	s_delay_alu instid0(VALU_DEP_1) | instskip(NEXT) | instid1(VALU_DEP_2)
	v_or_b32_e32 v19, v23, v19
	v_or_b32_e32 v18, v22, v18
	s_and_not1_b32 exec_lo, exec_lo, s10
	s_cbranch_execnz .LBB34_66
; %bb.67:                               ;   in Loop: Header=BB34_31 Depth=1
	s_or_b32 exec_lo, exec_lo, s10
.LBB34_68:                              ;   in Loop: Header=BB34_31 Depth=1
	s_delay_alu instid0(SALU_CYCLE_1)
	s_or_b32 exec_lo, exec_lo, s5
	v_mov_b32_e32 v9, v8
                                        ; implicit-def: $vgpr20
.LBB34_69:                              ;   in Loop: Header=BB34_31 Depth=1
	s_or_saveexec_b32 s0, s4
	v_mov_b32_e32 v22, 0
	s_xor_b32 exec_lo, exec_lo, s0
	s_cbranch_execz .LBB34_71
; %bb.70:                               ;   in Loop: Header=BB34_31 Depth=1
	scratch_load_b64 v[18:19], v8, off
	v_add_nc_u32_e32 v22, -8, v20
.LBB34_71:                              ;   in Loop: Header=BB34_31 Depth=1
	s_wait_xcnt 0x0
	s_or_b32 exec_lo, exec_lo, s0
	v_add_nc_u32_e32 v8, 8, v9
                                        ; implicit-def: $vgpr20_vgpr21
	s_mov_b32 s0, exec_lo
	v_cmpx_gt_u32_e32 8, v22
	s_xor_b32 s4, exec_lo, s0
	s_cbranch_execz .LBB34_77
; %bb.72:                               ;   in Loop: Header=BB34_31 Depth=1
	v_mov_b64_e32 v[20:21], 0
	s_mov_b32 s5, exec_lo
	v_cmpx_ne_u32_e32 0, v22
	s_cbranch_execz .LBB34_76
; %bb.73:                               ;   in Loop: Header=BB34_31 Depth=1
	v_mov_b64_e32 v[20:21], 0
	s_mov_b64 s[0:1], 0
	s_mov_b32 s10, 0
	s_mov_b32 s11, 0
.LBB34_74:                              ;   Parent Loop BB34_31 Depth=1
                                        ; =>  This Inner Loop Header: Depth=2
	scratch_load_u8 v8, v9, s11
	v_mov_b32_e32 v25, s7
	s_wait_xcnt 0x0
	s_add_co_i32 s11, s11, 1
	s_delay_alu instid0(SALU_CYCLE_1) | instskip(SKIP_3) | instid1(VALU_DEP_1)
	v_cmp_eq_u32_e32 vcc_lo, s11, v22
	s_or_b32 s10, vcc_lo, s10
	s_wait_loadcnt 0x0
	v_and_b32_e32 v24, 0xffff, v8
	v_lshlrev_b64_e32 v[24:25], s0, v[24:25]
	s_add_nc_u64 s[0:1], s[0:1], 8
	s_delay_alu instid0(VALU_DEP_1) | instskip(NEXT) | instid1(VALU_DEP_2)
	v_or_b32_e32 v21, v25, v21
	v_or_b32_e32 v20, v24, v20
	s_and_not1_b32 exec_lo, exec_lo, s10
	s_cbranch_execnz .LBB34_74
; %bb.75:                               ;   in Loop: Header=BB34_31 Depth=1
	s_or_b32 exec_lo, exec_lo, s10
.LBB34_76:                              ;   in Loop: Header=BB34_31 Depth=1
	s_delay_alu instid0(SALU_CYCLE_1)
	s_or_b32 exec_lo, exec_lo, s5
	v_mov_b32_e32 v8, v9
                                        ; implicit-def: $vgpr22
.LBB34_77:                              ;   in Loop: Header=BB34_31 Depth=1
	s_or_saveexec_b32 s0, s4
	v_mov_b32_e32 v24, 0
	s_xor_b32 exec_lo, exec_lo, s0
	s_cbranch_execz .LBB34_79
; %bb.78:                               ;   in Loop: Header=BB34_31 Depth=1
	scratch_load_b64 v[20:21], v9, off
	v_add_nc_u32_e32 v24, -8, v22
.LBB34_79:                              ;   in Loop: Header=BB34_31 Depth=1
	s_wait_xcnt 0x0
	s_or_b32 exec_lo, exec_lo, s0
	s_delay_alu instid0(SALU_CYCLE_1) | instskip(NEXT) | instid1(VALU_DEP_1)
	s_mov_b32 s0, exec_lo
	v_cmpx_gt_u32_e32 8, v24
	s_xor_b32 s4, exec_lo, s0
	s_cbranch_execz .LBB34_85
; %bb.80:                               ;   in Loop: Header=BB34_31 Depth=1
	v_mov_b64_e32 v[22:23], 0
	s_mov_b32 s5, exec_lo
	v_cmpx_ne_u32_e32 0, v24
	s_cbranch_execz .LBB34_84
; %bb.81:                               ;   in Loop: Header=BB34_31 Depth=1
	v_mov_b64_e32 v[22:23], 0
	s_mov_b64 s[0:1], 0
	s_mov_b32 s10, 0
.LBB34_82:                              ;   Parent Loop BB34_31 Depth=1
                                        ; =>  This Inner Loop Header: Depth=2
	scratch_load_u8 v9, v8, off
	v_dual_mov_b32 v27, s7 :: v_dual_add_nc_u32 v24, -1, v24
	s_delay_alu instid0(VALU_DEP_1) | instskip(SKIP_3) | instid1(VALU_DEP_1)
	v_cmp_eq_u32_e32 vcc_lo, 0, v24
	s_or_b32 s10, vcc_lo, s10
	s_wait_loadcnt 0x0
	v_and_b32_e32 v26, 0xffff, v9
	v_lshlrev_b64_e32 v[26:27], s0, v[26:27]
	s_wait_xcnt 0x0
	v_add_nc_u32_e32 v8, 1, v8
	s_add_nc_u64 s[0:1], s[0:1], 8
	s_delay_alu instid0(VALU_DEP_2) | instskip(NEXT) | instid1(VALU_DEP_3)
	v_or_b32_e32 v23, v27, v23
	v_or_b32_e32 v22, v26, v22
	s_and_not1_b32 exec_lo, exec_lo, s10
	s_cbranch_execnz .LBB34_82
; %bb.83:                               ;   in Loop: Header=BB34_31 Depth=1
	s_or_b32 exec_lo, exec_lo, s10
.LBB34_84:                              ;   in Loop: Header=BB34_31 Depth=1
	s_delay_alu instid0(SALU_CYCLE_1)
	s_or_b32 exec_lo, exec_lo, s5
                                        ; implicit-def: $vgpr8
.LBB34_85:                              ;   in Loop: Header=BB34_31 Depth=1
	s_and_not1_saveexec_b32 s0, s4
	s_cbranch_execz .LBB34_87
; %bb.86:                               ;   in Loop: Header=BB34_31 Depth=1
	scratch_load_b64 v[22:23], v8, off
.LBB34_87:                              ;   in Loop: Header=BB34_31 Depth=1
	s_wait_xcnt 0x0
	s_or_b32 exec_lo, exec_lo, s0
	v_readfirstlane_b32 s0, v48
	v_mov_b64_e32 v[8:9], 0
	s_delay_alu instid0(VALU_DEP_2)
	v_cmp_eq_u32_e64 s0, s0, v48
	s_and_saveexec_b32 s1, s0
	s_cbranch_execz .LBB34_93
; %bb.88:                               ;   in Loop: Header=BB34_31 Depth=1
	global_load_b64 v[26:27], v31, s[2:3] offset:24 scope:SCOPE_SYS
	s_wait_loadcnt 0x0
	global_inv scope:SCOPE_SYS
	s_clause 0x1
	global_load_b64 v[8:9], v31, s[2:3] offset:40
	global_load_b64 v[24:25], v31, s[2:3]
	s_mov_b32 s4, exec_lo
	s_wait_loadcnt 0x1
	v_and_b32_e32 v8, v8, v26
	v_and_b32_e32 v9, v9, v27
	s_delay_alu instid0(VALU_DEP_1) | instskip(SKIP_1) | instid1(VALU_DEP_1)
	v_mul_u64_e32 v[8:9], 24, v[8:9]
	s_wait_loadcnt 0x0
	v_add_nc_u64_e32 v[8:9], v[24:25], v[8:9]
	global_load_b64 v[24:25], v[8:9], off scope:SCOPE_SYS
	s_wait_xcnt 0x0
	s_wait_loadcnt 0x0
	global_atomic_cmpswap_b64 v[8:9], v31, v[24:27], s[2:3] offset:24 th:TH_ATOMIC_RETURN scope:SCOPE_SYS
	s_wait_loadcnt 0x0
	global_inv scope:SCOPE_SYS
	s_wait_xcnt 0x0
	v_cmpx_ne_u64_e64 v[8:9], v[26:27]
	s_cbranch_execz .LBB34_92
; %bb.89:                               ;   in Loop: Header=BB34_31 Depth=1
	s_mov_b32 s5, 0
.LBB34_90:                              ;   Parent Loop BB34_31 Depth=1
                                        ; =>  This Inner Loop Header: Depth=2
	s_sleep 1
	s_clause 0x1
	global_load_b64 v[24:25], v31, s[2:3] offset:40
	global_load_b64 v[36:37], v31, s[2:3]
	v_mov_b64_e32 v[26:27], v[8:9]
	s_wait_loadcnt 0x1
	s_delay_alu instid0(VALU_DEP_1) | instskip(NEXT) | instid1(VALU_DEP_2)
	v_and_b32_e32 v8, v24, v26
	v_and_b32_e32 v24, v25, v27
	s_wait_loadcnt 0x0
	s_delay_alu instid0(VALU_DEP_2) | instskip(NEXT) | instid1(VALU_DEP_1)
	v_mad_nc_u64_u32 v[8:9], v8, 24, v[36:37]
	v_mad_u32 v9, v24, 24, v9
	global_load_b64 v[24:25], v[8:9], off scope:SCOPE_SYS
	s_wait_xcnt 0x0
	s_wait_loadcnt 0x0
	global_atomic_cmpswap_b64 v[8:9], v31, v[24:27], s[2:3] offset:24 th:TH_ATOMIC_RETURN scope:SCOPE_SYS
	s_wait_loadcnt 0x0
	global_inv scope:SCOPE_SYS
	v_cmp_eq_u64_e32 vcc_lo, v[8:9], v[26:27]
	s_or_b32 s5, vcc_lo, s5
	s_wait_xcnt 0x0
	s_and_not1_b32 exec_lo, exec_lo, s5
	s_cbranch_execnz .LBB34_90
; %bb.91:                               ;   in Loop: Header=BB34_31 Depth=1
	s_or_b32 exec_lo, exec_lo, s5
.LBB34_92:                              ;   in Loop: Header=BB34_31 Depth=1
	s_delay_alu instid0(SALU_CYCLE_1)
	s_or_b32 exec_lo, exec_lo, s4
.LBB34_93:                              ;   in Loop: Header=BB34_31 Depth=1
	s_delay_alu instid0(SALU_CYCLE_1)
	s_or_b32 exec_lo, exec_lo, s1
	s_clause 0x1
	global_load_b64 v[36:37], v31, s[2:3] offset:40
	global_load_b128 v[24:27], v31, s[2:3]
	v_readfirstlane_b32 s4, v8
	v_readfirstlane_b32 s5, v9
	s_mov_b32 s1, exec_lo
	s_wait_loadcnt 0x1
	v_and_b32_e32 v38, s4, v36
	v_and_b32_e32 v39, s5, v37
	s_delay_alu instid0(VALU_DEP_1) | instskip(SKIP_1) | instid1(VALU_DEP_1)
	v_mul_u64_e32 v[8:9], 24, v[38:39]
	s_wait_loadcnt 0x0
	v_add_nc_u64_e32 v[36:37], v[24:25], v[8:9]
	s_wait_xcnt 0x0
	s_and_saveexec_b32 s10, s0
	s_cbranch_execz .LBB34_95
; %bb.94:                               ;   in Loop: Header=BB34_31 Depth=1
	v_dual_mov_b32 v8, s1 :: v_dual_mov_b32 v9, v31
	global_store_b128 v[36:37], v[8:11], off offset:8
.LBB34_95:                              ;   in Loop: Header=BB34_31 Depth=1
	s_wait_xcnt 0x0
	s_or_b32 exec_lo, exec_lo, s10
	v_cmp_gt_u64_e32 vcc_lo, 57, v[32:33]
	v_lshlrev_b64_e32 v[8:9], 12, v[38:39]
	v_and_b32_e32 v0, 0xffffff1f, v0
	v_lshl_add_u32 v39, v34, 2, 28
	v_cndmask_b32_e32 v38, 0, v28, vcc_lo
	s_delay_alu instid0(VALU_DEP_4) | instskip(NEXT) | instid1(VALU_DEP_2)
	v_add_nc_u64_e32 v[8:9], v[26:27], v[8:9]
	v_or_b32_e32 v0, v0, v38
	s_delay_alu instid0(VALU_DEP_2) | instskip(NEXT) | instid1(VALU_DEP_3)
	v_readfirstlane_b32 s10, v8
	v_readfirstlane_b32 s11, v9
	s_delay_alu instid0(VALU_DEP_3)
	v_and_or_b32 v0, 0x1e0, v39, v0
	s_clause 0x3
	global_store_b128 v30, v[0:3], s[10:11]
	global_store_b128 v30, v[12:15], s[10:11] offset:16
	global_store_b128 v30, v[16:19], s[10:11] offset:32
	;; [unrolled: 1-line block ×3, first 2 shown]
	s_wait_xcnt 0x0
	s_and_saveexec_b32 s1, s0
	s_cbranch_execz .LBB34_103
; %bb.96:                               ;   in Loop: Header=BB34_31 Depth=1
	s_clause 0x1
	global_load_b64 v[16:17], v31, s[2:3] offset:32 scope:SCOPE_SYS
	global_load_b64 v[0:1], v31, s[2:3] offset:40
	s_mov_b32 s10, exec_lo
	v_dual_mov_b32 v14, s4 :: v_dual_mov_b32 v15, s5
	s_wait_loadcnt 0x0
	v_and_b32_e32 v1, s5, v1
	v_and_b32_e32 v0, s4, v0
	s_delay_alu instid0(VALU_DEP_1) | instskip(NEXT) | instid1(VALU_DEP_1)
	v_mul_u64_e32 v[0:1], 24, v[0:1]
	v_add_nc_u64_e32 v[12:13], v[24:25], v[0:1]
	global_store_b64 v[12:13], v[16:17], off
	global_wb scope:SCOPE_SYS
	s_wait_storecnt 0x0
	s_wait_xcnt 0x0
	global_atomic_cmpswap_b64 v[2:3], v31, v[14:17], s[2:3] offset:32 th:TH_ATOMIC_RETURN scope:SCOPE_SYS
	s_wait_loadcnt 0x0
	v_cmpx_ne_u64_e64 v[2:3], v[16:17]
	s_cbranch_execz .LBB34_99
; %bb.97:                               ;   in Loop: Header=BB34_31 Depth=1
	s_mov_b32 s11, 0
.LBB34_98:                              ;   Parent Loop BB34_31 Depth=1
                                        ; =>  This Inner Loop Header: Depth=2
	v_dual_mov_b32 v0, s4 :: v_dual_mov_b32 v1, s5
	s_sleep 1
	global_store_b64 v[12:13], v[2:3], off
	global_wb scope:SCOPE_SYS
	s_wait_storecnt 0x0
	s_wait_xcnt 0x0
	global_atomic_cmpswap_b64 v[0:1], v31, v[0:3], s[2:3] offset:32 th:TH_ATOMIC_RETURN scope:SCOPE_SYS
	s_wait_loadcnt 0x0
	v_cmp_eq_u64_e32 vcc_lo, v[0:1], v[2:3]
	v_mov_b64_e32 v[2:3], v[0:1]
	s_or_b32 s11, vcc_lo, s11
	s_delay_alu instid0(SALU_CYCLE_1)
	s_and_not1_b32 exec_lo, exec_lo, s11
	s_cbranch_execnz .LBB34_98
.LBB34_99:                              ;   in Loop: Header=BB34_31 Depth=1
	s_or_b32 exec_lo, exec_lo, s10
	global_load_b64 v[0:1], v31, s[2:3] offset:16
	s_mov_b32 s11, exec_lo
	s_mov_b32 s10, exec_lo
	v_mbcnt_lo_u32_b32 v2, s11, 0
	s_wait_xcnt 0x0
	s_delay_alu instid0(VALU_DEP_1)
	v_cmpx_eq_u32_e32 0, v2
	s_cbranch_execz .LBB34_101
; %bb.100:                              ;   in Loop: Header=BB34_31 Depth=1
	s_bcnt1_i32_b32 s11, s11
	s_delay_alu instid0(SALU_CYCLE_1)
	v_dual_mov_b32 v3, v31 :: v_dual_mov_b32 v2, s11
	global_wb scope:SCOPE_SYS
	s_wait_loadcnt 0x0
	s_wait_storecnt 0x0
	global_atomic_add_u64 v[0:1], v[2:3], off offset:8 scope:SCOPE_SYS
.LBB34_101:                             ;   in Loop: Header=BB34_31 Depth=1
	s_wait_xcnt 0x0
	s_or_b32 exec_lo, exec_lo, s10
	s_wait_loadcnt 0x0
	global_load_b64 v[2:3], v[0:1], off offset:16
	s_wait_loadcnt 0x0
	v_cmp_eq_u64_e32 vcc_lo, 0, v[2:3]
	s_cbranch_vccnz .LBB34_103
; %bb.102:                              ;   in Loop: Header=BB34_31 Depth=1
	global_load_b32 v0, v[0:1], off offset:24
	s_wait_xcnt 0x0
	v_mov_b32_e32 v1, v31
	s_wait_loadcnt 0x0
	v_readfirstlane_b32 s10, v0
	global_wb scope:SCOPE_SYS
	s_wait_storecnt 0x0
	global_store_b64 v[2:3], v[0:1], off scope:SCOPE_SYS
	s_and_b32 m0, s10, 0xffffff
	s_sendmsg sendmsg(MSG_INTERRUPT)
.LBB34_103:                             ;   in Loop: Header=BB34_31 Depth=1
	s_wait_xcnt 0x0
	s_or_b32 exec_lo, exec_lo, s1
	v_add_nc_u64_e32 v[0:1], v[8:9], v[30:31]
	s_branch .LBB34_107
.LBB34_104:                             ;   in Loop: Header=BB34_107 Depth=2
	s_wait_xcnt 0x0
	s_or_b32 exec_lo, exec_lo, s1
	s_delay_alu instid0(VALU_DEP_1)
	v_readfirstlane_b32 s1, v2
	s_cmp_eq_u32 s1, 0
	s_cbranch_scc1 .LBB34_106
; %bb.105:                              ;   in Loop: Header=BB34_107 Depth=2
	s_sleep 1
	s_cbranch_execnz .LBB34_107
	s_branch .LBB34_109
.LBB34_106:                             ;   in Loop: Header=BB34_31 Depth=1
	s_branch .LBB34_109
.LBB34_107:                             ;   Parent Loop BB34_31 Depth=1
                                        ; =>  This Inner Loop Header: Depth=2
	v_mov_b32_e32 v2, 1
	s_and_saveexec_b32 s1, s0
	s_cbranch_execz .LBB34_104
; %bb.108:                              ;   in Loop: Header=BB34_107 Depth=2
	global_load_b32 v2, v[36:37], off offset:20 scope:SCOPE_SYS
	s_wait_loadcnt 0x0
	global_inv scope:SCOPE_SYS
	v_and_b32_e32 v2, 1, v2
	s_branch .LBB34_104
.LBB34_109:                             ;   in Loop: Header=BB34_31 Depth=1
	global_load_b64 v[0:1], v[0:1], off
	s_wait_xcnt 0x0
	s_and_saveexec_b32 s10, s0
	s_cbranch_execz .LBB34_30
; %bb.110:                              ;   in Loop: Header=BB34_31 Depth=1
	s_clause 0x2
	global_load_b64 v[2:3], v31, s[2:3] offset:40
	global_load_b64 v[16:17], v31, s[2:3] offset:24 scope:SCOPE_SYS
	global_load_b64 v[8:9], v31, s[2:3]
	s_wait_loadcnt 0x2
	v_readfirstlane_b32 s12, v2
	v_readfirstlane_b32 s13, v3
	s_add_nc_u64 s[0:1], s[12:13], 1
	s_delay_alu instid0(SALU_CYCLE_1) | instskip(NEXT) | instid1(SALU_CYCLE_1)
	s_add_nc_u64 s[4:5], s[0:1], s[4:5]
	s_cmp_eq_u64 s[4:5], 0
	s_cselect_b32 s1, s1, s5
	s_cselect_b32 s0, s0, s4
	s_delay_alu instid0(SALU_CYCLE_1) | instskip(SKIP_1) | instid1(SALU_CYCLE_1)
	v_dual_mov_b32 v15, s1 :: v_dual_mov_b32 v14, s0
	s_and_b64 s[4:5], s[0:1], s[12:13]
	s_mul_u64 s[4:5], s[4:5], 24
	s_wait_loadcnt 0x0
	v_add_nc_u64_e32 v[2:3], s[4:5], v[8:9]
	global_store_b64 v[2:3], v[16:17], off
	global_wb scope:SCOPE_SYS
	s_wait_storecnt 0x0
	s_wait_xcnt 0x0
	global_atomic_cmpswap_b64 v[14:15], v31, v[14:17], s[2:3] offset:24 th:TH_ATOMIC_RETURN scope:SCOPE_SYS
	s_wait_loadcnt 0x0
	v_cmp_ne_u64_e32 vcc_lo, v[14:15], v[16:17]
	s_and_b32 exec_lo, exec_lo, vcc_lo
	s_cbranch_execz .LBB34_30
; %bb.111:                              ;   in Loop: Header=BB34_31 Depth=1
	s_mov_b32 s4, 0
.LBB34_112:                             ;   Parent Loop BB34_31 Depth=1
                                        ; =>  This Inner Loop Header: Depth=2
	v_dual_mov_b32 v12, s0 :: v_dual_mov_b32 v13, s1
	s_sleep 1
	global_store_b64 v[2:3], v[14:15], off
	global_wb scope:SCOPE_SYS
	s_wait_storecnt 0x0
	s_wait_xcnt 0x0
	global_atomic_cmpswap_b64 v[8:9], v31, v[12:15], s[2:3] offset:24 th:TH_ATOMIC_RETURN scope:SCOPE_SYS
	s_wait_loadcnt 0x0
	v_cmp_eq_u64_e32 vcc_lo, v[8:9], v[14:15]
	v_mov_b64_e32 v[14:15], v[8:9]
	s_or_b32 s4, vcc_lo, s4
	s_delay_alu instid0(SALU_CYCLE_1)
	s_and_not1_b32 exec_lo, exec_lo, s4
	s_cbranch_execnz .LBB34_112
	s_branch .LBB34_30
.LBB34_113:
                                        ; implicit-def: $vgpr0_vgpr1
	s_cbranch_execnz .LBB34_193
.LBB34_114:
	s_get_pc_i64 s[4:5]
	s_add_nc_u64 s[4:5], s[4:5], .str.6@rel64+4
	s_delay_alu instid0(SALU_CYCLE_1)
	s_cmp_lg_u64 s[4:5], 0
	s_cbranch_scc0 .LBB34_221
.LBB34_115:
	v_mov_b64_e32 v[12:13], 0x100000002
	s_get_pc_i64 s[0:1]
	s_add_nc_u64 s[0:1], s[0:1], .str.6@rel64+95
	s_wait_loadcnt 0x0
	v_dual_mov_b32 v11, 0 :: v_dual_bitop2_b32 v2, 2, v0 bitop3:0x40
	v_dual_mov_b32 v7, v1 :: v_dual_bitop2_b32 v6, -3, v0 bitop3:0x40
	s_sub_co_i32 s6, s0, s4
	s_delay_alu instid0(SALU_CYCLE_1)
	s_ashr_i32 s7, s6, 31
	s_branch .LBB34_117
.LBB34_116:                             ;   in Loop: Header=BB34_117 Depth=1
	s_or_b32 exec_lo, exec_lo, s14
	s_sub_nc_u64 s[6:7], s[6:7], s[10:11]
	s_add_nc_u64 s[4:5], s[4:5], s[10:11]
	s_cmp_lg_u64 s[6:7], 0
	s_cbranch_scc0 .LBB34_215
.LBB34_117:                             ; =>This Loop Header: Depth=1
                                        ;     Child Loop BB34_120 Depth 2
                                        ;     Child Loop BB34_127 Depth 2
	;; [unrolled: 1-line block ×11, first 2 shown]
	v_min_u64 v[8:9], s[6:7], 56
	v_cmp_gt_u64_e64 s0, s[6:7], 7
	s_and_b32 vcc_lo, exec_lo, s0
	v_readfirstlane_b32 s10, v8
	v_readfirstlane_b32 s11, v9
	s_cbranch_vccnz .LBB34_122
; %bb.118:                              ;   in Loop: Header=BB34_117 Depth=1
	v_mov_b64_e32 v[8:9], 0
	s_cmp_eq_u64 s[6:7], 0
	s_cbranch_scc1 .LBB34_121
; %bb.119:                              ;   in Loop: Header=BB34_117 Depth=1
	s_mov_b64 s[0:1], 0
	s_mov_b64 s[12:13], 0
.LBB34_120:                             ;   Parent Loop BB34_117 Depth=1
                                        ; =>  This Inner Loop Header: Depth=2
	s_wait_xcnt 0x0
	s_add_nc_u64 s[14:15], s[4:5], s[12:13]
	s_add_nc_u64 s[12:13], s[12:13], 1
	global_load_u8 v3, v11, s[14:15]
	s_cmp_lg_u32 s10, s12
	s_wait_loadcnt 0x0
	v_and_b32_e32 v10, 0xffff, v3
	s_delay_alu instid0(VALU_DEP_1) | instskip(SKIP_1) | instid1(VALU_DEP_1)
	v_lshlrev_b64_e32 v[14:15], s0, v[10:11]
	s_add_nc_u64 s[0:1], s[0:1], 8
	v_or_b32_e32 v8, v14, v8
	s_delay_alu instid0(VALU_DEP_2)
	v_or_b32_e32 v9, v15, v9
	s_cbranch_scc1 .LBB34_120
.LBB34_121:                             ;   in Loop: Header=BB34_117 Depth=1
	s_mov_b64 s[12:13], s[4:5]
	s_mov_b32 s16, 0
	s_cbranch_execz .LBB34_123
	s_branch .LBB34_124
.LBB34_122:                             ;   in Loop: Header=BB34_117 Depth=1
	s_add_nc_u64 s[12:13], s[4:5], 8
	s_mov_b32 s16, 0
.LBB34_123:                             ;   in Loop: Header=BB34_117 Depth=1
	global_load_b64 v[8:9], v11, s[4:5]
	s_add_co_i32 s16, s10, -8
.LBB34_124:                             ;   in Loop: Header=BB34_117 Depth=1
	s_delay_alu instid0(SALU_CYCLE_1)
	s_cmp_gt_u32 s16, 7
	s_cbranch_scc1 .LBB34_129
; %bb.125:                              ;   in Loop: Header=BB34_117 Depth=1
	v_mov_b64_e32 v[14:15], 0
	s_cmp_eq_u32 s16, 0
	s_cbranch_scc1 .LBB34_128
; %bb.126:                              ;   in Loop: Header=BB34_117 Depth=1
	s_mov_b64 s[0:1], 0
	s_wait_xcnt 0x0
	s_mov_b64 s[14:15], 0
.LBB34_127:                             ;   Parent Loop BB34_117 Depth=1
                                        ; =>  This Inner Loop Header: Depth=2
	s_wait_xcnt 0x0
	s_add_nc_u64 s[18:19], s[12:13], s[14:15]
	s_add_nc_u64 s[14:15], s[14:15], 1
	global_load_u8 v3, v11, s[18:19]
	s_cmp_lg_u32 s16, s14
	s_wait_loadcnt 0x0
	v_and_b32_e32 v10, 0xffff, v3
	s_delay_alu instid0(VALU_DEP_1) | instskip(SKIP_1) | instid1(VALU_DEP_1)
	v_lshlrev_b64_e32 v[16:17], s0, v[10:11]
	s_add_nc_u64 s[0:1], s[0:1], 8
	v_or_b32_e32 v14, v16, v14
	s_delay_alu instid0(VALU_DEP_2)
	v_or_b32_e32 v15, v17, v15
	s_cbranch_scc1 .LBB34_127
.LBB34_128:                             ;   in Loop: Header=BB34_117 Depth=1
	s_wait_xcnt 0x0
	s_mov_b64 s[0:1], s[12:13]
	s_mov_b32 s17, 0
	s_cbranch_execz .LBB34_130
	s_branch .LBB34_131
.LBB34_129:                             ;   in Loop: Header=BB34_117 Depth=1
	s_add_nc_u64 s[0:1], s[12:13], 8
	s_wait_xcnt 0x0
                                        ; implicit-def: $vgpr14_vgpr15
	s_mov_b32 s17, 0
.LBB34_130:                             ;   in Loop: Header=BB34_117 Depth=1
	global_load_b64 v[14:15], v11, s[12:13]
	s_add_co_i32 s17, s16, -8
.LBB34_131:                             ;   in Loop: Header=BB34_117 Depth=1
	s_delay_alu instid0(SALU_CYCLE_1)
	s_cmp_gt_u32 s17, 7
	s_cbranch_scc1 .LBB34_136
; %bb.132:                              ;   in Loop: Header=BB34_117 Depth=1
	v_mov_b64_e32 v[16:17], 0
	s_cmp_eq_u32 s17, 0
	s_cbranch_scc1 .LBB34_135
; %bb.133:                              ;   in Loop: Header=BB34_117 Depth=1
	s_wait_xcnt 0x0
	s_mov_b64 s[12:13], 0
	s_mov_b64 s[14:15], 0
.LBB34_134:                             ;   Parent Loop BB34_117 Depth=1
                                        ; =>  This Inner Loop Header: Depth=2
	s_wait_xcnt 0x0
	s_add_nc_u64 s[18:19], s[0:1], s[14:15]
	s_add_nc_u64 s[14:15], s[14:15], 1
	global_load_u8 v3, v11, s[18:19]
	s_cmp_lg_u32 s17, s14
	s_wait_loadcnt 0x0
	v_and_b32_e32 v10, 0xffff, v3
	s_delay_alu instid0(VALU_DEP_1) | instskip(SKIP_1) | instid1(VALU_DEP_1)
	v_lshlrev_b64_e32 v[18:19], s12, v[10:11]
	s_add_nc_u64 s[12:13], s[12:13], 8
	v_or_b32_e32 v16, v18, v16
	s_delay_alu instid0(VALU_DEP_2)
	v_or_b32_e32 v17, v19, v17
	s_cbranch_scc1 .LBB34_134
.LBB34_135:                             ;   in Loop: Header=BB34_117 Depth=1
	s_wait_xcnt 0x0
	s_mov_b64 s[12:13], s[0:1]
	s_mov_b32 s16, 0
	s_cbranch_execz .LBB34_137
	s_branch .LBB34_138
.LBB34_136:                             ;   in Loop: Header=BB34_117 Depth=1
	s_wait_xcnt 0x0
	s_add_nc_u64 s[12:13], s[0:1], 8
	s_mov_b32 s16, 0
.LBB34_137:                             ;   in Loop: Header=BB34_117 Depth=1
	global_load_b64 v[16:17], v11, s[0:1]
	s_add_co_i32 s16, s17, -8
.LBB34_138:                             ;   in Loop: Header=BB34_117 Depth=1
	s_delay_alu instid0(SALU_CYCLE_1)
	s_cmp_gt_u32 s16, 7
	s_cbranch_scc1 .LBB34_143
; %bb.139:                              ;   in Loop: Header=BB34_117 Depth=1
	v_mov_b64_e32 v[18:19], 0
	s_cmp_eq_u32 s16, 0
	s_cbranch_scc1 .LBB34_142
; %bb.140:                              ;   in Loop: Header=BB34_117 Depth=1
	s_wait_xcnt 0x0
	s_mov_b64 s[0:1], 0
	s_mov_b64 s[14:15], 0
.LBB34_141:                             ;   Parent Loop BB34_117 Depth=1
                                        ; =>  This Inner Loop Header: Depth=2
	s_wait_xcnt 0x0
	s_add_nc_u64 s[18:19], s[12:13], s[14:15]
	s_add_nc_u64 s[14:15], s[14:15], 1
	global_load_u8 v3, v11, s[18:19]
	s_cmp_lg_u32 s16, s14
	s_wait_loadcnt 0x0
	v_and_b32_e32 v10, 0xffff, v3
	s_delay_alu instid0(VALU_DEP_1) | instskip(SKIP_1) | instid1(VALU_DEP_1)
	v_lshlrev_b64_e32 v[20:21], s0, v[10:11]
	s_add_nc_u64 s[0:1], s[0:1], 8
	v_or_b32_e32 v18, v20, v18
	s_delay_alu instid0(VALU_DEP_2)
	v_or_b32_e32 v19, v21, v19
	s_cbranch_scc1 .LBB34_141
.LBB34_142:                             ;   in Loop: Header=BB34_117 Depth=1
	s_wait_xcnt 0x0
	s_mov_b64 s[0:1], s[12:13]
	s_mov_b32 s17, 0
	s_cbranch_execz .LBB34_144
	s_branch .LBB34_145
.LBB34_143:                             ;   in Loop: Header=BB34_117 Depth=1
	s_wait_xcnt 0x0
	s_add_nc_u64 s[0:1], s[12:13], 8
                                        ; implicit-def: $vgpr18_vgpr19
	s_mov_b32 s17, 0
.LBB34_144:                             ;   in Loop: Header=BB34_117 Depth=1
	global_load_b64 v[18:19], v11, s[12:13]
	s_add_co_i32 s17, s16, -8
.LBB34_145:                             ;   in Loop: Header=BB34_117 Depth=1
	s_delay_alu instid0(SALU_CYCLE_1)
	s_cmp_gt_u32 s17, 7
	s_cbranch_scc1 .LBB34_150
; %bb.146:                              ;   in Loop: Header=BB34_117 Depth=1
	v_mov_b64_e32 v[20:21], 0
	s_cmp_eq_u32 s17, 0
	s_cbranch_scc1 .LBB34_149
; %bb.147:                              ;   in Loop: Header=BB34_117 Depth=1
	s_wait_xcnt 0x0
	s_mov_b64 s[12:13], 0
	s_mov_b64 s[14:15], 0
.LBB34_148:                             ;   Parent Loop BB34_117 Depth=1
                                        ; =>  This Inner Loop Header: Depth=2
	s_wait_xcnt 0x0
	s_add_nc_u64 s[18:19], s[0:1], s[14:15]
	s_add_nc_u64 s[14:15], s[14:15], 1
	global_load_u8 v3, v11, s[18:19]
	s_cmp_lg_u32 s17, s14
	s_wait_loadcnt 0x0
	v_and_b32_e32 v10, 0xffff, v3
	s_delay_alu instid0(VALU_DEP_1) | instskip(SKIP_1) | instid1(VALU_DEP_1)
	v_lshlrev_b64_e32 v[22:23], s12, v[10:11]
	s_add_nc_u64 s[12:13], s[12:13], 8
	v_or_b32_e32 v20, v22, v20
	s_delay_alu instid0(VALU_DEP_2)
	v_or_b32_e32 v21, v23, v21
	s_cbranch_scc1 .LBB34_148
.LBB34_149:                             ;   in Loop: Header=BB34_117 Depth=1
	s_wait_xcnt 0x0
	s_mov_b64 s[12:13], s[0:1]
	s_mov_b32 s16, 0
	s_cbranch_execz .LBB34_151
	s_branch .LBB34_152
.LBB34_150:                             ;   in Loop: Header=BB34_117 Depth=1
	s_wait_xcnt 0x0
	s_add_nc_u64 s[12:13], s[0:1], 8
	s_mov_b32 s16, 0
.LBB34_151:                             ;   in Loop: Header=BB34_117 Depth=1
	global_load_b64 v[20:21], v11, s[0:1]
	s_add_co_i32 s16, s17, -8
.LBB34_152:                             ;   in Loop: Header=BB34_117 Depth=1
	s_delay_alu instid0(SALU_CYCLE_1)
	s_cmp_gt_u32 s16, 7
	s_cbranch_scc1 .LBB34_157
; %bb.153:                              ;   in Loop: Header=BB34_117 Depth=1
	v_mov_b64_e32 v[22:23], 0
	s_cmp_eq_u32 s16, 0
	s_cbranch_scc1 .LBB34_156
; %bb.154:                              ;   in Loop: Header=BB34_117 Depth=1
	s_wait_xcnt 0x0
	s_mov_b64 s[0:1], 0
	s_mov_b64 s[14:15], 0
.LBB34_155:                             ;   Parent Loop BB34_117 Depth=1
                                        ; =>  This Inner Loop Header: Depth=2
	s_wait_xcnt 0x0
	s_add_nc_u64 s[18:19], s[12:13], s[14:15]
	s_add_nc_u64 s[14:15], s[14:15], 1
	global_load_u8 v3, v11, s[18:19]
	s_cmp_lg_u32 s16, s14
	s_wait_loadcnt 0x0
	v_and_b32_e32 v10, 0xffff, v3
	s_delay_alu instid0(VALU_DEP_1) | instskip(SKIP_1) | instid1(VALU_DEP_1)
	v_lshlrev_b64_e32 v[24:25], s0, v[10:11]
	s_add_nc_u64 s[0:1], s[0:1], 8
	v_or_b32_e32 v22, v24, v22
	s_delay_alu instid0(VALU_DEP_2)
	v_or_b32_e32 v23, v25, v23
	s_cbranch_scc1 .LBB34_155
.LBB34_156:                             ;   in Loop: Header=BB34_117 Depth=1
	s_wait_xcnt 0x0
	s_mov_b64 s[0:1], s[12:13]
	s_mov_b32 s17, 0
	s_cbranch_execz .LBB34_158
	s_branch .LBB34_159
.LBB34_157:                             ;   in Loop: Header=BB34_117 Depth=1
	s_wait_xcnt 0x0
	s_add_nc_u64 s[0:1], s[12:13], 8
                                        ; implicit-def: $vgpr22_vgpr23
	s_mov_b32 s17, 0
.LBB34_158:                             ;   in Loop: Header=BB34_117 Depth=1
	global_load_b64 v[22:23], v11, s[12:13]
	s_add_co_i32 s17, s16, -8
.LBB34_159:                             ;   in Loop: Header=BB34_117 Depth=1
	s_delay_alu instid0(SALU_CYCLE_1)
	s_cmp_gt_u32 s17, 7
	s_cbranch_scc1 .LBB34_164
; %bb.160:                              ;   in Loop: Header=BB34_117 Depth=1
	v_mov_b64_e32 v[24:25], 0
	s_cmp_eq_u32 s17, 0
	s_cbranch_scc1 .LBB34_163
; %bb.161:                              ;   in Loop: Header=BB34_117 Depth=1
	s_wait_xcnt 0x0
	s_mov_b64 s[12:13], 0
	s_mov_b64 s[14:15], s[0:1]
.LBB34_162:                             ;   Parent Loop BB34_117 Depth=1
                                        ; =>  This Inner Loop Header: Depth=2
	global_load_u8 v3, v11, s[14:15]
	s_add_co_i32 s17, s17, -1
	s_wait_xcnt 0x0
	s_add_nc_u64 s[14:15], s[14:15], 1
	s_cmp_lg_u32 s17, 0
	s_wait_loadcnt 0x0
	v_and_b32_e32 v10, 0xffff, v3
	s_delay_alu instid0(VALU_DEP_1) | instskip(SKIP_1) | instid1(VALU_DEP_1)
	v_lshlrev_b64_e32 v[26:27], s12, v[10:11]
	s_add_nc_u64 s[12:13], s[12:13], 8
	v_or_b32_e32 v24, v26, v24
	s_delay_alu instid0(VALU_DEP_2)
	v_or_b32_e32 v25, v27, v25
	s_cbranch_scc1 .LBB34_162
.LBB34_163:                             ;   in Loop: Header=BB34_117 Depth=1
	s_wait_xcnt 0x0
	s_cbranch_execz .LBB34_165
	s_branch .LBB34_166
.LBB34_164:                             ;   in Loop: Header=BB34_117 Depth=1
	s_wait_xcnt 0x0
.LBB34_165:                             ;   in Loop: Header=BB34_117 Depth=1
	global_load_b64 v[24:25], v11, s[0:1]
.LBB34_166:                             ;   in Loop: Header=BB34_117 Depth=1
	s_wait_xcnt 0x0
	v_readfirstlane_b32 s0, v48
	v_mov_b64_e32 v[32:33], 0
	s_delay_alu instid0(VALU_DEP_2)
	v_cmp_eq_u32_e64 s0, s0, v48
	s_and_saveexec_b32 s1, s0
	s_cbranch_execz .LBB34_172
; %bb.167:                              ;   in Loop: Header=BB34_117 Depth=1
	global_load_b64 v[28:29], v11, s[2:3] offset:24 scope:SCOPE_SYS
	s_wait_loadcnt 0x0
	global_inv scope:SCOPE_SYS
	s_clause 0x1
	global_load_b64 v[26:27], v11, s[2:3] offset:40
	global_load_b64 v[32:33], v11, s[2:3]
	s_mov_b32 s12, exec_lo
	s_wait_loadcnt 0x1
	v_and_b32_e32 v26, v26, v28
	v_and_b32_e32 v27, v27, v29
	s_delay_alu instid0(VALU_DEP_1) | instskip(SKIP_1) | instid1(VALU_DEP_1)
	v_mul_u64_e32 v[26:27], 24, v[26:27]
	s_wait_loadcnt 0x0
	v_add_nc_u64_e32 v[26:27], v[32:33], v[26:27]
	global_load_b64 v[26:27], v[26:27], off scope:SCOPE_SYS
	s_wait_xcnt 0x0
	s_wait_loadcnt 0x0
	global_atomic_cmpswap_b64 v[32:33], v11, v[26:29], s[2:3] offset:24 th:TH_ATOMIC_RETURN scope:SCOPE_SYS
	s_wait_loadcnt 0x0
	global_inv scope:SCOPE_SYS
	s_wait_xcnt 0x0
	v_cmpx_ne_u64_e64 v[32:33], v[28:29]
	s_cbranch_execz .LBB34_171
; %bb.168:                              ;   in Loop: Header=BB34_117 Depth=1
	s_mov_b32 s13, 0
.LBB34_169:                             ;   Parent Loop BB34_117 Depth=1
                                        ; =>  This Inner Loop Header: Depth=2
	s_sleep 1
	s_clause 0x1
	global_load_b64 v[26:27], v11, s[2:3] offset:40
	global_load_b64 v[34:35], v11, s[2:3]
	v_mov_b64_e32 v[28:29], v[32:33]
	s_wait_loadcnt 0x1
	s_delay_alu instid0(VALU_DEP_1) | instskip(SKIP_1) | instid1(VALU_DEP_1)
	v_and_b32_e32 v3, v26, v28
	s_wait_loadcnt 0x0
	v_mad_nc_u64_u32 v[32:33], v3, 24, v[34:35]
	s_delay_alu instid0(VALU_DEP_3) | instskip(NEXT) | instid1(VALU_DEP_1)
	v_and_b32_e32 v3, v27, v29
	v_mad_u32 v33, v3, 24, v33
	global_load_b64 v[26:27], v[32:33], off scope:SCOPE_SYS
	s_wait_xcnt 0x0
	s_wait_loadcnt 0x0
	global_atomic_cmpswap_b64 v[32:33], v11, v[26:29], s[2:3] offset:24 th:TH_ATOMIC_RETURN scope:SCOPE_SYS
	s_wait_loadcnt 0x0
	global_inv scope:SCOPE_SYS
	v_cmp_eq_u64_e32 vcc_lo, v[32:33], v[28:29]
	s_or_b32 s13, vcc_lo, s13
	s_wait_xcnt 0x0
	s_and_not1_b32 exec_lo, exec_lo, s13
	s_cbranch_execnz .LBB34_169
; %bb.170:                              ;   in Loop: Header=BB34_117 Depth=1
	s_or_b32 exec_lo, exec_lo, s13
.LBB34_171:                             ;   in Loop: Header=BB34_117 Depth=1
	s_delay_alu instid0(SALU_CYCLE_1)
	s_or_b32 exec_lo, exec_lo, s12
.LBB34_172:                             ;   in Loop: Header=BB34_117 Depth=1
	s_delay_alu instid0(SALU_CYCLE_1)
	s_or_b32 exec_lo, exec_lo, s1
	s_clause 0x1
	global_load_b64 v[34:35], v11, s[2:3] offset:40
	global_load_b128 v[26:29], v11, s[2:3]
	v_readfirstlane_b32 s12, v32
	v_readfirstlane_b32 s13, v33
	s_mov_b32 s1, exec_lo
	s_wait_loadcnt 0x1
	v_and_b32_e32 v34, s12, v34
	v_and_b32_e32 v35, s13, v35
	s_delay_alu instid0(VALU_DEP_1) | instskip(SKIP_1) | instid1(VALU_DEP_1)
	v_mul_u64_e32 v[32:33], 24, v[34:35]
	s_wait_loadcnt 0x0
	v_add_nc_u64_e32 v[32:33], v[26:27], v[32:33]
	s_wait_xcnt 0x0
	s_and_saveexec_b32 s14, s0
	s_cbranch_execz .LBB34_174
; %bb.173:                              ;   in Loop: Header=BB34_117 Depth=1
	v_mov_b32_e32 v10, s1
	global_store_b128 v[32:33], v[10:13], off offset:8
.LBB34_174:                             ;   in Loop: Header=BB34_117 Depth=1
	s_wait_xcnt 0x0
	s_or_b32 exec_lo, exec_lo, s14
	v_cmp_lt_u64_e64 vcc_lo, s[6:7], 57
	v_lshlrev_b64_e32 v[34:35], 12, v[34:35]
	v_and_b32_e32 v6, 0xffffff1f, v6
	s_lshl_b32 s1, s10, 2
	s_delay_alu instid0(SALU_CYCLE_1) | instskip(SKIP_1) | instid1(VALU_DEP_3)
	s_add_co_i32 s1, s1, 28
	v_cndmask_b32_e32 v3, 0, v2, vcc_lo
	v_add_nc_u64_e32 v[28:29], v[28:29], v[34:35]
	s_delay_alu instid0(VALU_DEP_2) | instskip(NEXT) | instid1(VALU_DEP_2)
	v_or_b32_e32 v3, v6, v3
	v_readfirstlane_b32 s14, v28
	s_delay_alu instid0(VALU_DEP_3) | instskip(NEXT) | instid1(VALU_DEP_3)
	v_readfirstlane_b32 s15, v29
	v_and_or_b32 v6, 0x1e0, s1, v3
	s_clause 0x3
	global_store_b128 v30, v[6:9], s[14:15]
	global_store_b128 v30, v[14:17], s[14:15] offset:16
	global_store_b128 v30, v[18:21], s[14:15] offset:32
	;; [unrolled: 1-line block ×3, first 2 shown]
	s_wait_xcnt 0x0
	s_and_saveexec_b32 s1, s0
	s_cbranch_execz .LBB34_182
; %bb.175:                              ;   in Loop: Header=BB34_117 Depth=1
	s_clause 0x1
	global_load_b64 v[18:19], v11, s[2:3] offset:32 scope:SCOPE_SYS
	global_load_b64 v[6:7], v11, s[2:3] offset:40
	s_mov_b32 s14, exec_lo
	v_dual_mov_b32 v16, s12 :: v_dual_mov_b32 v17, s13
	s_wait_loadcnt 0x0
	v_and_b32_e32 v7, s13, v7
	v_and_b32_e32 v6, s12, v6
	s_delay_alu instid0(VALU_DEP_1) | instskip(NEXT) | instid1(VALU_DEP_1)
	v_mul_u64_e32 v[6:7], 24, v[6:7]
	v_add_nc_u64_e32 v[14:15], v[26:27], v[6:7]
	global_store_b64 v[14:15], v[18:19], off
	global_wb scope:SCOPE_SYS
	s_wait_storecnt 0x0
	s_wait_xcnt 0x0
	global_atomic_cmpswap_b64 v[8:9], v11, v[16:19], s[2:3] offset:32 th:TH_ATOMIC_RETURN scope:SCOPE_SYS
	s_wait_loadcnt 0x0
	v_cmpx_ne_u64_e64 v[8:9], v[18:19]
	s_cbranch_execz .LBB34_178
; %bb.176:                              ;   in Loop: Header=BB34_117 Depth=1
	s_mov_b32 s15, 0
.LBB34_177:                             ;   Parent Loop BB34_117 Depth=1
                                        ; =>  This Inner Loop Header: Depth=2
	v_dual_mov_b32 v6, s12 :: v_dual_mov_b32 v7, s13
	s_sleep 1
	global_store_b64 v[14:15], v[8:9], off
	global_wb scope:SCOPE_SYS
	s_wait_storecnt 0x0
	s_wait_xcnt 0x0
	global_atomic_cmpswap_b64 v[6:7], v11, v[6:9], s[2:3] offset:32 th:TH_ATOMIC_RETURN scope:SCOPE_SYS
	s_wait_loadcnt 0x0
	v_cmp_eq_u64_e32 vcc_lo, v[6:7], v[8:9]
	v_mov_b64_e32 v[8:9], v[6:7]
	s_or_b32 s15, vcc_lo, s15
	s_delay_alu instid0(SALU_CYCLE_1)
	s_and_not1_b32 exec_lo, exec_lo, s15
	s_cbranch_execnz .LBB34_177
.LBB34_178:                             ;   in Loop: Header=BB34_117 Depth=1
	s_or_b32 exec_lo, exec_lo, s14
	global_load_b64 v[6:7], v11, s[2:3] offset:16
	s_mov_b32 s15, exec_lo
	s_mov_b32 s14, exec_lo
	v_mbcnt_lo_u32_b32 v3, s15, 0
	s_wait_xcnt 0x0
	s_delay_alu instid0(VALU_DEP_1)
	v_cmpx_eq_u32_e32 0, v3
	s_cbranch_execz .LBB34_180
; %bb.179:                              ;   in Loop: Header=BB34_117 Depth=1
	s_bcnt1_i32_b32 s15, s15
	s_delay_alu instid0(SALU_CYCLE_1)
	v_mov_b32_e32 v10, s15
	global_wb scope:SCOPE_SYS
	s_wait_loadcnt 0x0
	s_wait_storecnt 0x0
	global_atomic_add_u64 v[6:7], v[10:11], off offset:8 scope:SCOPE_SYS
.LBB34_180:                             ;   in Loop: Header=BB34_117 Depth=1
	s_wait_xcnt 0x0
	s_or_b32 exec_lo, exec_lo, s14
	s_wait_loadcnt 0x0
	global_load_b64 v[8:9], v[6:7], off offset:16
	s_wait_loadcnt 0x0
	v_cmp_eq_u64_e32 vcc_lo, 0, v[8:9]
	s_cbranch_vccnz .LBB34_182
; %bb.181:                              ;   in Loop: Header=BB34_117 Depth=1
	global_load_b32 v10, v[6:7], off offset:24
	s_wait_loadcnt 0x0
	v_readfirstlane_b32 s14, v10
	global_wb scope:SCOPE_SYS
	s_wait_storecnt 0x0
	s_wait_xcnt 0x0
	global_store_b64 v[8:9], v[10:11], off scope:SCOPE_SYS
	s_and_b32 m0, s14, 0xffffff
	s_sendmsg sendmsg(MSG_INTERRUPT)
.LBB34_182:                             ;   in Loop: Header=BB34_117 Depth=1
	s_wait_xcnt 0x0
	s_or_b32 exec_lo, exec_lo, s1
	v_mov_b32_e32 v31, v11
	s_delay_alu instid0(VALU_DEP_1)
	v_add_nc_u64_e32 v[6:7], v[28:29], v[30:31]
	s_branch .LBB34_186
.LBB34_183:                             ;   in Loop: Header=BB34_186 Depth=2
	s_wait_xcnt 0x0
	s_or_b32 exec_lo, exec_lo, s1
	s_delay_alu instid0(VALU_DEP_1)
	v_readfirstlane_b32 s1, v3
	s_cmp_eq_u32 s1, 0
	s_cbranch_scc1 .LBB34_185
; %bb.184:                              ;   in Loop: Header=BB34_186 Depth=2
	s_sleep 1
	s_cbranch_execnz .LBB34_186
	s_branch .LBB34_188
.LBB34_185:                             ;   in Loop: Header=BB34_117 Depth=1
	s_branch .LBB34_188
.LBB34_186:                             ;   Parent Loop BB34_117 Depth=1
                                        ; =>  This Inner Loop Header: Depth=2
	v_mov_b32_e32 v3, 1
	s_and_saveexec_b32 s1, s0
	s_cbranch_execz .LBB34_183
; %bb.187:                              ;   in Loop: Header=BB34_186 Depth=2
	global_load_b32 v3, v[32:33], off offset:20 scope:SCOPE_SYS
	s_wait_loadcnt 0x0
	global_inv scope:SCOPE_SYS
	v_and_b32_e32 v3, 1, v3
	s_branch .LBB34_183
.LBB34_188:                             ;   in Loop: Header=BB34_117 Depth=1
	global_load_b64 v[6:7], v[6:7], off
	s_wait_xcnt 0x0
	s_and_saveexec_b32 s14, s0
	s_cbranch_execz .LBB34_116
; %bb.189:                              ;   in Loop: Header=BB34_117 Depth=1
	s_clause 0x2
	global_load_b64 v[8:9], v11, s[2:3] offset:40
	global_load_b64 v[18:19], v11, s[2:3] offset:24 scope:SCOPE_SYS
	global_load_b64 v[14:15], v11, s[2:3]
	s_wait_loadcnt 0x2
	v_readfirstlane_b32 s16, v8
	v_readfirstlane_b32 s17, v9
	s_add_nc_u64 s[0:1], s[16:17], 1
	s_delay_alu instid0(SALU_CYCLE_1) | instskip(NEXT) | instid1(SALU_CYCLE_1)
	s_add_nc_u64 s[12:13], s[0:1], s[12:13]
	s_cmp_eq_u64 s[12:13], 0
	s_cselect_b32 s1, s1, s13
	s_cselect_b32 s0, s0, s12
	s_delay_alu instid0(SALU_CYCLE_1) | instskip(SKIP_1) | instid1(SALU_CYCLE_1)
	v_dual_mov_b32 v17, s1 :: v_dual_mov_b32 v16, s0
	s_and_b64 s[12:13], s[0:1], s[16:17]
	s_mul_u64 s[12:13], s[12:13], 24
	s_wait_loadcnt 0x0
	v_add_nc_u64_e32 v[8:9], s[12:13], v[14:15]
	global_store_b64 v[8:9], v[18:19], off
	global_wb scope:SCOPE_SYS
	s_wait_storecnt 0x0
	s_wait_xcnt 0x0
	global_atomic_cmpswap_b64 v[16:17], v11, v[16:19], s[2:3] offset:24 th:TH_ATOMIC_RETURN scope:SCOPE_SYS
	s_wait_loadcnt 0x0
	v_cmp_ne_u64_e32 vcc_lo, v[16:17], v[18:19]
	s_and_b32 exec_lo, exec_lo, vcc_lo
	s_cbranch_execz .LBB34_116
; %bb.190:                              ;   in Loop: Header=BB34_117 Depth=1
	s_mov_b32 s12, 0
.LBB34_191:                             ;   Parent Loop BB34_117 Depth=1
                                        ; =>  This Inner Loop Header: Depth=2
	v_dual_mov_b32 v14, s0 :: v_dual_mov_b32 v15, s1
	s_sleep 1
	global_store_b64 v[8:9], v[16:17], off
	global_wb scope:SCOPE_SYS
	s_wait_storecnt 0x0
	s_wait_xcnt 0x0
	global_atomic_cmpswap_b64 v[14:15], v11, v[14:17], s[2:3] offset:24 th:TH_ATOMIC_RETURN scope:SCOPE_SYS
	s_wait_loadcnt 0x0
	v_cmp_eq_u64_e32 vcc_lo, v[14:15], v[16:17]
	v_mov_b64_e32 v[16:17], v[14:15]
	s_or_b32 s12, vcc_lo, s12
	s_delay_alu instid0(SALU_CYCLE_1)
	s_and_not1_b32 exec_lo, exec_lo, s12
	s_cbranch_execnz .LBB34_191
	s_branch .LBB34_116
.LBB34_192:
	s_or_b32 exec_lo, exec_lo, s6
	s_branch .LBB34_114
.LBB34_193:
	v_readfirstlane_b32 s0, v48
	v_mov_b64_e32 v[8:9], 0
	s_delay_alu instid0(VALU_DEP_2)
	v_cmp_eq_u32_e64 s0, s0, v48
	s_and_saveexec_b32 s1, s0
	s_cbranch_execz .LBB34_199
; %bb.194:
	s_wait_loadcnt 0x0
	v_mov_b32_e32 v0, 0
	s_mov_b32 s4, exec_lo
	global_load_b64 v[10:11], v0, s[2:3] offset:24 scope:SCOPE_SYS
	s_wait_loadcnt 0x0
	global_inv scope:SCOPE_SYS
	s_clause 0x1
	global_load_b64 v[2:3], v0, s[2:3] offset:40
	global_load_b64 v[8:9], v0, s[2:3]
	s_wait_loadcnt 0x1
	v_and_b32_e32 v2, v2, v10
	v_and_b32_e32 v3, v3, v11
	s_delay_alu instid0(VALU_DEP_1) | instskip(SKIP_1) | instid1(VALU_DEP_1)
	v_mul_u64_e32 v[2:3], 24, v[2:3]
	s_wait_loadcnt 0x0
	v_add_nc_u64_e32 v[2:3], v[8:9], v[2:3]
	global_load_b64 v[8:9], v[2:3], off scope:SCOPE_SYS
	s_wait_xcnt 0x0
	s_wait_loadcnt 0x0
	global_atomic_cmpswap_b64 v[8:9], v0, v[8:11], s[2:3] offset:24 th:TH_ATOMIC_RETURN scope:SCOPE_SYS
	s_wait_loadcnt 0x0
	global_inv scope:SCOPE_SYS
	s_wait_xcnt 0x0
	v_cmpx_ne_u64_e64 v[8:9], v[10:11]
	s_cbranch_execz .LBB34_198
; %bb.195:
	s_mov_b32 s5, 0
.LBB34_196:                             ; =>This Inner Loop Header: Depth=1
	s_sleep 1
	s_clause 0x1
	global_load_b64 v[2:3], v0, s[2:3] offset:40
	global_load_b64 v[12:13], v0, s[2:3]
	v_mov_b64_e32 v[10:11], v[8:9]
	s_wait_loadcnt 0x1
	s_delay_alu instid0(VALU_DEP_1) | instskip(SKIP_1) | instid1(VALU_DEP_1)
	v_and_b32_e32 v1, v2, v10
	s_wait_loadcnt 0x0
	v_mad_nc_u64_u32 v[8:9], v1, 24, v[12:13]
	s_delay_alu instid0(VALU_DEP_3) | instskip(NEXT) | instid1(VALU_DEP_1)
	v_and_b32_e32 v1, v3, v11
	v_mad_u32 v9, v1, 24, v9
	global_load_b64 v[8:9], v[8:9], off scope:SCOPE_SYS
	s_wait_xcnt 0x0
	s_wait_loadcnt 0x0
	global_atomic_cmpswap_b64 v[8:9], v0, v[8:11], s[2:3] offset:24 th:TH_ATOMIC_RETURN scope:SCOPE_SYS
	s_wait_loadcnt 0x0
	global_inv scope:SCOPE_SYS
	v_cmp_eq_u64_e32 vcc_lo, v[8:9], v[10:11]
	s_or_b32 s5, vcc_lo, s5
	s_wait_xcnt 0x0
	s_and_not1_b32 exec_lo, exec_lo, s5
	s_cbranch_execnz .LBB34_196
; %bb.197:
	s_or_b32 exec_lo, exec_lo, s5
.LBB34_198:
	s_delay_alu instid0(SALU_CYCLE_1)
	s_or_b32 exec_lo, exec_lo, s4
.LBB34_199:
	s_delay_alu instid0(SALU_CYCLE_1)
	s_or_b32 exec_lo, exec_lo, s1
	v_readfirstlane_b32 s4, v8
	v_mov_b32_e32 v31, 0
	v_readfirstlane_b32 s5, v9
	s_mov_b32 s1, exec_lo
	global_load_b64 v[10:11], v31, s[2:3] offset:40
	s_wait_loadcnt 0x1
	global_load_b128 v[0:3], v31, s[2:3]
	s_wait_loadcnt 0x1
	v_and_b32_e32 v8, s4, v10
	v_and_b32_e32 v9, s5, v11
	s_delay_alu instid0(VALU_DEP_1) | instskip(SKIP_1) | instid1(VALU_DEP_1)
	v_mul_u64_e32 v[10:11], 24, v[8:9]
	s_wait_loadcnt 0x0
	v_add_nc_u64_e32 v[10:11], v[0:1], v[10:11]
	s_wait_xcnt 0x0
	s_and_saveexec_b32 s6, s0
	s_cbranch_execz .LBB34_201
; %bb.200:
	v_mov_b64_e32 v[14:15], 0x100000002
	v_dual_mov_b32 v12, s1 :: v_dual_mov_b32 v13, v31
	global_store_b128 v[10:11], v[12:15], off offset:8
.LBB34_201:
	s_wait_xcnt 0x0
	s_or_b32 exec_lo, exec_lo, s6
	v_lshlrev_b64_e32 v[8:9], 12, v[8:9]
	s_mov_b32 s12, 0
	v_and_or_b32 v6, 0xffffff1f, v6, 32
	s_mov_b32 s14, s12
	s_mov_b32 s15, s12
	;; [unrolled: 1-line block ×3, first 2 shown]
	v_mov_b64_e32 v[16:17], s[14:15]
	v_add_nc_u64_e32 v[12:13], v[2:3], v[8:9]
	v_mov_b64_e32 v[14:15], s[12:13]
	v_dual_mov_b32 v8, v31 :: v_dual_mov_b32 v9, v31
	s_delay_alu instid0(VALU_DEP_3) | instskip(NEXT) | instid1(VALU_DEP_4)
	v_readfirstlane_b32 s6, v12
	v_readfirstlane_b32 s7, v13
	s_clause 0x3
	global_store_b128 v30, v[6:9], s[6:7]
	global_store_b128 v30, v[14:17], s[6:7] offset:16
	global_store_b128 v30, v[14:17], s[6:7] offset:32
	global_store_b128 v30, v[14:17], s[6:7] offset:48
	s_wait_xcnt 0x0
	s_and_saveexec_b32 s1, s0
	s_cbranch_execz .LBB34_209
; %bb.202:
	v_dual_mov_b32 v8, 0 :: v_dual_mov_b32 v15, s5
	s_mov_b32 s6, exec_lo
	s_clause 0x1
	global_load_b64 v[16:17], v8, s[2:3] offset:32 scope:SCOPE_SYS
	global_load_b64 v[2:3], v8, s[2:3] offset:40
	s_wait_loadcnt 0x0
	v_dual_mov_b32 v14, s4 :: v_dual_bitop2_b32 v3, s5, v3 bitop3:0x40
	v_and_b32_e32 v2, s4, v2
	s_delay_alu instid0(VALU_DEP_1) | instskip(NEXT) | instid1(VALU_DEP_1)
	v_mul_u64_e32 v[2:3], 24, v[2:3]
	v_add_nc_u64_e32 v[6:7], v[0:1], v[2:3]
	global_store_b64 v[6:7], v[16:17], off
	global_wb scope:SCOPE_SYS
	s_wait_storecnt 0x0
	s_wait_xcnt 0x0
	global_atomic_cmpswap_b64 v[2:3], v8, v[14:17], s[2:3] offset:32 th:TH_ATOMIC_RETURN scope:SCOPE_SYS
	s_wait_loadcnt 0x0
	v_cmpx_ne_u64_e64 v[2:3], v[16:17]
	s_cbranch_execz .LBB34_205
; %bb.203:
	s_mov_b32 s7, 0
.LBB34_204:                             ; =>This Inner Loop Header: Depth=1
	v_dual_mov_b32 v0, s4 :: v_dual_mov_b32 v1, s5
	s_sleep 1
	global_store_b64 v[6:7], v[2:3], off
	global_wb scope:SCOPE_SYS
	s_wait_storecnt 0x0
	s_wait_xcnt 0x0
	global_atomic_cmpswap_b64 v[0:1], v8, v[0:3], s[2:3] offset:32 th:TH_ATOMIC_RETURN scope:SCOPE_SYS
	s_wait_loadcnt 0x0
	v_cmp_eq_u64_e32 vcc_lo, v[0:1], v[2:3]
	v_mov_b64_e32 v[2:3], v[0:1]
	s_or_b32 s7, vcc_lo, s7
	s_delay_alu instid0(SALU_CYCLE_1)
	s_and_not1_b32 exec_lo, exec_lo, s7
	s_cbranch_execnz .LBB34_204
.LBB34_205:
	s_or_b32 exec_lo, exec_lo, s6
	v_mov_b32_e32 v3, 0
	s_mov_b32 s7, exec_lo
	s_mov_b32 s6, exec_lo
	v_mbcnt_lo_u32_b32 v2, s7, 0
	global_load_b64 v[0:1], v3, s[2:3] offset:16
	s_wait_xcnt 0x0
	v_cmpx_eq_u32_e32 0, v2
	s_cbranch_execz .LBB34_207
; %bb.206:
	s_bcnt1_i32_b32 s7, s7
	s_delay_alu instid0(SALU_CYCLE_1)
	v_mov_b32_e32 v2, s7
	global_wb scope:SCOPE_SYS
	s_wait_loadcnt 0x0
	s_wait_storecnt 0x0
	global_atomic_add_u64 v[0:1], v[2:3], off offset:8 scope:SCOPE_SYS
.LBB34_207:
	s_wait_xcnt 0x0
	s_or_b32 exec_lo, exec_lo, s6
	s_wait_loadcnt 0x0
	global_load_b64 v[2:3], v[0:1], off offset:16
	s_wait_loadcnt 0x0
	v_cmp_eq_u64_e32 vcc_lo, 0, v[2:3]
	s_cbranch_vccnz .LBB34_209
; %bb.208:
	global_load_b32 v0, v[0:1], off offset:24
	s_wait_xcnt 0x0
	v_mov_b32_e32 v1, 0
	s_wait_loadcnt 0x0
	v_readfirstlane_b32 s6, v0
	global_wb scope:SCOPE_SYS
	s_wait_storecnt 0x0
	global_store_b64 v[2:3], v[0:1], off scope:SCOPE_SYS
	s_and_b32 m0, s6, 0xffffff
	s_sendmsg sendmsg(MSG_INTERRUPT)
.LBB34_209:
	s_wait_xcnt 0x0
	s_or_b32 exec_lo, exec_lo, s1
	v_add_nc_u64_e32 v[0:1], v[12:13], v[30:31]
	s_branch .LBB34_213
.LBB34_210:                             ;   in Loop: Header=BB34_213 Depth=1
	s_wait_xcnt 0x0
	s_or_b32 exec_lo, exec_lo, s1
	s_delay_alu instid0(VALU_DEP_1)
	v_readfirstlane_b32 s1, v2
	s_cmp_eq_u32 s1, 0
	s_cbranch_scc1 .LBB34_212
; %bb.211:                              ;   in Loop: Header=BB34_213 Depth=1
	s_sleep 1
	s_cbranch_execnz .LBB34_213
	s_branch .LBB34_216
.LBB34_212:
	s_branch .LBB34_216
.LBB34_213:                             ; =>This Inner Loop Header: Depth=1
	v_mov_b32_e32 v2, 1
	s_and_saveexec_b32 s1, s0
	s_cbranch_execz .LBB34_210
; %bb.214:                              ;   in Loop: Header=BB34_213 Depth=1
	global_load_b32 v2, v[10:11], off offset:20 scope:SCOPE_SYS
	s_wait_loadcnt 0x0
	global_inv scope:SCOPE_SYS
	v_and_b32_e32 v2, 1, v2
	s_branch .LBB34_210
.LBB34_215:
	s_branch .LBB34_249
.LBB34_216:
	global_load_b64 v[0:1], v[0:1], off
	s_wait_xcnt 0x0
	s_and_saveexec_b32 s6, s0
	s_cbranch_execz .LBB34_220
; %bb.217:
	v_mov_b32_e32 v10, 0
	s_clause 0x2
	global_load_b64 v[2:3], v10, s[2:3] offset:40
	global_load_b64 v[14:15], v10, s[2:3] offset:24 scope:SCOPE_SYS
	global_load_b64 v[6:7], v10, s[2:3]
	s_wait_loadcnt 0x2
	v_readfirstlane_b32 s10, v2
	v_readfirstlane_b32 s11, v3
	s_add_nc_u64 s[0:1], s[10:11], 1
	s_delay_alu instid0(SALU_CYCLE_1) | instskip(NEXT) | instid1(SALU_CYCLE_1)
	s_add_nc_u64 s[4:5], s[0:1], s[4:5]
	s_cmp_eq_u64 s[4:5], 0
	s_cselect_b32 s1, s1, s5
	s_cselect_b32 s0, s0, s4
	v_mov_b32_e32 v13, s1
	s_and_b64 s[4:5], s[0:1], s[10:11]
	v_mov_b32_e32 v12, s0
	s_mul_u64 s[4:5], s[4:5], 24
	s_wait_loadcnt 0x0
	v_add_nc_u64_e32 v[2:3], s[4:5], v[6:7]
	global_store_b64 v[2:3], v[14:15], off
	global_wb scope:SCOPE_SYS
	s_wait_storecnt 0x0
	s_wait_xcnt 0x0
	global_atomic_cmpswap_b64 v[8:9], v10, v[12:15], s[2:3] offset:24 th:TH_ATOMIC_RETURN scope:SCOPE_SYS
	s_wait_loadcnt 0x0
	v_cmp_ne_u64_e32 vcc_lo, v[8:9], v[14:15]
	s_and_b32 exec_lo, exec_lo, vcc_lo
	s_cbranch_execz .LBB34_220
; %bb.218:
	s_mov_b32 s4, 0
.LBB34_219:                             ; =>This Inner Loop Header: Depth=1
	v_dual_mov_b32 v6, s0 :: v_dual_mov_b32 v7, s1
	s_sleep 1
	global_store_b64 v[2:3], v[8:9], off
	global_wb scope:SCOPE_SYS
	s_wait_storecnt 0x0
	s_wait_xcnt 0x0
	global_atomic_cmpswap_b64 v[6:7], v10, v[6:9], s[2:3] offset:24 th:TH_ATOMIC_RETURN scope:SCOPE_SYS
	s_wait_loadcnt 0x0
	v_cmp_eq_u64_e32 vcc_lo, v[6:7], v[8:9]
	v_mov_b64_e32 v[8:9], v[6:7]
	s_or_b32 s4, vcc_lo, s4
	s_delay_alu instid0(SALU_CYCLE_1)
	s_and_not1_b32 exec_lo, exec_lo, s4
	s_cbranch_execnz .LBB34_219
.LBB34_220:
	s_or_b32 exec_lo, exec_lo, s6
	s_get_pc_i64 s[4:5]
	s_add_nc_u64 s[4:5], s[4:5], .str.6@rel64+4
	s_delay_alu instid0(SALU_CYCLE_1)
	s_cmp_lg_u64 s[4:5], 0
	s_cbranch_scc1 .LBB34_115
.LBB34_221:
                                        ; implicit-def: $vgpr6_vgpr7
	s_cbranch_execz .LBB34_249
; %bb.222:
	v_readfirstlane_b32 s0, v48
	v_mov_b64_e32 v[2:3], 0
	s_delay_alu instid0(VALU_DEP_2)
	v_cmp_eq_u32_e64 s0, s0, v48
	s_and_saveexec_b32 s1, s0
	s_cbranch_execz .LBB34_228
; %bb.223:
	s_wait_loadcnt 0x0
	v_mov_b32_e32 v6, 0
	s_mov_b32 s4, exec_lo
	global_load_b64 v[10:11], v6, s[2:3] offset:24 scope:SCOPE_SYS
	s_wait_loadcnt 0x0
	global_inv scope:SCOPE_SYS
	s_clause 0x1
	global_load_b64 v[2:3], v6, s[2:3] offset:40
	global_load_b64 v[8:9], v6, s[2:3]
	s_wait_loadcnt 0x1
	v_and_b32_e32 v2, v2, v10
	v_and_b32_e32 v3, v3, v11
	s_delay_alu instid0(VALU_DEP_1) | instskip(SKIP_1) | instid1(VALU_DEP_1)
	v_mul_u64_e32 v[2:3], 24, v[2:3]
	s_wait_loadcnt 0x0
	v_add_nc_u64_e32 v[2:3], v[8:9], v[2:3]
	global_load_b64 v[8:9], v[2:3], off scope:SCOPE_SYS
	s_wait_xcnt 0x0
	s_wait_loadcnt 0x0
	global_atomic_cmpswap_b64 v[2:3], v6, v[8:11], s[2:3] offset:24 th:TH_ATOMIC_RETURN scope:SCOPE_SYS
	s_wait_loadcnt 0x0
	global_inv scope:SCOPE_SYS
	s_wait_xcnt 0x0
	v_cmpx_ne_u64_e64 v[2:3], v[10:11]
	s_cbranch_execz .LBB34_227
; %bb.224:
	s_mov_b32 s5, 0
.LBB34_225:                             ; =>This Inner Loop Header: Depth=1
	s_sleep 1
	s_clause 0x1
	global_load_b64 v[8:9], v6, s[2:3] offset:40
	global_load_b64 v[12:13], v6, s[2:3]
	v_mov_b64_e32 v[10:11], v[2:3]
	s_wait_loadcnt 0x1
	s_delay_alu instid0(VALU_DEP_1) | instskip(NEXT) | instid1(VALU_DEP_2)
	v_and_b32_e32 v2, v8, v10
	v_and_b32_e32 v7, v9, v11
	s_wait_loadcnt 0x0
	s_delay_alu instid0(VALU_DEP_2) | instskip(NEXT) | instid1(VALU_DEP_1)
	v_mad_nc_u64_u32 v[2:3], v2, 24, v[12:13]
	v_mad_u32 v3, v7, 24, v3
	global_load_b64 v[8:9], v[2:3], off scope:SCOPE_SYS
	s_wait_xcnt 0x0
	s_wait_loadcnt 0x0
	global_atomic_cmpswap_b64 v[2:3], v6, v[8:11], s[2:3] offset:24 th:TH_ATOMIC_RETURN scope:SCOPE_SYS
	s_wait_loadcnt 0x0
	global_inv scope:SCOPE_SYS
	v_cmp_eq_u64_e32 vcc_lo, v[2:3], v[10:11]
	s_or_b32 s5, vcc_lo, s5
	s_wait_xcnt 0x0
	s_and_not1_b32 exec_lo, exec_lo, s5
	s_cbranch_execnz .LBB34_225
; %bb.226:
	s_or_b32 exec_lo, exec_lo, s5
.LBB34_227:
	s_delay_alu instid0(SALU_CYCLE_1)
	s_or_b32 exec_lo, exec_lo, s4
.LBB34_228:
	s_delay_alu instid0(SALU_CYCLE_1)
	s_or_b32 exec_lo, exec_lo, s1
	v_readfirstlane_b32 s4, v2
	v_mov_b32_e32 v31, 0
	v_readfirstlane_b32 s5, v3
	s_mov_b32 s1, exec_lo
	global_load_b64 v[10:11], v31, s[2:3] offset:40
	s_wait_loadcnt 0x1
	global_load_b128 v[6:9], v31, s[2:3]
	s_wait_loadcnt 0x1
	v_and_b32_e32 v2, s4, v10
	v_and_b32_e32 v3, s5, v11
	s_delay_alu instid0(VALU_DEP_1) | instskip(SKIP_1) | instid1(VALU_DEP_1)
	v_mul_u64_e32 v[10:11], 24, v[2:3]
	s_wait_loadcnt 0x0
	v_add_nc_u64_e32 v[10:11], v[6:7], v[10:11]
	s_wait_xcnt 0x0
	s_and_saveexec_b32 s6, s0
	s_cbranch_execz .LBB34_230
; %bb.229:
	v_mov_b64_e32 v[14:15], 0x100000002
	v_dual_mov_b32 v12, s1 :: v_dual_mov_b32 v13, v31
	global_store_b128 v[10:11], v[12:15], off offset:8
.LBB34_230:
	s_wait_xcnt 0x0
	s_or_b32 exec_lo, exec_lo, s6
	v_lshlrev_b64_e32 v[2:3], 12, v[2:3]
	s_mov_b32 s12, 0
	v_and_or_b32 v0, 0xffffff1f, v0, 32
	s_mov_b32 s13, s12
	s_mov_b32 s14, s12
	;; [unrolled: 1-line block ×3, first 2 shown]
	v_mov_b64_e32 v[12:13], s[12:13]
	v_add_nc_u64_e32 v[8:9], v[8:9], v[2:3]
	v_mov_b64_e32 v[14:15], s[14:15]
	v_dual_mov_b32 v2, v31 :: v_dual_mov_b32 v3, v31
	s_delay_alu instid0(VALU_DEP_3) | instskip(NEXT) | instid1(VALU_DEP_4)
	v_readfirstlane_b32 s6, v8
	v_readfirstlane_b32 s7, v9
	s_clause 0x3
	global_store_b128 v30, v[0:3], s[6:7]
	global_store_b128 v30, v[12:15], s[6:7] offset:16
	global_store_b128 v30, v[12:15], s[6:7] offset:32
	;; [unrolled: 1-line block ×3, first 2 shown]
	s_wait_xcnt 0x0
	s_and_saveexec_b32 s1, s0
	s_cbranch_execz .LBB34_238
; %bb.231:
	v_dual_mov_b32 v12, 0 :: v_dual_mov_b32 v15, s5
	s_mov_b32 s6, exec_lo
	s_clause 0x1
	global_load_b64 v[16:17], v12, s[2:3] offset:32 scope:SCOPE_SYS
	global_load_b64 v[0:1], v12, s[2:3] offset:40
	s_wait_loadcnt 0x0
	v_dual_mov_b32 v14, s4 :: v_dual_bitop2_b32 v1, s5, v1 bitop3:0x40
	v_and_b32_e32 v0, s4, v0
	s_delay_alu instid0(VALU_DEP_1) | instskip(NEXT) | instid1(VALU_DEP_1)
	v_mul_u64_e32 v[0:1], 24, v[0:1]
	v_add_nc_u64_e32 v[6:7], v[6:7], v[0:1]
	global_store_b64 v[6:7], v[16:17], off
	global_wb scope:SCOPE_SYS
	s_wait_storecnt 0x0
	s_wait_xcnt 0x0
	global_atomic_cmpswap_b64 v[2:3], v12, v[14:17], s[2:3] offset:32 th:TH_ATOMIC_RETURN scope:SCOPE_SYS
	s_wait_loadcnt 0x0
	v_cmpx_ne_u64_e64 v[2:3], v[16:17]
	s_cbranch_execz .LBB34_234
; %bb.232:
	s_mov_b32 s7, 0
.LBB34_233:                             ; =>This Inner Loop Header: Depth=1
	v_dual_mov_b32 v0, s4 :: v_dual_mov_b32 v1, s5
	s_sleep 1
	global_store_b64 v[6:7], v[2:3], off
	global_wb scope:SCOPE_SYS
	s_wait_storecnt 0x0
	s_wait_xcnt 0x0
	global_atomic_cmpswap_b64 v[0:1], v12, v[0:3], s[2:3] offset:32 th:TH_ATOMIC_RETURN scope:SCOPE_SYS
	s_wait_loadcnt 0x0
	v_cmp_eq_u64_e32 vcc_lo, v[0:1], v[2:3]
	v_mov_b64_e32 v[2:3], v[0:1]
	s_or_b32 s7, vcc_lo, s7
	s_delay_alu instid0(SALU_CYCLE_1)
	s_and_not1_b32 exec_lo, exec_lo, s7
	s_cbranch_execnz .LBB34_233
.LBB34_234:
	s_or_b32 exec_lo, exec_lo, s6
	v_mov_b32_e32 v3, 0
	s_mov_b32 s7, exec_lo
	s_mov_b32 s6, exec_lo
	v_mbcnt_lo_u32_b32 v2, s7, 0
	global_load_b64 v[0:1], v3, s[2:3] offset:16
	s_wait_xcnt 0x0
	v_cmpx_eq_u32_e32 0, v2
	s_cbranch_execz .LBB34_236
; %bb.235:
	s_bcnt1_i32_b32 s7, s7
	s_delay_alu instid0(SALU_CYCLE_1)
	v_mov_b32_e32 v2, s7
	global_wb scope:SCOPE_SYS
	s_wait_loadcnt 0x0
	s_wait_storecnt 0x0
	global_atomic_add_u64 v[0:1], v[2:3], off offset:8 scope:SCOPE_SYS
.LBB34_236:
	s_wait_xcnt 0x0
	s_or_b32 exec_lo, exec_lo, s6
	s_wait_loadcnt 0x0
	global_load_b64 v[2:3], v[0:1], off offset:16
	s_wait_loadcnt 0x0
	v_cmp_eq_u64_e32 vcc_lo, 0, v[2:3]
	s_cbranch_vccnz .LBB34_238
; %bb.237:
	global_load_b32 v0, v[0:1], off offset:24
	s_wait_xcnt 0x0
	v_mov_b32_e32 v1, 0
	s_wait_loadcnt 0x0
	v_readfirstlane_b32 s6, v0
	global_wb scope:SCOPE_SYS
	s_wait_storecnt 0x0
	global_store_b64 v[2:3], v[0:1], off scope:SCOPE_SYS
	s_and_b32 m0, s6, 0xffffff
	s_sendmsg sendmsg(MSG_INTERRUPT)
.LBB34_238:
	s_wait_xcnt 0x0
	s_or_b32 exec_lo, exec_lo, s1
	v_add_nc_u64_e32 v[0:1], v[8:9], v[30:31]
	s_branch .LBB34_242
.LBB34_239:                             ;   in Loop: Header=BB34_242 Depth=1
	s_wait_xcnt 0x0
	s_or_b32 exec_lo, exec_lo, s1
	s_delay_alu instid0(VALU_DEP_1)
	v_readfirstlane_b32 s1, v2
	s_cmp_eq_u32 s1, 0
	s_cbranch_scc1 .LBB34_241
; %bb.240:                              ;   in Loop: Header=BB34_242 Depth=1
	s_sleep 1
	s_cbranch_execnz .LBB34_242
	s_branch .LBB34_244
.LBB34_241:
	s_branch .LBB34_244
.LBB34_242:                             ; =>This Inner Loop Header: Depth=1
	v_mov_b32_e32 v2, 1
	s_and_saveexec_b32 s1, s0
	s_cbranch_execz .LBB34_239
; %bb.243:                              ;   in Loop: Header=BB34_242 Depth=1
	global_load_b32 v2, v[10:11], off offset:20 scope:SCOPE_SYS
	s_wait_loadcnt 0x0
	global_inv scope:SCOPE_SYS
	v_and_b32_e32 v2, 1, v2
	s_branch .LBB34_239
.LBB34_244:
	global_load_b64 v[6:7], v[0:1], off
	s_wait_xcnt 0x0
	s_and_saveexec_b32 s6, s0
	s_cbranch_execz .LBB34_248
; %bb.245:
	v_mov_b32_e32 v10, 0
	s_clause 0x2
	global_load_b64 v[0:1], v10, s[2:3] offset:40
	global_load_b64 v[14:15], v10, s[2:3] offset:24 scope:SCOPE_SYS
	global_load_b64 v[2:3], v10, s[2:3]
	s_wait_loadcnt 0x2
	v_readfirstlane_b32 s10, v0
	v_readfirstlane_b32 s11, v1
	s_add_nc_u64 s[0:1], s[10:11], 1
	s_delay_alu instid0(SALU_CYCLE_1) | instskip(NEXT) | instid1(SALU_CYCLE_1)
	s_add_nc_u64 s[4:5], s[0:1], s[4:5]
	s_cmp_eq_u64 s[4:5], 0
	s_cselect_b32 s1, s1, s5
	s_cselect_b32 s0, s0, s4
	v_mov_b32_e32 v13, s1
	s_and_b64 s[4:5], s[0:1], s[10:11]
	v_mov_b32_e32 v12, s0
	s_mul_u64 s[4:5], s[4:5], 24
	s_wait_loadcnt 0x0
	v_add_nc_u64_e32 v[8:9], s[4:5], v[2:3]
	global_store_b64 v[8:9], v[14:15], off
	global_wb scope:SCOPE_SYS
	s_wait_storecnt 0x0
	s_wait_xcnt 0x0
	global_atomic_cmpswap_b64 v[2:3], v10, v[12:15], s[2:3] offset:24 th:TH_ATOMIC_RETURN scope:SCOPE_SYS
	s_wait_loadcnt 0x0
	v_cmp_ne_u64_e32 vcc_lo, v[2:3], v[14:15]
	s_and_b32 exec_lo, exec_lo, vcc_lo
	s_cbranch_execz .LBB34_248
; %bb.246:
	s_mov_b32 s4, 0
.LBB34_247:                             ; =>This Inner Loop Header: Depth=1
	v_dual_mov_b32 v0, s0 :: v_dual_mov_b32 v1, s1
	s_sleep 1
	global_store_b64 v[8:9], v[2:3], off
	global_wb scope:SCOPE_SYS
	s_wait_storecnt 0x0
	s_wait_xcnt 0x0
	global_atomic_cmpswap_b64 v[0:1], v10, v[0:3], s[2:3] offset:24 th:TH_ATOMIC_RETURN scope:SCOPE_SYS
	s_wait_loadcnt 0x0
	v_cmp_eq_u64_e32 vcc_lo, v[0:1], v[2:3]
	v_mov_b64_e32 v[2:3], v[0:1]
	s_or_b32 s4, vcc_lo, s4
	s_delay_alu instid0(SALU_CYCLE_1)
	s_and_not1_b32 exec_lo, exec_lo, s4
	s_cbranch_execnz .LBB34_247
.LBB34_248:
	s_or_b32 exec_lo, exec_lo, s6
.LBB34_249:
	v_readfirstlane_b32 s0, v48
	v_mov_b64_e32 v[8:9], 0
	s_delay_alu instid0(VALU_DEP_2)
	v_cmp_eq_u32_e64 s0, s0, v48
	s_and_saveexec_b32 s1, s0
	s_cbranch_execz .LBB34_255
; %bb.250:
	s_wait_loadcnt 0x0
	v_mov_b32_e32 v0, 0
	s_mov_b32 s4, exec_lo
	global_load_b64 v[10:11], v0, s[2:3] offset:24 scope:SCOPE_SYS
	s_wait_loadcnt 0x0
	global_inv scope:SCOPE_SYS
	s_clause 0x1
	global_load_b64 v[2:3], v0, s[2:3] offset:40
	global_load_b64 v[8:9], v0, s[2:3]
	s_wait_loadcnt 0x1
	v_and_b32_e32 v2, v2, v10
	v_and_b32_e32 v3, v3, v11
	s_delay_alu instid0(VALU_DEP_1) | instskip(SKIP_1) | instid1(VALU_DEP_1)
	v_mul_u64_e32 v[2:3], 24, v[2:3]
	s_wait_loadcnt 0x0
	v_add_nc_u64_e32 v[2:3], v[8:9], v[2:3]
	global_load_b64 v[8:9], v[2:3], off scope:SCOPE_SYS
	s_wait_xcnt 0x0
	s_wait_loadcnt 0x0
	global_atomic_cmpswap_b64 v[8:9], v0, v[8:11], s[2:3] offset:24 th:TH_ATOMIC_RETURN scope:SCOPE_SYS
	s_wait_loadcnt 0x0
	global_inv scope:SCOPE_SYS
	s_wait_xcnt 0x0
	v_cmpx_ne_u64_e64 v[8:9], v[10:11]
	s_cbranch_execz .LBB34_254
; %bb.251:
	s_mov_b32 s5, 0
.LBB34_252:                             ; =>This Inner Loop Header: Depth=1
	s_sleep 1
	s_clause 0x1
	global_load_b64 v[2:3], v0, s[2:3] offset:40
	global_load_b64 v[12:13], v0, s[2:3]
	v_mov_b64_e32 v[10:11], v[8:9]
	s_wait_loadcnt 0x1
	s_delay_alu instid0(VALU_DEP_1) | instskip(SKIP_1) | instid1(VALU_DEP_1)
	v_and_b32_e32 v1, v2, v10
	s_wait_loadcnt 0x0
	v_mad_nc_u64_u32 v[8:9], v1, 24, v[12:13]
	s_delay_alu instid0(VALU_DEP_3) | instskip(NEXT) | instid1(VALU_DEP_1)
	v_and_b32_e32 v1, v3, v11
	v_mad_u32 v9, v1, 24, v9
	global_load_b64 v[8:9], v[8:9], off scope:SCOPE_SYS
	s_wait_xcnt 0x0
	s_wait_loadcnt 0x0
	global_atomic_cmpswap_b64 v[8:9], v0, v[8:11], s[2:3] offset:24 th:TH_ATOMIC_RETURN scope:SCOPE_SYS
	s_wait_loadcnt 0x0
	global_inv scope:SCOPE_SYS
	v_cmp_eq_u64_e32 vcc_lo, v[8:9], v[10:11]
	s_or_b32 s5, vcc_lo, s5
	s_wait_xcnt 0x0
	s_and_not1_b32 exec_lo, exec_lo, s5
	s_cbranch_execnz .LBB34_252
; %bb.253:
	s_or_b32 exec_lo, exec_lo, s5
.LBB34_254:
	s_delay_alu instid0(SALU_CYCLE_1)
	s_or_b32 exec_lo, exec_lo, s4
.LBB34_255:
	s_delay_alu instid0(SALU_CYCLE_1)
	s_or_b32 exec_lo, exec_lo, s1
	v_readfirstlane_b32 s4, v8
	v_mov_b32_e32 v31, 0
	v_readfirstlane_b32 s5, v9
	s_mov_b32 s1, exec_lo
	global_load_b64 v[10:11], v31, s[2:3] offset:40
	s_wait_loadcnt 0x1
	global_load_b128 v[0:3], v31, s[2:3]
	s_wait_loadcnt 0x1
	v_and_b32_e32 v8, s4, v10
	v_and_b32_e32 v9, s5, v11
	s_delay_alu instid0(VALU_DEP_1) | instskip(SKIP_1) | instid1(VALU_DEP_1)
	v_mul_u64_e32 v[10:11], 24, v[8:9]
	s_wait_loadcnt 0x0
	v_add_nc_u64_e32 v[10:11], v[0:1], v[10:11]
	s_wait_xcnt 0x0
	s_and_saveexec_b32 s6, s0
	s_cbranch_execz .LBB34_257
; %bb.256:
	v_mov_b64_e32 v[14:15], 0x100000002
	v_dual_mov_b32 v12, s1 :: v_dual_mov_b32 v13, v31
	global_store_b128 v[10:11], v[12:15], off offset:8
.LBB34_257:
	s_wait_xcnt 0x0
	s_or_b32 exec_lo, exec_lo, s6
	v_lshlrev_b64_e32 v[8:9], 12, v[8:9]
	s_mov_b32 s12, 0
	v_and_or_b32 v6, 0xffffff1f, v6, 32
	s_mov_b32 s14, s12
	s_mov_b32 s15, s12
	s_mov_b32 s13, s12
	v_mov_b64_e32 v[16:17], s[14:15]
	v_add_nc_u64_e32 v[12:13], v[2:3], v[8:9]
	v_mov_b64_e32 v[14:15], s[12:13]
	v_dual_mov_b32 v8, 0x13e :: v_dual_mov_b32 v9, v31
	s_delay_alu instid0(VALU_DEP_3) | instskip(NEXT) | instid1(VALU_DEP_4)
	v_readfirstlane_b32 s6, v12
	v_readfirstlane_b32 s7, v13
	s_clause 0x3
	global_store_b128 v30, v[6:9], s[6:7]
	global_store_b128 v30, v[14:17], s[6:7] offset:16
	global_store_b128 v30, v[14:17], s[6:7] offset:32
	;; [unrolled: 1-line block ×3, first 2 shown]
	s_wait_xcnt 0x0
	s_and_saveexec_b32 s1, s0
	s_cbranch_execz .LBB34_265
; %bb.258:
	v_dual_mov_b32 v8, 0 :: v_dual_mov_b32 v15, s5
	s_mov_b32 s6, exec_lo
	s_clause 0x1
	global_load_b64 v[16:17], v8, s[2:3] offset:32 scope:SCOPE_SYS
	global_load_b64 v[2:3], v8, s[2:3] offset:40
	s_wait_loadcnt 0x0
	v_dual_mov_b32 v14, s4 :: v_dual_bitop2_b32 v3, s5, v3 bitop3:0x40
	v_and_b32_e32 v2, s4, v2
	s_delay_alu instid0(VALU_DEP_1) | instskip(NEXT) | instid1(VALU_DEP_1)
	v_mul_u64_e32 v[2:3], 24, v[2:3]
	v_add_nc_u64_e32 v[6:7], v[0:1], v[2:3]
	global_store_b64 v[6:7], v[16:17], off
	global_wb scope:SCOPE_SYS
	s_wait_storecnt 0x0
	s_wait_xcnt 0x0
	global_atomic_cmpswap_b64 v[2:3], v8, v[14:17], s[2:3] offset:32 th:TH_ATOMIC_RETURN scope:SCOPE_SYS
	s_wait_loadcnt 0x0
	v_cmpx_ne_u64_e64 v[2:3], v[16:17]
	s_cbranch_execz .LBB34_261
; %bb.259:
	s_mov_b32 s7, 0
.LBB34_260:                             ; =>This Inner Loop Header: Depth=1
	v_dual_mov_b32 v0, s4 :: v_dual_mov_b32 v1, s5
	s_sleep 1
	global_store_b64 v[6:7], v[2:3], off
	global_wb scope:SCOPE_SYS
	s_wait_storecnt 0x0
	s_wait_xcnt 0x0
	global_atomic_cmpswap_b64 v[0:1], v8, v[0:3], s[2:3] offset:32 th:TH_ATOMIC_RETURN scope:SCOPE_SYS
	s_wait_loadcnt 0x0
	v_cmp_eq_u64_e32 vcc_lo, v[0:1], v[2:3]
	v_mov_b64_e32 v[2:3], v[0:1]
	s_or_b32 s7, vcc_lo, s7
	s_delay_alu instid0(SALU_CYCLE_1)
	s_and_not1_b32 exec_lo, exec_lo, s7
	s_cbranch_execnz .LBB34_260
.LBB34_261:
	s_or_b32 exec_lo, exec_lo, s6
	v_mov_b32_e32 v3, 0
	s_mov_b32 s7, exec_lo
	s_mov_b32 s6, exec_lo
	v_mbcnt_lo_u32_b32 v2, s7, 0
	global_load_b64 v[0:1], v3, s[2:3] offset:16
	s_wait_xcnt 0x0
	v_cmpx_eq_u32_e32 0, v2
	s_cbranch_execz .LBB34_263
; %bb.262:
	s_bcnt1_i32_b32 s7, s7
	s_delay_alu instid0(SALU_CYCLE_1)
	v_mov_b32_e32 v2, s7
	global_wb scope:SCOPE_SYS
	s_wait_loadcnt 0x0
	s_wait_storecnt 0x0
	global_atomic_add_u64 v[0:1], v[2:3], off offset:8 scope:SCOPE_SYS
.LBB34_263:
	s_wait_xcnt 0x0
	s_or_b32 exec_lo, exec_lo, s6
	s_wait_loadcnt 0x0
	global_load_b64 v[2:3], v[0:1], off offset:16
	s_wait_loadcnt 0x0
	v_cmp_eq_u64_e32 vcc_lo, 0, v[2:3]
	s_cbranch_vccnz .LBB34_265
; %bb.264:
	global_load_b32 v0, v[0:1], off offset:24
	s_wait_xcnt 0x0
	v_mov_b32_e32 v1, 0
	s_wait_loadcnt 0x0
	v_readfirstlane_b32 s6, v0
	global_wb scope:SCOPE_SYS
	s_wait_storecnt 0x0
	global_store_b64 v[2:3], v[0:1], off scope:SCOPE_SYS
	s_and_b32 m0, s6, 0xffffff
	s_sendmsg sendmsg(MSG_INTERRUPT)
.LBB34_265:
	s_wait_xcnt 0x0
	s_or_b32 exec_lo, exec_lo, s1
	v_add_nc_u64_e32 v[0:1], v[12:13], v[30:31]
	s_branch .LBB34_269
.LBB34_266:                             ;   in Loop: Header=BB34_269 Depth=1
	s_wait_xcnt 0x0
	s_or_b32 exec_lo, exec_lo, s1
	s_delay_alu instid0(VALU_DEP_1)
	v_readfirstlane_b32 s1, v2
	s_cmp_eq_u32 s1, 0
	s_cbranch_scc1 .LBB34_268
; %bb.267:                              ;   in Loop: Header=BB34_269 Depth=1
	s_sleep 1
	s_cbranch_execnz .LBB34_269
	s_branch .LBB34_271
.LBB34_268:
	s_branch .LBB34_271
.LBB34_269:                             ; =>This Inner Loop Header: Depth=1
	v_mov_b32_e32 v2, 1
	s_and_saveexec_b32 s1, s0
	s_cbranch_execz .LBB34_266
; %bb.270:                              ;   in Loop: Header=BB34_269 Depth=1
	global_load_b32 v2, v[10:11], off offset:20 scope:SCOPE_SYS
	s_wait_loadcnt 0x0
	global_inv scope:SCOPE_SYS
	v_and_b32_e32 v2, 1, v2
	s_branch .LBB34_266
.LBB34_271:
	global_load_b64 v[0:1], v[0:1], off
	s_wait_xcnt 0x0
	s_and_saveexec_b32 s6, s0
	s_cbranch_execz .LBB34_275
; %bb.272:
	v_mov_b32_e32 v10, 0
	s_clause 0x2
	global_load_b64 v[2:3], v10, s[2:3] offset:40
	global_load_b64 v[14:15], v10, s[2:3] offset:24 scope:SCOPE_SYS
	global_load_b64 v[6:7], v10, s[2:3]
	s_wait_loadcnt 0x2
	v_readfirstlane_b32 s10, v2
	v_readfirstlane_b32 s11, v3
	s_add_nc_u64 s[0:1], s[10:11], 1
	s_delay_alu instid0(SALU_CYCLE_1) | instskip(NEXT) | instid1(SALU_CYCLE_1)
	s_add_nc_u64 s[4:5], s[0:1], s[4:5]
	s_cmp_eq_u64 s[4:5], 0
	s_cselect_b32 s1, s1, s5
	s_cselect_b32 s0, s0, s4
	v_mov_b32_e32 v13, s1
	s_and_b64 s[4:5], s[0:1], s[10:11]
	v_mov_b32_e32 v12, s0
	s_mul_u64 s[4:5], s[4:5], 24
	s_wait_loadcnt 0x0
	v_add_nc_u64_e32 v[2:3], s[4:5], v[6:7]
	global_store_b64 v[2:3], v[14:15], off
	global_wb scope:SCOPE_SYS
	s_wait_storecnt 0x0
	s_wait_xcnt 0x0
	global_atomic_cmpswap_b64 v[8:9], v10, v[12:15], s[2:3] offset:24 th:TH_ATOMIC_RETURN scope:SCOPE_SYS
	s_wait_loadcnt 0x0
	v_cmp_ne_u64_e32 vcc_lo, v[8:9], v[14:15]
	s_and_b32 exec_lo, exec_lo, vcc_lo
	s_cbranch_execz .LBB34_275
; %bb.273:
	s_mov_b32 s4, 0
.LBB34_274:                             ; =>This Inner Loop Header: Depth=1
	v_dual_mov_b32 v6, s0 :: v_dual_mov_b32 v7, s1
	s_sleep 1
	global_store_b64 v[2:3], v[8:9], off
	global_wb scope:SCOPE_SYS
	s_wait_storecnt 0x0
	s_wait_xcnt 0x0
	global_atomic_cmpswap_b64 v[6:7], v10, v[6:9], s[2:3] offset:24 th:TH_ATOMIC_RETURN scope:SCOPE_SYS
	s_wait_loadcnt 0x0
	v_cmp_eq_u64_e32 vcc_lo, v[6:7], v[8:9]
	v_mov_b64_e32 v[8:9], v[6:7]
	s_or_b32 s4, vcc_lo, s4
	s_delay_alu instid0(SALU_CYCLE_1)
	s_and_not1_b32 exec_lo, exec_lo, s4
	s_cbranch_execnz .LBB34_274
.LBB34_275:
	s_or_b32 exec_lo, exec_lo, s6
	v_mov_b64_e32 v[2:3], v[4:5]
	s_mov_b32 s0, 0
.LBB34_276:                             ; =>This Inner Loop Header: Depth=1
	global_load_u8 v6, v[2:3], off
	s_wait_xcnt 0x0
	v_add_nc_u64_e32 v[2:3], 1, v[2:3]
	s_wait_loadcnt 0x0
	v_cmp_eq_u16_e32 vcc_lo, 0, v6
	s_or_b32 s0, vcc_lo, s0
	s_delay_alu instid0(SALU_CYCLE_1)
	s_and_not1_b32 exec_lo, exec_lo, s0
	s_cbranch_execnz .LBB34_276
; %bb.277:
	s_or_b32 exec_lo, exec_lo, s0
	s_delay_alu instid0(SALU_CYCLE_1)
	s_mov_b32 s0, exec_lo
	v_cmpx_ne_u64_e32 0, v[4:5]
	s_xor_b32 s6, exec_lo, s0
	s_cbranch_execz .LBB34_363
; %bb.278:
	v_dual_mov_b32 v31, 0 :: v_dual_sub_nc_u32 v26, v2, v4
	v_mov_b64_e32 v[8:9], 0x100000002
	v_and_b32_e32 v28, 2, v0
	s_delay_alu instid0(VALU_DEP_3)
	v_dual_ashrrev_i32 v27, 31, v26 :: v_dual_bitop2_b32 v0, -3, v0 bitop3:0x40
	s_mov_b32 s10, 0
	s_mov_b32 s7, 0
	s_branch .LBB34_280
.LBB34_279:                             ;   in Loop: Header=BB34_280 Depth=1
	s_or_b32 exec_lo, exec_lo, s11
	v_sub_nc_u64_e32 v[26:27], v[26:27], v[32:33]
	v_add_nc_u64_e32 v[4:5], v[4:5], v[32:33]
	s_delay_alu instid0(VALU_DEP_2) | instskip(SKIP_1) | instid1(SALU_CYCLE_1)
	v_cmp_eq_u64_e32 vcc_lo, 0, v[26:27]
	s_or_b32 s7, vcc_lo, s7
	s_and_not1_b32 exec_lo, exec_lo, s7
	s_cbranch_execz .LBB34_362
.LBB34_280:                             ; =>This Loop Header: Depth=1
                                        ;     Child Loop BB34_283 Depth 2
                                        ;     Child Loop BB34_291 Depth 2
	;; [unrolled: 1-line block ×11, first 2 shown]
	s_delay_alu instid0(VALU_DEP_1) | instskip(NEXT) | instid1(VALU_DEP_3)
	v_min_u64 v[32:33], v[26:27], 56
	v_add_nc_u64_e32 v[12:13], 8, v[4:5]
	s_mov_b32 s0, exec_lo
	v_cmpx_gt_u64_e32 8, v[26:27]
	s_xor_b32 s4, exec_lo, s0
	s_cbranch_execz .LBB34_286
; %bb.281:                              ;   in Loop: Header=BB34_280 Depth=1
	v_mov_b64_e32 v[2:3], 0
	s_mov_b32 s5, exec_lo
	v_cmpx_ne_u64_e32 0, v[26:27]
	s_cbranch_execz .LBB34_285
; %bb.282:                              ;   in Loop: Header=BB34_280 Depth=1
	v_mov_b64_e32 v[2:3], 0
	v_mov_b64_e32 v[10:11], v[4:5]
	v_lshlrev_b32_e32 v6, 3, v32
	s_mov_b64 s[0:1], 0
	s_mov_b32 s11, 0
.LBB34_283:                             ;   Parent Loop BB34_280 Depth=1
                                        ; =>  This Inner Loop Header: Depth=2
	global_load_u8 v7, v[10:11], off
	v_mov_b32_e32 v13, s10
	s_wait_xcnt 0x0
	v_add_nc_u64_e32 v[10:11], 1, v[10:11]
	s_wait_loadcnt 0x0
	v_and_b32_e32 v12, 0xffff, v7
	s_delay_alu instid0(VALU_DEP_1) | instskip(SKIP_1) | instid1(SALU_CYCLE_1)
	v_lshlrev_b64_e32 v[12:13], s0, v[12:13]
	s_add_nc_u64 s[0:1], s[0:1], 8
	v_cmp_eq_u32_e32 vcc_lo, s0, v6
	s_delay_alu instid0(VALU_DEP_2) | instskip(NEXT) | instid1(VALU_DEP_3)
	v_or_b32_e32 v3, v13, v3
	v_or_b32_e32 v2, v12, v2
	s_or_b32 s11, vcc_lo, s11
	s_delay_alu instid0(SALU_CYCLE_1)
	s_and_not1_b32 exec_lo, exec_lo, s11
	s_cbranch_execnz .LBB34_283
; %bb.284:                              ;   in Loop: Header=BB34_280 Depth=1
	s_or_b32 exec_lo, exec_lo, s11
.LBB34_285:                             ;   in Loop: Header=BB34_280 Depth=1
	s_delay_alu instid0(SALU_CYCLE_1)
	s_or_b32 exec_lo, exec_lo, s5
	v_mov_b64_e32 v[12:13], v[4:5]
.LBB34_286:                             ;   in Loop: Header=BB34_280 Depth=1
	s_or_saveexec_b32 s0, s4
	v_mov_b32_e32 v14, 0
	s_xor_b32 exec_lo, exec_lo, s0
	s_cbranch_execz .LBB34_288
; %bb.287:                              ;   in Loop: Header=BB34_280 Depth=1
	global_load_b64 v[2:3], v[4:5], off
	v_add_nc_u32_e32 v14, -8, v32
.LBB34_288:                             ;   in Loop: Header=BB34_280 Depth=1
	s_wait_xcnt 0x0
	s_or_b32 exec_lo, exec_lo, s0
	v_add_nc_u64_e32 v[6:7], 8, v[12:13]
                                        ; implicit-def: $vgpr10_vgpr11
	s_mov_b32 s0, exec_lo
	v_cmpx_gt_u32_e32 8, v14
	s_xor_b32 s11, exec_lo, s0
	s_cbranch_execz .LBB34_294
; %bb.289:                              ;   in Loop: Header=BB34_280 Depth=1
	v_mov_b64_e32 v[10:11], 0
	s_mov_b32 s12, exec_lo
	v_cmpx_ne_u32_e32 0, v14
	s_cbranch_execz .LBB34_293
; %bb.290:                              ;   in Loop: Header=BB34_280 Depth=1
	v_mov_b64_e32 v[10:11], 0
	s_mov_b64 s[0:1], 0
	s_mov_b32 s13, 0
	s_mov_b64 s[4:5], 0
.LBB34_291:                             ;   Parent Loop BB34_280 Depth=1
                                        ; =>  This Inner Loop Header: Depth=2
	s_delay_alu instid0(SALU_CYCLE_1) | instskip(SKIP_1) | instid1(SALU_CYCLE_1)
	v_add_nc_u64_e32 v[6:7], s[4:5], v[12:13]
	s_add_nc_u64 s[4:5], s[4:5], 1
	v_cmp_eq_u32_e32 vcc_lo, s4, v14
	global_load_u8 v6, v[6:7], off
	s_wait_xcnt 0x0
	v_mov_b32_e32 v7, s10
	s_or_b32 s13, vcc_lo, s13
	s_wait_loadcnt 0x0
	v_and_b32_e32 v6, 0xffff, v6
	s_delay_alu instid0(VALU_DEP_1) | instskip(SKIP_1) | instid1(VALU_DEP_1)
	v_lshlrev_b64_e32 v[6:7], s0, v[6:7]
	s_add_nc_u64 s[0:1], s[0:1], 8
	v_or_b32_e32 v11, v7, v11
	s_delay_alu instid0(VALU_DEP_2)
	v_or_b32_e32 v10, v6, v10
	s_and_not1_b32 exec_lo, exec_lo, s13
	s_cbranch_execnz .LBB34_291
; %bb.292:                              ;   in Loop: Header=BB34_280 Depth=1
	s_or_b32 exec_lo, exec_lo, s13
.LBB34_293:                             ;   in Loop: Header=BB34_280 Depth=1
	s_delay_alu instid0(SALU_CYCLE_1)
	s_or_b32 exec_lo, exec_lo, s12
	v_mov_b64_e32 v[6:7], v[12:13]
                                        ; implicit-def: $vgpr14
.LBB34_294:                             ;   in Loop: Header=BB34_280 Depth=1
	s_or_saveexec_b32 s0, s11
	v_mov_b32_e32 v15, 0
	s_xor_b32 exec_lo, exec_lo, s0
	s_cbranch_execz .LBB34_296
; %bb.295:                              ;   in Loop: Header=BB34_280 Depth=1
	global_load_b64 v[10:11], v[12:13], off
	v_add_nc_u32_e32 v15, -8, v14
.LBB34_296:                             ;   in Loop: Header=BB34_280 Depth=1
	s_wait_xcnt 0x0
	s_or_b32 exec_lo, exec_lo, s0
	v_add_nc_u64_e32 v[16:17], 8, v[6:7]
	s_mov_b32 s0, exec_lo
	v_cmpx_gt_u32_e32 8, v15
	s_xor_b32 s11, exec_lo, s0
	s_cbranch_execz .LBB34_302
; %bb.297:                              ;   in Loop: Header=BB34_280 Depth=1
	v_mov_b64_e32 v[12:13], 0
	s_mov_b32 s12, exec_lo
	v_cmpx_ne_u32_e32 0, v15
	s_cbranch_execz .LBB34_301
; %bb.298:                              ;   in Loop: Header=BB34_280 Depth=1
	v_mov_b64_e32 v[12:13], 0
	s_mov_b64 s[0:1], 0
	s_mov_b32 s13, 0
	s_mov_b64 s[4:5], 0
.LBB34_299:                             ;   Parent Loop BB34_280 Depth=1
                                        ; =>  This Inner Loop Header: Depth=2
	s_delay_alu instid0(SALU_CYCLE_1) | instskip(SKIP_1) | instid1(SALU_CYCLE_1)
	v_add_nc_u64_e32 v[16:17], s[4:5], v[6:7]
	s_add_nc_u64 s[4:5], s[4:5], 1
	v_cmp_eq_u32_e32 vcc_lo, s4, v15
	global_load_u8 v14, v[16:17], off
	s_wait_xcnt 0x0
	v_mov_b32_e32 v17, s10
	s_or_b32 s13, vcc_lo, s13
	s_wait_loadcnt 0x0
	v_and_b32_e32 v16, 0xffff, v14
	s_delay_alu instid0(VALU_DEP_1) | instskip(SKIP_1) | instid1(VALU_DEP_1)
	v_lshlrev_b64_e32 v[16:17], s0, v[16:17]
	s_add_nc_u64 s[0:1], s[0:1], 8
	v_or_b32_e32 v13, v17, v13
	s_delay_alu instid0(VALU_DEP_2)
	v_or_b32_e32 v12, v16, v12
	s_and_not1_b32 exec_lo, exec_lo, s13
	s_cbranch_execnz .LBB34_299
; %bb.300:                              ;   in Loop: Header=BB34_280 Depth=1
	s_or_b32 exec_lo, exec_lo, s13
.LBB34_301:                             ;   in Loop: Header=BB34_280 Depth=1
	s_delay_alu instid0(SALU_CYCLE_1)
	s_or_b32 exec_lo, exec_lo, s12
	v_mov_b64_e32 v[16:17], v[6:7]
                                        ; implicit-def: $vgpr15
.LBB34_302:                             ;   in Loop: Header=BB34_280 Depth=1
	s_or_saveexec_b32 s0, s11
	v_mov_b32_e32 v18, 0
	s_xor_b32 exec_lo, exec_lo, s0
	s_cbranch_execz .LBB34_304
; %bb.303:                              ;   in Loop: Header=BB34_280 Depth=1
	global_load_b64 v[12:13], v[6:7], off
	v_add_nc_u32_e32 v18, -8, v15
.LBB34_304:                             ;   in Loop: Header=BB34_280 Depth=1
	s_wait_xcnt 0x0
	s_or_b32 exec_lo, exec_lo, s0
	v_add_nc_u64_e32 v[6:7], 8, v[16:17]
                                        ; implicit-def: $vgpr14_vgpr15
	s_mov_b32 s0, exec_lo
	v_cmpx_gt_u32_e32 8, v18
	s_xor_b32 s11, exec_lo, s0
	s_cbranch_execz .LBB34_310
; %bb.305:                              ;   in Loop: Header=BB34_280 Depth=1
	v_mov_b64_e32 v[14:15], 0
	s_mov_b32 s12, exec_lo
	v_cmpx_ne_u32_e32 0, v18
	s_cbranch_execz .LBB34_309
; %bb.306:                              ;   in Loop: Header=BB34_280 Depth=1
	v_mov_b64_e32 v[14:15], 0
	s_mov_b64 s[0:1], 0
	s_mov_b32 s13, 0
	s_mov_b64 s[4:5], 0
.LBB34_307:                             ;   Parent Loop BB34_280 Depth=1
                                        ; =>  This Inner Loop Header: Depth=2
	s_delay_alu instid0(SALU_CYCLE_1) | instskip(SKIP_1) | instid1(SALU_CYCLE_1)
	v_add_nc_u64_e32 v[6:7], s[4:5], v[16:17]
	s_add_nc_u64 s[4:5], s[4:5], 1
	v_cmp_eq_u32_e32 vcc_lo, s4, v18
	global_load_u8 v6, v[6:7], off
	s_wait_xcnt 0x0
	v_mov_b32_e32 v7, s10
	s_or_b32 s13, vcc_lo, s13
	s_wait_loadcnt 0x0
	v_and_b32_e32 v6, 0xffff, v6
	s_delay_alu instid0(VALU_DEP_1) | instskip(SKIP_1) | instid1(VALU_DEP_1)
	v_lshlrev_b64_e32 v[6:7], s0, v[6:7]
	s_add_nc_u64 s[0:1], s[0:1], 8
	v_or_b32_e32 v15, v7, v15
	s_delay_alu instid0(VALU_DEP_2)
	v_or_b32_e32 v14, v6, v14
	s_and_not1_b32 exec_lo, exec_lo, s13
	s_cbranch_execnz .LBB34_307
; %bb.308:                              ;   in Loop: Header=BB34_280 Depth=1
	s_or_b32 exec_lo, exec_lo, s13
.LBB34_309:                             ;   in Loop: Header=BB34_280 Depth=1
	s_delay_alu instid0(SALU_CYCLE_1)
	s_or_b32 exec_lo, exec_lo, s12
	v_mov_b64_e32 v[6:7], v[16:17]
                                        ; implicit-def: $vgpr18
.LBB34_310:                             ;   in Loop: Header=BB34_280 Depth=1
	s_or_saveexec_b32 s0, s11
	v_mov_b32_e32 v19, 0
	s_xor_b32 exec_lo, exec_lo, s0
	s_cbranch_execz .LBB34_312
; %bb.311:                              ;   in Loop: Header=BB34_280 Depth=1
	global_load_b64 v[14:15], v[16:17], off
	v_add_nc_u32_e32 v19, -8, v18
.LBB34_312:                             ;   in Loop: Header=BB34_280 Depth=1
	s_wait_xcnt 0x0
	s_or_b32 exec_lo, exec_lo, s0
	v_add_nc_u64_e32 v[20:21], 8, v[6:7]
	s_mov_b32 s0, exec_lo
	v_cmpx_gt_u32_e32 8, v19
	s_xor_b32 s11, exec_lo, s0
	s_cbranch_execz .LBB34_318
; %bb.313:                              ;   in Loop: Header=BB34_280 Depth=1
	v_mov_b64_e32 v[16:17], 0
	s_mov_b32 s12, exec_lo
	v_cmpx_ne_u32_e32 0, v19
	s_cbranch_execz .LBB34_317
; %bb.314:                              ;   in Loop: Header=BB34_280 Depth=1
	v_mov_b64_e32 v[16:17], 0
	s_mov_b64 s[0:1], 0
	s_mov_b32 s13, 0
	s_mov_b64 s[4:5], 0
.LBB34_315:                             ;   Parent Loop BB34_280 Depth=1
                                        ; =>  This Inner Loop Header: Depth=2
	s_delay_alu instid0(SALU_CYCLE_1) | instskip(SKIP_1) | instid1(SALU_CYCLE_1)
	v_add_nc_u64_e32 v[20:21], s[4:5], v[6:7]
	s_add_nc_u64 s[4:5], s[4:5], 1
	v_cmp_eq_u32_e32 vcc_lo, s4, v19
	global_load_u8 v18, v[20:21], off
	s_wait_xcnt 0x0
	v_mov_b32_e32 v21, s10
	s_or_b32 s13, vcc_lo, s13
	s_wait_loadcnt 0x0
	v_and_b32_e32 v20, 0xffff, v18
	s_delay_alu instid0(VALU_DEP_1) | instskip(SKIP_1) | instid1(VALU_DEP_1)
	v_lshlrev_b64_e32 v[20:21], s0, v[20:21]
	s_add_nc_u64 s[0:1], s[0:1], 8
	v_or_b32_e32 v17, v21, v17
	s_delay_alu instid0(VALU_DEP_2)
	v_or_b32_e32 v16, v20, v16
	s_and_not1_b32 exec_lo, exec_lo, s13
	s_cbranch_execnz .LBB34_315
; %bb.316:                              ;   in Loop: Header=BB34_280 Depth=1
	s_or_b32 exec_lo, exec_lo, s13
.LBB34_317:                             ;   in Loop: Header=BB34_280 Depth=1
	s_delay_alu instid0(SALU_CYCLE_1)
	s_or_b32 exec_lo, exec_lo, s12
	v_mov_b64_e32 v[20:21], v[6:7]
                                        ; implicit-def: $vgpr19
.LBB34_318:                             ;   in Loop: Header=BB34_280 Depth=1
	s_or_saveexec_b32 s0, s11
	v_mov_b32_e32 v22, 0
	s_xor_b32 exec_lo, exec_lo, s0
	s_cbranch_execz .LBB34_320
; %bb.319:                              ;   in Loop: Header=BB34_280 Depth=1
	global_load_b64 v[16:17], v[6:7], off
	v_add_nc_u32_e32 v22, -8, v19
.LBB34_320:                             ;   in Loop: Header=BB34_280 Depth=1
	s_wait_xcnt 0x0
	s_or_b32 exec_lo, exec_lo, s0
	v_add_nc_u64_e32 v[6:7], 8, v[20:21]
                                        ; implicit-def: $vgpr18_vgpr19
	s_mov_b32 s0, exec_lo
	v_cmpx_gt_u32_e32 8, v22
	s_xor_b32 s11, exec_lo, s0
	s_cbranch_execz .LBB34_326
; %bb.321:                              ;   in Loop: Header=BB34_280 Depth=1
	v_mov_b64_e32 v[18:19], 0
	s_mov_b32 s12, exec_lo
	v_cmpx_ne_u32_e32 0, v22
	s_cbranch_execz .LBB34_325
; %bb.322:                              ;   in Loop: Header=BB34_280 Depth=1
	v_mov_b64_e32 v[18:19], 0
	s_mov_b64 s[0:1], 0
	s_mov_b32 s13, 0
	s_mov_b64 s[4:5], 0
.LBB34_323:                             ;   Parent Loop BB34_280 Depth=1
                                        ; =>  This Inner Loop Header: Depth=2
	s_delay_alu instid0(SALU_CYCLE_1) | instskip(SKIP_1) | instid1(SALU_CYCLE_1)
	v_add_nc_u64_e32 v[6:7], s[4:5], v[20:21]
	s_add_nc_u64 s[4:5], s[4:5], 1
	v_cmp_eq_u32_e32 vcc_lo, s4, v22
	global_load_u8 v6, v[6:7], off
	s_wait_xcnt 0x0
	v_mov_b32_e32 v7, s10
	s_or_b32 s13, vcc_lo, s13
	s_wait_loadcnt 0x0
	v_and_b32_e32 v6, 0xffff, v6
	s_delay_alu instid0(VALU_DEP_1) | instskip(SKIP_1) | instid1(VALU_DEP_1)
	v_lshlrev_b64_e32 v[6:7], s0, v[6:7]
	s_add_nc_u64 s[0:1], s[0:1], 8
	v_or_b32_e32 v19, v7, v19
	s_delay_alu instid0(VALU_DEP_2)
	v_or_b32_e32 v18, v6, v18
	s_and_not1_b32 exec_lo, exec_lo, s13
	s_cbranch_execnz .LBB34_323
; %bb.324:                              ;   in Loop: Header=BB34_280 Depth=1
	s_or_b32 exec_lo, exec_lo, s13
.LBB34_325:                             ;   in Loop: Header=BB34_280 Depth=1
	s_delay_alu instid0(SALU_CYCLE_1)
	s_or_b32 exec_lo, exec_lo, s12
	v_mov_b64_e32 v[6:7], v[20:21]
                                        ; implicit-def: $vgpr22
.LBB34_326:                             ;   in Loop: Header=BB34_280 Depth=1
	s_or_saveexec_b32 s0, s11
	v_mov_b32_e32 v23, 0
	s_xor_b32 exec_lo, exec_lo, s0
	s_cbranch_execz .LBB34_328
; %bb.327:                              ;   in Loop: Header=BB34_280 Depth=1
	global_load_b64 v[18:19], v[20:21], off
	v_add_nc_u32_e32 v23, -8, v22
.LBB34_328:                             ;   in Loop: Header=BB34_280 Depth=1
	s_wait_xcnt 0x0
	s_or_b32 exec_lo, exec_lo, s0
	s_delay_alu instid0(SALU_CYCLE_1) | instskip(NEXT) | instid1(VALU_DEP_1)
	s_mov_b32 s0, exec_lo
	v_cmpx_gt_u32_e32 8, v23
	s_xor_b32 s4, exec_lo, s0
	s_cbranch_execz .LBB34_334
; %bb.329:                              ;   in Loop: Header=BB34_280 Depth=1
	v_mov_b64_e32 v[20:21], 0
	s_mov_b32 s5, exec_lo
	v_cmpx_ne_u32_e32 0, v23
	s_cbranch_execz .LBB34_333
; %bb.330:                              ;   in Loop: Header=BB34_280 Depth=1
	v_mov_b64_e32 v[20:21], 0
	s_mov_b64 s[0:1], 0
	s_mov_b32 s11, 0
.LBB34_331:                             ;   Parent Loop BB34_280 Depth=1
                                        ; =>  This Inner Loop Header: Depth=2
	global_load_u8 v22, v[6:7], off
	v_dual_mov_b32 v25, s10 :: v_dual_add_nc_u32 v23, -1, v23
	s_wait_xcnt 0x0
	v_add_nc_u64_e32 v[6:7], 1, v[6:7]
	s_delay_alu instid0(VALU_DEP_2) | instskip(SKIP_3) | instid1(VALU_DEP_1)
	v_cmp_eq_u32_e32 vcc_lo, 0, v23
	s_or_b32 s11, vcc_lo, s11
	s_wait_loadcnt 0x0
	v_and_b32_e32 v24, 0xffff, v22
	v_lshlrev_b64_e32 v[24:25], s0, v[24:25]
	s_add_nc_u64 s[0:1], s[0:1], 8
	s_delay_alu instid0(VALU_DEP_1) | instskip(NEXT) | instid1(VALU_DEP_2)
	v_or_b32_e32 v21, v25, v21
	v_or_b32_e32 v20, v24, v20
	s_and_not1_b32 exec_lo, exec_lo, s11
	s_cbranch_execnz .LBB34_331
; %bb.332:                              ;   in Loop: Header=BB34_280 Depth=1
	s_or_b32 exec_lo, exec_lo, s11
.LBB34_333:                             ;   in Loop: Header=BB34_280 Depth=1
	s_delay_alu instid0(SALU_CYCLE_1)
	s_or_b32 exec_lo, exec_lo, s5
                                        ; implicit-def: $vgpr6_vgpr7
.LBB34_334:                             ;   in Loop: Header=BB34_280 Depth=1
	s_and_not1_saveexec_b32 s0, s4
	s_cbranch_execz .LBB34_336
; %bb.335:                              ;   in Loop: Header=BB34_280 Depth=1
	global_load_b64 v[20:21], v[6:7], off
.LBB34_336:                             ;   in Loop: Header=BB34_280 Depth=1
	s_wait_xcnt 0x0
	s_or_b32 exec_lo, exec_lo, s0
	v_readfirstlane_b32 s0, v48
	v_mov_b64_e32 v[6:7], 0
	s_delay_alu instid0(VALU_DEP_2)
	v_cmp_eq_u32_e64 s0, s0, v48
	s_and_saveexec_b32 s1, s0
	s_cbranch_execz .LBB34_342
; %bb.337:                              ;   in Loop: Header=BB34_280 Depth=1
	global_load_b64 v[24:25], v31, s[2:3] offset:24 scope:SCOPE_SYS
	s_wait_loadcnt 0x0
	global_inv scope:SCOPE_SYS
	s_clause 0x1
	global_load_b64 v[6:7], v31, s[2:3] offset:40
	global_load_b64 v[22:23], v31, s[2:3]
	s_mov_b32 s4, exec_lo
	s_wait_loadcnt 0x1
	v_and_b32_e32 v6, v6, v24
	v_and_b32_e32 v7, v7, v25
	s_delay_alu instid0(VALU_DEP_1) | instskip(SKIP_1) | instid1(VALU_DEP_1)
	v_mul_u64_e32 v[6:7], 24, v[6:7]
	s_wait_loadcnt 0x0
	v_add_nc_u64_e32 v[6:7], v[22:23], v[6:7]
	global_load_b64 v[22:23], v[6:7], off scope:SCOPE_SYS
	s_wait_xcnt 0x0
	s_wait_loadcnt 0x0
	global_atomic_cmpswap_b64 v[6:7], v31, v[22:25], s[2:3] offset:24 th:TH_ATOMIC_RETURN scope:SCOPE_SYS
	s_wait_loadcnt 0x0
	global_inv scope:SCOPE_SYS
	s_wait_xcnt 0x0
	v_cmpx_ne_u64_e64 v[6:7], v[24:25]
	s_cbranch_execz .LBB34_341
; %bb.338:                              ;   in Loop: Header=BB34_280 Depth=1
	s_mov_b32 s5, 0
.LBB34_339:                             ;   Parent Loop BB34_280 Depth=1
                                        ; =>  This Inner Loop Header: Depth=2
	s_sleep 1
	s_clause 0x1
	global_load_b64 v[22:23], v31, s[2:3] offset:40
	global_load_b64 v[34:35], v31, s[2:3]
	v_mov_b64_e32 v[24:25], v[6:7]
	s_wait_loadcnt 0x1
	s_delay_alu instid0(VALU_DEP_1) | instskip(NEXT) | instid1(VALU_DEP_2)
	v_and_b32_e32 v6, v22, v24
	v_and_b32_e32 v22, v23, v25
	s_wait_loadcnt 0x0
	s_delay_alu instid0(VALU_DEP_2) | instskip(NEXT) | instid1(VALU_DEP_1)
	v_mad_nc_u64_u32 v[6:7], v6, 24, v[34:35]
	v_mad_u32 v7, v22, 24, v7
	global_load_b64 v[22:23], v[6:7], off scope:SCOPE_SYS
	s_wait_xcnt 0x0
	s_wait_loadcnt 0x0
	global_atomic_cmpswap_b64 v[6:7], v31, v[22:25], s[2:3] offset:24 th:TH_ATOMIC_RETURN scope:SCOPE_SYS
	s_wait_loadcnt 0x0
	global_inv scope:SCOPE_SYS
	v_cmp_eq_u64_e32 vcc_lo, v[6:7], v[24:25]
	s_or_b32 s5, vcc_lo, s5
	s_wait_xcnt 0x0
	s_and_not1_b32 exec_lo, exec_lo, s5
	s_cbranch_execnz .LBB34_339
; %bb.340:                              ;   in Loop: Header=BB34_280 Depth=1
	s_or_b32 exec_lo, exec_lo, s5
.LBB34_341:                             ;   in Loop: Header=BB34_280 Depth=1
	s_delay_alu instid0(SALU_CYCLE_1)
	s_or_b32 exec_lo, exec_lo, s4
.LBB34_342:                             ;   in Loop: Header=BB34_280 Depth=1
	s_delay_alu instid0(SALU_CYCLE_1)
	s_or_b32 exec_lo, exec_lo, s1
	s_clause 0x1
	global_load_b64 v[34:35], v31, s[2:3] offset:40
	global_load_b128 v[22:25], v31, s[2:3]
	v_readfirstlane_b32 s4, v6
	v_readfirstlane_b32 s5, v7
	s_mov_b32 s1, exec_lo
	s_wait_loadcnt 0x1
	v_and_b32_e32 v36, s4, v34
	v_and_b32_e32 v37, s5, v35
	s_delay_alu instid0(VALU_DEP_1) | instskip(SKIP_1) | instid1(VALU_DEP_1)
	v_mul_u64_e32 v[6:7], 24, v[36:37]
	s_wait_loadcnt 0x0
	v_add_nc_u64_e32 v[34:35], v[22:23], v[6:7]
	s_wait_xcnt 0x0
	s_and_saveexec_b32 s11, s0
	s_cbranch_execz .LBB34_344
; %bb.343:                              ;   in Loop: Header=BB34_280 Depth=1
	v_dual_mov_b32 v6, s1 :: v_dual_mov_b32 v7, v31
	global_store_b128 v[34:35], v[6:9], off offset:8
.LBB34_344:                             ;   in Loop: Header=BB34_280 Depth=1
	s_wait_xcnt 0x0
	s_or_b32 exec_lo, exec_lo, s11
	v_cmp_gt_u64_e32 vcc_lo, 57, v[26:27]
	v_lshlrev_b64_e32 v[6:7], 12, v[36:37]
	v_and_b32_e32 v0, 0xffffff1f, v0
	v_lshl_add_u32 v36, v32, 2, 28
	v_cndmask_b32_e32 v29, 0, v28, vcc_lo
	s_delay_alu instid0(VALU_DEP_4) | instskip(NEXT) | instid1(VALU_DEP_2)
	v_add_nc_u64_e32 v[6:7], v[24:25], v[6:7]
	v_or_b32_e32 v0, v0, v29
	s_delay_alu instid0(VALU_DEP_2) | instskip(NEXT) | instid1(VALU_DEP_3)
	v_readfirstlane_b32 s12, v6
	v_readfirstlane_b32 s13, v7
	s_delay_alu instid0(VALU_DEP_3)
	v_and_or_b32 v0, 0x1e0, v36, v0
	s_clause 0x3
	global_store_b128 v30, v[0:3], s[12:13]
	global_store_b128 v30, v[10:13], s[12:13] offset:16
	global_store_b128 v30, v[14:17], s[12:13] offset:32
	;; [unrolled: 1-line block ×3, first 2 shown]
	s_wait_xcnt 0x0
	s_and_saveexec_b32 s1, s0
	s_cbranch_execz .LBB34_352
; %bb.345:                              ;   in Loop: Header=BB34_280 Depth=1
	s_clause 0x1
	global_load_b64 v[14:15], v31, s[2:3] offset:32 scope:SCOPE_SYS
	global_load_b64 v[0:1], v31, s[2:3] offset:40
	s_mov_b32 s11, exec_lo
	v_dual_mov_b32 v12, s4 :: v_dual_mov_b32 v13, s5
	s_wait_loadcnt 0x0
	v_and_b32_e32 v1, s5, v1
	v_and_b32_e32 v0, s4, v0
	s_delay_alu instid0(VALU_DEP_1) | instskip(NEXT) | instid1(VALU_DEP_1)
	v_mul_u64_e32 v[0:1], 24, v[0:1]
	v_add_nc_u64_e32 v[10:11], v[22:23], v[0:1]
	global_store_b64 v[10:11], v[14:15], off
	global_wb scope:SCOPE_SYS
	s_wait_storecnt 0x0
	s_wait_xcnt 0x0
	global_atomic_cmpswap_b64 v[2:3], v31, v[12:15], s[2:3] offset:32 th:TH_ATOMIC_RETURN scope:SCOPE_SYS
	s_wait_loadcnt 0x0
	v_cmpx_ne_u64_e64 v[2:3], v[14:15]
	s_cbranch_execz .LBB34_348
; %bb.346:                              ;   in Loop: Header=BB34_280 Depth=1
	s_mov_b32 s12, 0
.LBB34_347:                             ;   Parent Loop BB34_280 Depth=1
                                        ; =>  This Inner Loop Header: Depth=2
	v_dual_mov_b32 v0, s4 :: v_dual_mov_b32 v1, s5
	s_sleep 1
	global_store_b64 v[10:11], v[2:3], off
	global_wb scope:SCOPE_SYS
	s_wait_storecnt 0x0
	s_wait_xcnt 0x0
	global_atomic_cmpswap_b64 v[0:1], v31, v[0:3], s[2:3] offset:32 th:TH_ATOMIC_RETURN scope:SCOPE_SYS
	s_wait_loadcnt 0x0
	v_cmp_eq_u64_e32 vcc_lo, v[0:1], v[2:3]
	v_mov_b64_e32 v[2:3], v[0:1]
	s_or_b32 s12, vcc_lo, s12
	s_delay_alu instid0(SALU_CYCLE_1)
	s_and_not1_b32 exec_lo, exec_lo, s12
	s_cbranch_execnz .LBB34_347
.LBB34_348:                             ;   in Loop: Header=BB34_280 Depth=1
	s_or_b32 exec_lo, exec_lo, s11
	global_load_b64 v[0:1], v31, s[2:3] offset:16
	s_mov_b32 s12, exec_lo
	s_mov_b32 s11, exec_lo
	v_mbcnt_lo_u32_b32 v2, s12, 0
	s_wait_xcnt 0x0
	s_delay_alu instid0(VALU_DEP_1)
	v_cmpx_eq_u32_e32 0, v2
	s_cbranch_execz .LBB34_350
; %bb.349:                              ;   in Loop: Header=BB34_280 Depth=1
	s_bcnt1_i32_b32 s12, s12
	s_delay_alu instid0(SALU_CYCLE_1)
	v_dual_mov_b32 v3, v31 :: v_dual_mov_b32 v2, s12
	global_wb scope:SCOPE_SYS
	s_wait_loadcnt 0x0
	s_wait_storecnt 0x0
	global_atomic_add_u64 v[0:1], v[2:3], off offset:8 scope:SCOPE_SYS
.LBB34_350:                             ;   in Loop: Header=BB34_280 Depth=1
	s_wait_xcnt 0x0
	s_or_b32 exec_lo, exec_lo, s11
	s_wait_loadcnt 0x0
	global_load_b64 v[2:3], v[0:1], off offset:16
	s_wait_loadcnt 0x0
	v_cmp_eq_u64_e32 vcc_lo, 0, v[2:3]
	s_cbranch_vccnz .LBB34_352
; %bb.351:                              ;   in Loop: Header=BB34_280 Depth=1
	global_load_b32 v0, v[0:1], off offset:24
	s_wait_xcnt 0x0
	v_mov_b32_e32 v1, v31
	s_wait_loadcnt 0x0
	v_readfirstlane_b32 s11, v0
	global_wb scope:SCOPE_SYS
	s_wait_storecnt 0x0
	global_store_b64 v[2:3], v[0:1], off scope:SCOPE_SYS
	s_and_b32 m0, s11, 0xffffff
	s_sendmsg sendmsg(MSG_INTERRUPT)
.LBB34_352:                             ;   in Loop: Header=BB34_280 Depth=1
	s_wait_xcnt 0x0
	s_or_b32 exec_lo, exec_lo, s1
	v_add_nc_u64_e32 v[0:1], v[6:7], v[30:31]
	s_branch .LBB34_356
.LBB34_353:                             ;   in Loop: Header=BB34_356 Depth=2
	s_wait_xcnt 0x0
	s_or_b32 exec_lo, exec_lo, s1
	s_delay_alu instid0(VALU_DEP_1)
	v_readfirstlane_b32 s1, v2
	s_cmp_eq_u32 s1, 0
	s_cbranch_scc1 .LBB34_355
; %bb.354:                              ;   in Loop: Header=BB34_356 Depth=2
	s_sleep 1
	s_cbranch_execnz .LBB34_356
	s_branch .LBB34_358
.LBB34_355:                             ;   in Loop: Header=BB34_280 Depth=1
	s_branch .LBB34_358
.LBB34_356:                             ;   Parent Loop BB34_280 Depth=1
                                        ; =>  This Inner Loop Header: Depth=2
	v_mov_b32_e32 v2, 1
	s_and_saveexec_b32 s1, s0
	s_cbranch_execz .LBB34_353
; %bb.357:                              ;   in Loop: Header=BB34_356 Depth=2
	global_load_b32 v2, v[34:35], off offset:20 scope:SCOPE_SYS
	s_wait_loadcnt 0x0
	global_inv scope:SCOPE_SYS
	v_and_b32_e32 v2, 1, v2
	s_branch .LBB34_353
.LBB34_358:                             ;   in Loop: Header=BB34_280 Depth=1
	global_load_b64 v[0:1], v[0:1], off
	s_wait_xcnt 0x0
	s_and_saveexec_b32 s11, s0
	s_cbranch_execz .LBB34_279
; %bb.359:                              ;   in Loop: Header=BB34_280 Depth=1
	s_clause 0x2
	global_load_b64 v[2:3], v31, s[2:3] offset:40
	global_load_b64 v[14:15], v31, s[2:3] offset:24 scope:SCOPE_SYS
	global_load_b64 v[6:7], v31, s[2:3]
	s_wait_loadcnt 0x2
	v_readfirstlane_b32 s12, v2
	v_readfirstlane_b32 s13, v3
	s_add_nc_u64 s[0:1], s[12:13], 1
	s_delay_alu instid0(SALU_CYCLE_1) | instskip(NEXT) | instid1(SALU_CYCLE_1)
	s_add_nc_u64 s[4:5], s[0:1], s[4:5]
	s_cmp_eq_u64 s[4:5], 0
	s_cselect_b32 s1, s1, s5
	s_cselect_b32 s0, s0, s4
	s_delay_alu instid0(SALU_CYCLE_1) | instskip(SKIP_1) | instid1(SALU_CYCLE_1)
	v_dual_mov_b32 v13, s1 :: v_dual_mov_b32 v12, s0
	s_and_b64 s[4:5], s[0:1], s[12:13]
	s_mul_u64 s[4:5], s[4:5], 24
	s_wait_loadcnt 0x0
	v_add_nc_u64_e32 v[2:3], s[4:5], v[6:7]
	global_store_b64 v[2:3], v[14:15], off
	global_wb scope:SCOPE_SYS
	s_wait_storecnt 0x0
	s_wait_xcnt 0x0
	global_atomic_cmpswap_b64 v[12:13], v31, v[12:15], s[2:3] offset:24 th:TH_ATOMIC_RETURN scope:SCOPE_SYS
	s_wait_loadcnt 0x0
	v_cmp_ne_u64_e32 vcc_lo, v[12:13], v[14:15]
	s_and_b32 exec_lo, exec_lo, vcc_lo
	s_cbranch_execz .LBB34_279
; %bb.360:                              ;   in Loop: Header=BB34_280 Depth=1
	s_mov_b32 s4, 0
.LBB34_361:                             ;   Parent Loop BB34_280 Depth=1
                                        ; =>  This Inner Loop Header: Depth=2
	v_dual_mov_b32 v10, s0 :: v_dual_mov_b32 v11, s1
	s_sleep 1
	global_store_b64 v[2:3], v[12:13], off
	global_wb scope:SCOPE_SYS
	s_wait_storecnt 0x0
	s_wait_xcnt 0x0
	global_atomic_cmpswap_b64 v[6:7], v31, v[10:13], s[2:3] offset:24 th:TH_ATOMIC_RETURN scope:SCOPE_SYS
	s_wait_loadcnt 0x0
	v_cmp_eq_u64_e32 vcc_lo, v[6:7], v[12:13]
	v_mov_b64_e32 v[12:13], v[6:7]
	s_or_b32 s4, vcc_lo, s4
	s_delay_alu instid0(SALU_CYCLE_1)
	s_and_not1_b32 exec_lo, exec_lo, s4
	s_cbranch_execnz .LBB34_361
	s_branch .LBB34_279
.LBB34_362:
	s_or_b32 exec_lo, exec_lo, s7
                                        ; implicit-def: $vgpr30
                                        ; implicit-def: $vgpr48
.LBB34_363:
	s_and_not1_saveexec_b32 s6, s6
	s_cbranch_execz .LBB34_391
; %bb.364:
	v_readfirstlane_b32 s0, v48
	v_mov_b64_e32 v[2:3], 0
	s_delay_alu instid0(VALU_DEP_2)
	v_cmp_eq_u32_e64 s0, s0, v48
	s_and_saveexec_b32 s1, s0
	s_cbranch_execz .LBB34_370
; %bb.365:
	v_mov_b32_e32 v4, 0
	s_mov_b32 s4, exec_lo
	global_load_b64 v[8:9], v4, s[2:3] offset:24 scope:SCOPE_SYS
	s_wait_loadcnt 0x0
	global_inv scope:SCOPE_SYS
	s_clause 0x1
	global_load_b64 v[2:3], v4, s[2:3] offset:40
	global_load_b64 v[6:7], v4, s[2:3]
	s_wait_loadcnt 0x1
	v_and_b32_e32 v2, v2, v8
	v_and_b32_e32 v3, v3, v9
	s_delay_alu instid0(VALU_DEP_1) | instskip(SKIP_1) | instid1(VALU_DEP_1)
	v_mul_u64_e32 v[2:3], 24, v[2:3]
	s_wait_loadcnt 0x0
	v_add_nc_u64_e32 v[2:3], v[6:7], v[2:3]
	global_load_b64 v[6:7], v[2:3], off scope:SCOPE_SYS
	s_wait_xcnt 0x0
	s_wait_loadcnt 0x0
	global_atomic_cmpswap_b64 v[2:3], v4, v[6:9], s[2:3] offset:24 th:TH_ATOMIC_RETURN scope:SCOPE_SYS
	s_wait_loadcnt 0x0
	global_inv scope:SCOPE_SYS
	s_wait_xcnt 0x0
	v_cmpx_ne_u64_e64 v[2:3], v[8:9]
	s_cbranch_execz .LBB34_369
; %bb.366:
	s_mov_b32 s5, 0
.LBB34_367:                             ; =>This Inner Loop Header: Depth=1
	s_sleep 1
	s_clause 0x1
	global_load_b64 v[6:7], v4, s[2:3] offset:40
	global_load_b64 v[10:11], v4, s[2:3]
	v_mov_b64_e32 v[8:9], v[2:3]
	s_wait_loadcnt 0x1
	s_delay_alu instid0(VALU_DEP_1) | instskip(NEXT) | instid1(VALU_DEP_2)
	v_and_b32_e32 v2, v6, v8
	v_and_b32_e32 v5, v7, v9
	s_wait_loadcnt 0x0
	s_delay_alu instid0(VALU_DEP_2) | instskip(NEXT) | instid1(VALU_DEP_1)
	v_mad_nc_u64_u32 v[2:3], v2, 24, v[10:11]
	v_mad_u32 v3, v5, 24, v3
	global_load_b64 v[6:7], v[2:3], off scope:SCOPE_SYS
	s_wait_xcnt 0x0
	s_wait_loadcnt 0x0
	global_atomic_cmpswap_b64 v[2:3], v4, v[6:9], s[2:3] offset:24 th:TH_ATOMIC_RETURN scope:SCOPE_SYS
	s_wait_loadcnt 0x0
	global_inv scope:SCOPE_SYS
	v_cmp_eq_u64_e32 vcc_lo, v[2:3], v[8:9]
	s_or_b32 s5, vcc_lo, s5
	s_wait_xcnt 0x0
	s_and_not1_b32 exec_lo, exec_lo, s5
	s_cbranch_execnz .LBB34_367
; %bb.368:
	s_or_b32 exec_lo, exec_lo, s5
.LBB34_369:
	s_delay_alu instid0(SALU_CYCLE_1)
	s_or_b32 exec_lo, exec_lo, s4
.LBB34_370:
	s_delay_alu instid0(SALU_CYCLE_1)
	s_or_b32 exec_lo, exec_lo, s1
	v_readfirstlane_b32 s4, v2
	v_mov_b32_e32 v31, 0
	v_readfirstlane_b32 s5, v3
	s_mov_b32 s1, exec_lo
	s_clause 0x1
	global_load_b64 v[8:9], v31, s[2:3] offset:40
	global_load_b128 v[4:7], v31, s[2:3]
	s_wait_loadcnt 0x1
	v_and_b32_e32 v2, s4, v8
	v_and_b32_e32 v3, s5, v9
	s_delay_alu instid0(VALU_DEP_1) | instskip(SKIP_1) | instid1(VALU_DEP_1)
	v_mul_u64_e32 v[8:9], 24, v[2:3]
	s_wait_loadcnt 0x0
	v_add_nc_u64_e32 v[8:9], v[4:5], v[8:9]
	s_wait_xcnt 0x0
	s_and_saveexec_b32 s7, s0
	s_cbranch_execz .LBB34_372
; %bb.371:
	v_mov_b64_e32 v[12:13], 0x100000002
	v_dual_mov_b32 v10, s1 :: v_dual_mov_b32 v11, v31
	global_store_b128 v[8:9], v[10:13], off offset:8
.LBB34_372:
	s_wait_xcnt 0x0
	s_or_b32 exec_lo, exec_lo, s7
	v_lshlrev_b64_e32 v[2:3], 12, v[2:3]
	s_mov_b32 s12, 0
	v_and_or_b32 v0, 0xffffff1f, v0, 32
	s_mov_b32 s13, s12
	s_mov_b32 s14, s12
	;; [unrolled: 1-line block ×3, first 2 shown]
	v_mov_b64_e32 v[10:11], s[12:13]
	v_add_nc_u64_e32 v[6:7], v[6:7], v[2:3]
	v_mov_b64_e32 v[12:13], s[14:15]
	v_dual_mov_b32 v2, v31 :: v_dual_mov_b32 v3, v31
	s_delay_alu instid0(VALU_DEP_3) | instskip(NEXT) | instid1(VALU_DEP_4)
	v_readfirstlane_b32 s10, v6
	v_readfirstlane_b32 s11, v7
	s_clause 0x3
	global_store_b128 v30, v[0:3], s[10:11]
	global_store_b128 v30, v[10:13], s[10:11] offset:16
	global_store_b128 v30, v[10:13], s[10:11] offset:32
	;; [unrolled: 1-line block ×3, first 2 shown]
	s_wait_xcnt 0x0
	s_and_saveexec_b32 s1, s0
	s_cbranch_execz .LBB34_380
; %bb.373:
	v_dual_mov_b32 v10, 0 :: v_dual_mov_b32 v13, s5
	s_mov_b32 s7, exec_lo
	s_clause 0x1
	global_load_b64 v[14:15], v10, s[2:3] offset:32 scope:SCOPE_SYS
	global_load_b64 v[0:1], v10, s[2:3] offset:40
	s_wait_loadcnt 0x0
	v_dual_mov_b32 v12, s4 :: v_dual_bitop2_b32 v1, s5, v1 bitop3:0x40
	v_and_b32_e32 v0, s4, v0
	s_delay_alu instid0(VALU_DEP_1) | instskip(NEXT) | instid1(VALU_DEP_1)
	v_mul_u64_e32 v[0:1], 24, v[0:1]
	v_add_nc_u64_e32 v[4:5], v[4:5], v[0:1]
	global_store_b64 v[4:5], v[14:15], off
	global_wb scope:SCOPE_SYS
	s_wait_storecnt 0x0
	s_wait_xcnt 0x0
	global_atomic_cmpswap_b64 v[2:3], v10, v[12:15], s[2:3] offset:32 th:TH_ATOMIC_RETURN scope:SCOPE_SYS
	s_wait_loadcnt 0x0
	v_cmpx_ne_u64_e64 v[2:3], v[14:15]
	s_cbranch_execz .LBB34_376
; %bb.374:
	s_mov_b32 s10, 0
.LBB34_375:                             ; =>This Inner Loop Header: Depth=1
	v_dual_mov_b32 v0, s4 :: v_dual_mov_b32 v1, s5
	s_sleep 1
	global_store_b64 v[4:5], v[2:3], off
	global_wb scope:SCOPE_SYS
	s_wait_storecnt 0x0
	s_wait_xcnt 0x0
	global_atomic_cmpswap_b64 v[0:1], v10, v[0:3], s[2:3] offset:32 th:TH_ATOMIC_RETURN scope:SCOPE_SYS
	s_wait_loadcnt 0x0
	v_cmp_eq_u64_e32 vcc_lo, v[0:1], v[2:3]
	v_mov_b64_e32 v[2:3], v[0:1]
	s_or_b32 s10, vcc_lo, s10
	s_delay_alu instid0(SALU_CYCLE_1)
	s_and_not1_b32 exec_lo, exec_lo, s10
	s_cbranch_execnz .LBB34_375
.LBB34_376:
	s_or_b32 exec_lo, exec_lo, s7
	v_mov_b32_e32 v3, 0
	s_mov_b32 s10, exec_lo
	s_mov_b32 s7, exec_lo
	v_mbcnt_lo_u32_b32 v2, s10, 0
	global_load_b64 v[0:1], v3, s[2:3] offset:16
	s_wait_xcnt 0x0
	v_cmpx_eq_u32_e32 0, v2
	s_cbranch_execz .LBB34_378
; %bb.377:
	s_bcnt1_i32_b32 s10, s10
	s_delay_alu instid0(SALU_CYCLE_1)
	v_mov_b32_e32 v2, s10
	global_wb scope:SCOPE_SYS
	s_wait_loadcnt 0x0
	s_wait_storecnt 0x0
	global_atomic_add_u64 v[0:1], v[2:3], off offset:8 scope:SCOPE_SYS
.LBB34_378:
	s_wait_xcnt 0x0
	s_or_b32 exec_lo, exec_lo, s7
	s_wait_loadcnt 0x0
	global_load_b64 v[2:3], v[0:1], off offset:16
	s_wait_loadcnt 0x0
	v_cmp_eq_u64_e32 vcc_lo, 0, v[2:3]
	s_cbranch_vccnz .LBB34_380
; %bb.379:
	global_load_b32 v0, v[0:1], off offset:24
	s_wait_xcnt 0x0
	v_mov_b32_e32 v1, 0
	s_wait_loadcnt 0x0
	v_readfirstlane_b32 s7, v0
	global_wb scope:SCOPE_SYS
	s_wait_storecnt 0x0
	global_store_b64 v[2:3], v[0:1], off scope:SCOPE_SYS
	s_and_b32 m0, s7, 0xffffff
	s_sendmsg sendmsg(MSG_INTERRUPT)
.LBB34_380:
	s_wait_xcnt 0x0
	s_or_b32 exec_lo, exec_lo, s1
	v_add_nc_u64_e32 v[0:1], v[6:7], v[30:31]
	s_branch .LBB34_384
.LBB34_381:                             ;   in Loop: Header=BB34_384 Depth=1
	s_wait_xcnt 0x0
	s_or_b32 exec_lo, exec_lo, s1
	s_delay_alu instid0(VALU_DEP_1)
	v_readfirstlane_b32 s1, v2
	s_cmp_eq_u32 s1, 0
	s_cbranch_scc1 .LBB34_383
; %bb.382:                              ;   in Loop: Header=BB34_384 Depth=1
	s_sleep 1
	s_cbranch_execnz .LBB34_384
	s_branch .LBB34_386
.LBB34_383:
	s_branch .LBB34_386
.LBB34_384:                             ; =>This Inner Loop Header: Depth=1
	v_mov_b32_e32 v2, 1
	s_and_saveexec_b32 s1, s0
	s_cbranch_execz .LBB34_381
; %bb.385:                              ;   in Loop: Header=BB34_384 Depth=1
	global_load_b32 v2, v[8:9], off offset:20 scope:SCOPE_SYS
	s_wait_loadcnt 0x0
	global_inv scope:SCOPE_SYS
	v_and_b32_e32 v2, 1, v2
	s_branch .LBB34_381
.LBB34_386:
	global_load_b64 v[0:1], v[0:1], off
	s_wait_xcnt 0x0
	s_and_saveexec_b32 s7, s0
	s_cbranch_execz .LBB34_390
; %bb.387:
	v_mov_b32_e32 v8, 0
	s_clause 0x2
	global_load_b64 v[2:3], v8, s[2:3] offset:40
	global_load_b64 v[12:13], v8, s[2:3] offset:24 scope:SCOPE_SYS
	global_load_b64 v[4:5], v8, s[2:3]
	s_wait_loadcnt 0x2
	v_readfirstlane_b32 s10, v2
	v_readfirstlane_b32 s11, v3
	s_add_nc_u64 s[0:1], s[10:11], 1
	s_delay_alu instid0(SALU_CYCLE_1) | instskip(NEXT) | instid1(SALU_CYCLE_1)
	s_add_nc_u64 s[4:5], s[0:1], s[4:5]
	s_cmp_eq_u64 s[4:5], 0
	s_cselect_b32 s1, s1, s5
	s_cselect_b32 s0, s0, s4
	v_mov_b32_e32 v11, s1
	s_and_b64 s[4:5], s[0:1], s[10:11]
	v_mov_b32_e32 v10, s0
	s_mul_u64 s[4:5], s[4:5], 24
	s_wait_loadcnt 0x0
	v_add_nc_u64_e32 v[6:7], s[4:5], v[4:5]
	global_store_b64 v[6:7], v[12:13], off
	global_wb scope:SCOPE_SYS
	s_wait_storecnt 0x0
	s_wait_xcnt 0x0
	global_atomic_cmpswap_b64 v[4:5], v8, v[10:13], s[2:3] offset:24 th:TH_ATOMIC_RETURN scope:SCOPE_SYS
	s_wait_loadcnt 0x0
	v_cmp_ne_u64_e32 vcc_lo, v[4:5], v[12:13]
	s_and_b32 exec_lo, exec_lo, vcc_lo
	s_cbranch_execz .LBB34_390
; %bb.388:
	s_mov_b32 s4, 0
.LBB34_389:                             ; =>This Inner Loop Header: Depth=1
	v_dual_mov_b32 v2, s0 :: v_dual_mov_b32 v3, s1
	s_sleep 1
	global_store_b64 v[6:7], v[4:5], off
	global_wb scope:SCOPE_SYS
	s_wait_storecnt 0x0
	s_wait_xcnt 0x0
	global_atomic_cmpswap_b64 v[2:3], v8, v[2:5], s[2:3] offset:24 th:TH_ATOMIC_RETURN scope:SCOPE_SYS
	s_wait_loadcnt 0x0
	v_cmp_eq_u64_e32 vcc_lo, v[2:3], v[4:5]
	v_mov_b64_e32 v[4:5], v[2:3]
	s_or_b32 s4, vcc_lo, s4
	s_delay_alu instid0(SALU_CYCLE_1)
	s_and_not1_b32 exec_lo, exec_lo, s4
	s_cbranch_execnz .LBB34_389
.LBB34_390:
	s_or_b32 exec_lo, exec_lo, s7
.LBB34_391:
	s_delay_alu instid0(SALU_CYCLE_1)
	s_or_b32 exec_lo, exec_lo, s6
	s_get_pc_i64 s[0:1]
	s_add_nc_u64 s[0:1], s[0:1], .str.5@rel64+4
	s_get_pc_i64 s[2:3]
	s_add_nc_u64 s[2:3], s[2:3], .str.5@rel64+65
	v_dual_mov_b32 v2, s0 :: v_dual_mov_b32 v3, s1
	s_sub_co_i32 s4, s2, s0
	v_mov_b32_e32 v6, 1
	s_ashr_i32 s5, s4, 31
	s_delay_alu instid0(SALU_CYCLE_1) | instskip(SKIP_2) | instid1(SALU_CYCLE_1)
	v_dual_mov_b32 v4, s4 :: v_dual_mov_b32 v5, s5
	s_get_pc_i64 s[2:3]
	s_add_nc_u64 s[2:3], s[2:3], __ockl_fprintf_append_string_n@rel64+4
	s_swap_pc_i64 s[30:31], s[2:3]
	s_trap 2
.Lfunc_end34:
	.size	__assert_fail, .Lfunc_end34-__assert_fail
                                        ; -- End function
	.set .L__assert_fail.num_vgpr, max(49, .L__ockl_fprintf_append_string_n.num_vgpr)
	.set .L__assert_fail.num_agpr, max(0, .L__ockl_fprintf_append_string_n.num_agpr)
	.set .L__assert_fail.numbered_sgpr, max(34, .L__ockl_fprintf_append_string_n.numbered_sgpr)
	.set .L__assert_fail.num_named_barrier, max(0, .L__ockl_fprintf_append_string_n.num_named_barrier)
	.set .L__assert_fail.private_seg_size, 64+max(.L__ockl_fprintf_append_string_n.private_seg_size)
	.set .L__assert_fail.uses_vcc, or(1, .L__ockl_fprintf_append_string_n.uses_vcc)
	.set .L__assert_fail.uses_flat_scratch, or(1, .L__ockl_fprintf_append_string_n.uses_flat_scratch)
	.set .L__assert_fail.has_dyn_sized_stack, or(0, .L__ockl_fprintf_append_string_n.has_dyn_sized_stack)
	.set .L__assert_fail.has_recursion, or(0, .L__ockl_fprintf_append_string_n.has_recursion)
	.set .L__assert_fail.has_indirect_call, or(0, .L__ockl_fprintf_append_string_n.has_indirect_call)
	.section	.AMDGPU.csdata,"",@progbits
; Function info:
; codeLenInByte = 15740
; TotalNumSgprs: 36
; NumVgprs: 49
; ScratchSize: 64
; MemoryBound: 0
	.section	.text._ZN9rocsolver6v33100L14bdsqr_finalizeIffPfS2_S2_EEviiiiPT0_lS4_lT1_iilT2_iilT3_iilPiS8_S8_,"axG",@progbits,_ZN9rocsolver6v33100L14bdsqr_finalizeIffPfS2_S2_EEviiiiPT0_lS4_lT1_iilT2_iilT3_iilPiS8_S8_,comdat
	.globl	_ZN9rocsolver6v33100L14bdsqr_finalizeIffPfS2_S2_EEviiiiPT0_lS4_lT1_iilT2_iilT3_iilPiS8_S8_ ; -- Begin function _ZN9rocsolver6v33100L14bdsqr_finalizeIffPfS2_S2_EEviiiiPT0_lS4_lT1_iilT2_iilT3_iilPiS8_S8_
	.p2align	8
	.type	_ZN9rocsolver6v33100L14bdsqr_finalizeIffPfS2_S2_EEviiiiPT0_lS4_lT1_iilT2_iilT3_iilPiS8_S8_,@function
_ZN9rocsolver6v33100L14bdsqr_finalizeIffPfS2_S2_EEviiiiPT0_lS4_lT1_iilT2_iilT3_iilPiS8_S8_: ; @_ZN9rocsolver6v33100L14bdsqr_finalizeIffPfS2_S2_EEviiiiPT0_lS4_lT1_iilT2_iilT3_iilPiS8_S8_
; %bb.0:
	s_load_b256 s[36:43], s[0:1], 0x70
	s_bfe_u32 s2, ttmp6, 0x40010
	s_bfe_u32 s3, ttmp6, 0x40004
	s_add_co_i32 s2, s2, 1
	s_getreg_b32 s4, hwreg(HW_REG_IB_STS2, 6, 4)
	s_mul_i32 s2, ttmp7, s2
	s_mov_b32 s32, 0
	s_add_co_i32 s3, s3, s2
	s_cmp_eq_u32 s4, 0
	s_cselect_b32 s8, ttmp7, s3
	s_delay_alu instid0(SALU_CYCLE_1) | instskip(NEXT) | instid1(SALU_CYCLE_1)
	s_ashr_i32 s9, s8, 31
	s_lshl_b64 s[22:23], s[8:9], 2
	s_wait_kmcnt 0x0
	s_add_nc_u64 s[2:3], s[42:43], s[22:23]
	s_load_b32 s2, s[2:3], 0x8
	s_wait_kmcnt 0x0
	s_cmp_gt_i32 s2, 1
	s_cbranch_scc1 .LBB35_311
; %bb.1:
	s_clause 0x2
	s_load_b64 s[2:3], s[0:1], 0x9c
	s_load_b256 s[44:51], s[0:1], 0x30
	s_load_b256 s[52:59], s[0:1], 0x10
	s_mov_b64 s[28:29], 0
	s_mov_b64 s[34:35], 0
	s_wait_kmcnt 0x0
	s_and_b32 s3, s3, 0xffff
	s_cmp_eq_u64 s[44:45], 0
	s_cbranch_scc1 .LBB35_3
; %bb.2:
	s_mul_u64 s[4:5], s[48:49], s[8:9]
	s_ashr_i32 s7, s46, 31
	s_lshl_b64 s[4:5], s[4:5], 2
	s_mov_b32 s6, s46
	s_add_nc_u64 s[4:5], s[44:45], s[4:5]
	s_lshl_b64 s[6:7], s[6:7], 2
	s_delay_alu instid0(SALU_CYCLE_1)
	s_add_nc_u64 s[34:35], s[4:5], s[6:7]
.LBB35_3:
	s_clause 0x1
	s_load_b64 s[42:43], s[0:1], 0x50
	s_load_b128 s[4:7], s[0:1], 0x58
	s_cmp_eq_u64 s[50:51], 0
	s_cbranch_scc1 .LBB35_5
; %bb.4:
	s_wait_kmcnt 0x0
	s_mul_u64 s[4:5], s[4:5], s[8:9]
	s_ashr_i32 s11, s42, 31
	s_lshl_b64 s[4:5], s[4:5], 2
	s_mov_b32 s10, s42
	s_add_nc_u64 s[4:5], s[50:51], s[4:5]
	s_lshl_b64 s[10:11], s[10:11], 2
	s_delay_alu instid0(SALU_CYCLE_1)
	s_add_nc_u64 s[28:29], s[4:5], s[10:11]
.LBB35_5:
	s_load_b64 s[48:49], s[0:1], 0x68
	s_wait_kmcnt 0x0
	s_cmp_eq_u64 s[6:7], 0
	s_mov_b64 s[44:45], 0
	s_cbranch_scc1 .LBB35_7
; %bb.6:
	s_mul_u64 s[4:5], s[36:37], s[8:9]
	s_ashr_i32 s11, s48, 31
	s_lshl_b64 s[4:5], s[4:5], 2
	s_mov_b32 s10, s48
	s_add_nc_u64 s[4:5], s[6:7], s[4:5]
	s_lshl_b64 s[6:7], s[10:11], 2
	s_delay_alu instid0(SALU_CYCLE_1)
	s_add_nc_u64 s[44:45], s[4:5], s[6:7]
.LBB35_7:
	v_and_b32_e32 v42, 0x3ff, v0
	v_bfe_u32 v43, v0, 10, 10
	s_and_b32 s21, s2, 0xffff
	s_load_b128 s[24:27], s[0:1], 0x0
	v_bfe_u32 v44, v0, 20, 10
	s_lshr_b32 s2, s2, 16
	v_mad_u32_u24 v1, v43, s21, v42
	s_mul_i32 s46, s2, s21
	s_mul_u64 s[4:5], s[54:55], s[8:9]
	s_and_b32 s3, s3, 0xffff
	s_lshl_b64 s[50:51], s[4:5], 2
	v_mad_u32 v41, s46, v44, v1
	s_add_nc_u64 s[36:37], s[52:53], s[50:51]
	s_mul_i32 s46, s46, s3
	s_delay_alu instid0(VALU_DEP_1)
	v_cmp_eq_u32_e64 s2, 0, v41
	s_wait_kmcnt 0x0
	s_cmp_lt_i32 s24, 1
	s_cbranch_scc1 .LBB35_22
; %bb.8:
	s_mul_u64 s[4:5], s[58:59], s[8:9]
	s_add_co_i32 s9, s24, -1
	s_lshl_b64 s[4:5], s[4:5], 2
	v_cmp_gt_u32_e64 s3, s25, v41
	v_mov_b32_e32 v1, 0
	s_cmp_lg_u32 s25, 0
	s_mov_b32 s7, 0
	s_add_nc_u64 s[4:5], s[56:57], s[4:5]
	s_cselect_b32 s16, -1, 0
	s_ashr_i32 s11, s47, 31
	s_mov_b32 s10, s47
	s_mov_b32 s6, s7
	;; [unrolled: 1-line block ×3, first 2 shown]
	s_branch .LBB35_11
.LBB35_9:                               ;   in Loop: Header=BB35_11 Depth=1
	s_wait_xcnt 0x0
	s_or_b32 exec_lo, exec_lo, s14
.LBB35_10:                              ;   in Loop: Header=BB35_11 Depth=1
	s_add_co_i32 s6, s6, 1
	s_delay_alu instid0(SALU_CYCLE_1)
	s_cmp_eq_u32 s6, s24
	s_cbranch_scc1 .LBB35_23
.LBB35_11:                              ; =>This Loop Header: Depth=1
                                        ;     Child Loop BB35_18 Depth 2
	s_cmp_ge_i32 s6, s9
	s_cbranch_scc1 .LBB35_14
; %bb.12:                               ;   in Loop: Header=BB35_11 Depth=1
	s_wait_xcnt 0x0
	s_lshl_b64 s[12:13], s[6:7], 2
	s_delay_alu instid0(SALU_CYCLE_1)
	s_add_nc_u64 s[12:13], s[4:5], s[12:13]
	global_load_b32 v0, v1, s[12:13]
	s_wait_loadcnt 0x0
	v_cmp_eq_f32_e32 vcc_lo, 0, v0
	s_cbranch_vccnz .LBB35_14
; %bb.13:                               ;   in Loop: Header=BB35_11 Depth=1
	s_add_co_i32 s42, s42, 1
.LBB35_14:                              ;   in Loop: Header=BB35_11 Depth=1
	s_lshl_b64 s[14:15], s[6:7], 2
	s_wait_xcnt 0x0
	s_add_nc_u64 s[12:13], s[36:37], s[14:15]
	global_load_b32 v0, v1, s[12:13]
	s_wait_loadcnt 0x0
	v_cmp_ngt_f32_e32 vcc_lo, 0, v0
	s_cbranch_vccnz .LBB35_10
; %bb.15:                               ;   in Loop: Header=BB35_11 Depth=1
	s_and_not1_b32 vcc_lo, exec_lo, s16
	s_cbranch_vccnz .LBB35_20
; %bb.16:                               ;   in Loop: Header=BB35_11 Depth=1
	s_wait_xcnt 0x0
	s_and_saveexec_b32 s17, s3
	s_cbranch_execz .LBB35_19
; %bb.17:                               ;   in Loop: Header=BB35_11 Depth=1
	v_mov_b32_e32 v0, v41
	s_add_nc_u64 s[14:15], s[34:35], s[14:15]
	s_mov_b32 s18, 0
.LBB35_18:                              ;   Parent Loop BB35_11 Depth=1
                                        ; =>  This Inner Loop Header: Depth=2
	s_delay_alu instid0(VALU_DEP_1) | instskip(SKIP_1) | instid1(VALU_DEP_1)
	v_mul_u64_e32 v[2:3], s[10:11], v[0:1]
	v_add_nc_u32_e32 v0, s46, v0
	v_cmp_le_u32_e32 vcc_lo, s25, v0
	s_or_b32 s18, vcc_lo, s18
	s_delay_alu instid0(VALU_DEP_3)
	v_lshl_add_u64 v[2:3], v[2:3], 2, s[14:15]
	global_load_b32 v4, v[2:3], off
	s_wait_loadcnt 0x0
	v_xor_b32_e32 v4, 0x80000000, v4
	global_store_b32 v[2:3], v4, off
	s_wait_xcnt 0x0
	s_and_not1_b32 exec_lo, exec_lo, s18
	s_cbranch_execnz .LBB35_18
.LBB35_19:                              ;   in Loop: Header=BB35_11 Depth=1
	s_or_b32 exec_lo, exec_lo, s17
	s_wait_storecnt 0x0
	s_barrier_signal -1
	s_barrier_wait -1
.LBB35_20:                              ;   in Loop: Header=BB35_11 Depth=1
	s_wait_xcnt 0x0
	s_and_saveexec_b32 s14, s2
	s_cbranch_execz .LBB35_9
; %bb.21:                               ;   in Loop: Header=BB35_11 Depth=1
	global_load_b32 v0, v1, s[12:13]
	s_wait_loadcnt 0x0
	v_xor_b32_e32 v0, 0x80000000, v0
	global_store_b32 v1, v0, s[12:13]
	s_branch .LBB35_9
.LBB35_22:
	s_mov_b32 s42, 0
.LBB35_23:
	s_delay_alu instid0(SALU_CYCLE_1)
	s_cmp_lt_i32 s42, 1
	s_mov_b32 s2, -1
	s_cbranch_scc0 .LBB35_308
; %bb.24:
	s_mul_i32 s2, s8, s24
	s_mov_b32 s54, 0
	s_lshl_b32 s2, s2, 1
	s_wait_storecnt 0x0
	s_ashr_i32 s3, s2, 31
	s_barrier_signal -1
	s_lshl_b64 s[2:3], s[2:3], 2
	s_cmp_lg_u64 s[40:41], 0
	s_add_nc_u64 s[2:3], s[40:41], s[2:3]
	s_barrier_wait -1
	s_cselect_b32 s41, s3, 0
	s_cselect_b32 s40, s2, 0
	s_delay_alu instid0(SALU_CYCLE_1)
	s_cmp_lg_u64 s[40:41], 0
	s_cbranch_scc0 .LBB35_43
; %bb.25:
	s_or_b32 s2, s26, s25
	s_delay_alu instid0(SALU_CYCLE_1) | instskip(SKIP_4) | instid1(SALU_CYCLE_1)
	s_or_b32 s2, s2, s27
	s_cmp_gt_i32 s24, 0
	s_cselect_b32 s57, -1, 0
	s_cmp_lg_u64 s[52:53], 0
	s_cselect_b32 s3, -1, 0
	s_and_b32 s48, s57, s3
	s_cmp_eq_u32 s2, 0
	s_cbranch_scc1 .LBB35_44
; %bb.26:
	s_mov_b32 s58, -1
	s_mov_b32 s56, 0
	s_and_b32 vcc_lo, exec_lo, s48
	s_cbranch_vccz .LBB35_142
; %bb.27:
	s_mov_b32 s2, exec_lo
	s_barrier_signal -1
	s_barrier_wait -1
	s_wait_xcnt 0x0
	v_cmpx_gt_u32_e64 s24, v41
	s_cbranch_execz .LBB35_30
; %bb.28:
	v_mov_b32_e32 v0, v41
	s_mov_b32 s3, 0
.LBB35_29:                              ; =>This Inner Loop Header: Depth=1
	global_store_b32 v0, v0, s[40:41] scale_offset
	s_wait_xcnt 0x0
	v_add_nc_u32_e32 v0, s46, v0
	s_delay_alu instid0(VALU_DEP_1) | instskip(SKIP_1) | instid1(SALU_CYCLE_1)
	v_cmp_le_u32_e32 vcc_lo, s24, v0
	s_or_b32 s3, vcc_lo, s3
	s_and_not1_b32 exec_lo, exec_lo, s3
	s_cbranch_execnz .LBB35_29
.LBB35_30:
	s_or_b32 exec_lo, exec_lo, s2
	v_or3_b32 v0, v43, v44, v42
	s_mov_b32 s12, exec_lo
	s_wait_storecnt 0x0
	s_barrier_signal -1
	s_barrier_wait -1
	v_cmpx_eq_u32_e32 0, v0
	s_cbranch_execz .LBB35_126
; %bb.31:
	s_cmp_lt_u32 s24, 0x2be
	s_cbranch_scc1 .LBB35_45
; %bb.32:
	v_mov_b32_e32 v0, 0
	s_mov_b64 s[2:3], 0xfffffffffffff50c
	s_add_nc_u64 s[4:5], s[40:41], 0xaf4
	s_movk_i32 s13, 0x2bd
	s_movk_i32 s14, 0x57a
	s_mov_b64 s[6:7], s[36:37]
	s_branch .LBB35_34
.LBB35_33:                              ;   in Loop: Header=BB35_34 Depth=1
	v_mov_b32_e32 v3, s8
	s_add_co_i32 s13, s13, 1
	s_add_co_i32 s14, s14, 1
	s_add_nc_u64 s[4:5], s[4:5], 4
	s_add_nc_u64 s[6:7], s[6:7], 4
	s_cmp_eq_u32 s13, s24
	s_clause 0x1
	global_store_b32 v3, v1, s[36:37] scale_offset
	global_store_b32 v3, v2, s[40:41] scale_offset
	s_cbranch_scc1 .LBB35_45
.LBB35_34:                              ; =>This Loop Header: Depth=1
                                        ;     Child Loop BB35_35 Depth 2
	s_wait_xcnt 0x0
	v_mov_b32_e32 v3, s13
	s_mov_b64 s[8:9], s[6:7]
	s_mov_b64 s[10:11], s[4:5]
	s_mov_b32 s15, s14
	s_clause 0x1
	global_load_b32 v1, v3, s[36:37] scale_offset
	global_load_b32 v2, v3, s[40:41] scale_offset
.LBB35_35:                              ;   Parent Loop BB35_34 Depth=1
                                        ; =>  This Inner Loop Header: Depth=2
	global_load_b32 v3, v0, s[8:9]
	s_mov_b32 s17, -1
	s_mov_b32 s18, -1
                                        ; implicit-def: $sgpr16
	s_wait_loadcnt 0x0
	v_cmp_nlt_f32_e32 vcc_lo, v3, v1
	s_cbranch_vccnz .LBB35_37
; %bb.36:                               ;   in Loop: Header=BB35_35 Depth=2
	global_load_b32 v4, v0, s[10:11] offset:-2804
	s_add_co_i32 s16, s15, 0xfffffd43
	s_add_nc_u64 s[30:31], s[10:11], s[2:3]
	s_cmp_lt_i32 s16, 0x57a
	global_store_b32 v0, v3, s[8:9] offset:2804
	s_wait_xcnt 0x0
	s_add_nc_u64 s[8:9], s[8:9], s[2:3]
	s_mov_b32 s17, 0
	s_cselect_b32 s18, -1, 0
	s_wait_loadcnt 0x0
	global_store_b32 v0, v4, s[10:11]
	s_wait_xcnt 0x0
	s_mov_b64 s[10:11], s[30:31]
.LBB35_37:                              ;   in Loop: Header=BB35_35 Depth=2
	s_and_not1_b32 vcc_lo, exec_lo, s18
	s_cbranch_vccz .LBB35_39
; %bb.38:                               ;   in Loop: Header=BB35_35 Depth=2
	s_mov_b32 s15, s16
	s_branch .LBB35_35
.LBB35_39:                              ;   in Loop: Header=BB35_34 Depth=1
	s_and_not1_b32 vcc_lo, exec_lo, s17
	s_wait_xcnt 0x0
	s_mov_b32 s9, -1
                                        ; implicit-def: $sgpr8
	s_cbranch_vccz .LBB35_41
; %bb.40:                               ;   in Loop: Header=BB35_34 Depth=1
	s_add_co_i32 s8, s16, 0xfffffd43
	s_mov_b32 s9, 0
.LBB35_41:                              ;   in Loop: Header=BB35_34 Depth=1
	s_delay_alu instid0(SALU_CYCLE_1)
	s_and_not1_b32 vcc_lo, exec_lo, s9
	s_cbranch_vccnz .LBB35_33
; %bb.42:                               ;   in Loop: Header=BB35_34 Depth=1
	s_add_co_i32 s8, s15, 0xfffffd43
	s_branch .LBB35_33
.LBB35_43:
	s_branch .LBB35_284
.LBB35_44:
	s_mov_b32 s56, 0
	s_cbranch_execnz .LBB35_168
	s_branch .LBB35_279
.LBB35_45:
	s_cmp_lt_i32 s24, 0x12e
	s_cbranch_scc1 .LBB35_57
; %bb.46:
	v_mov_b32_e32 v0, 0
	s_mov_b64 s[2:3], 0xfffffffffffffb4c
	s_add_nc_u64 s[4:5], s[40:41], 0x4b4
	s_movk_i32 s13, 0x12d
	s_movk_i32 s14, 0x25a
	s_mov_b64 s[6:7], s[36:37]
	s_branch .LBB35_48
.LBB35_47:                              ;   in Loop: Header=BB35_48 Depth=1
	v_mov_b32_e32 v3, s8
	s_add_co_i32 s13, s13, 1
	s_add_co_i32 s14, s14, 1
	s_add_nc_u64 s[4:5], s[4:5], 4
	s_add_nc_u64 s[6:7], s[6:7], 4
	s_cmp_lg_u32 s13, s24
	s_clause 0x1
	global_store_b32 v3, v1, s[36:37] scale_offset
	global_store_b32 v3, v2, s[40:41] scale_offset
	s_cbranch_scc0 .LBB35_57
.LBB35_48:                              ; =>This Loop Header: Depth=1
                                        ;     Child Loop BB35_49 Depth 2
	s_wait_xcnt 0x0
	v_mov_b32_e32 v3, s13
	s_mov_b64 s[8:9], s[6:7]
	s_mov_b64 s[10:11], s[4:5]
	s_mov_b32 s15, s14
	s_clause 0x1
	global_load_b32 v1, v3, s[36:37] scale_offset
	global_load_b32 v2, v3, s[40:41] scale_offset
.LBB35_49:                              ;   Parent Loop BB35_48 Depth=1
                                        ; =>  This Inner Loop Header: Depth=2
	global_load_b32 v3, v0, s[8:9]
	s_mov_b32 s17, -1
	s_mov_b32 s18, -1
                                        ; implicit-def: $sgpr16
	s_wait_loadcnt 0x0
	v_cmp_nlt_f32_e32 vcc_lo, v3, v1
	s_cbranch_vccnz .LBB35_51
; %bb.50:                               ;   in Loop: Header=BB35_49 Depth=2
	global_load_b32 v4, v0, s[10:11] offset:-1204
	s_add_co_i32 s16, s15, 0xfffffed3
	s_add_nc_u64 s[30:31], s[10:11], s[2:3]
	s_cmp_lt_i32 s16, 0x25a
	global_store_b32 v0, v3, s[8:9] offset:1204
	s_wait_xcnt 0x0
	s_add_nc_u64 s[8:9], s[8:9], s[2:3]
	s_mov_b32 s17, 0
	s_cselect_b32 s18, -1, 0
	s_wait_loadcnt 0x0
	global_store_b32 v0, v4, s[10:11]
	s_wait_xcnt 0x0
	s_mov_b64 s[10:11], s[30:31]
.LBB35_51:                              ;   in Loop: Header=BB35_49 Depth=2
	s_and_not1_b32 vcc_lo, exec_lo, s18
	s_cbranch_vccz .LBB35_53
; %bb.52:                               ;   in Loop: Header=BB35_49 Depth=2
	s_mov_b32 s15, s16
	s_branch .LBB35_49
.LBB35_53:                              ;   in Loop: Header=BB35_48 Depth=1
	s_and_not1_b32 vcc_lo, exec_lo, s17
	s_wait_xcnt 0x0
	s_mov_b32 s9, -1
                                        ; implicit-def: $sgpr8
	s_cbranch_vccz .LBB35_55
; %bb.54:                               ;   in Loop: Header=BB35_48 Depth=1
	s_add_co_i32 s8, s16, 0xfffffed3
	s_mov_b32 s9, 0
.LBB35_55:                              ;   in Loop: Header=BB35_48 Depth=1
	s_delay_alu instid0(SALU_CYCLE_1)
	s_and_not1_b32 vcc_lo, exec_lo, s9
	s_cbranch_vccnz .LBB35_47
; %bb.56:                               ;   in Loop: Header=BB35_48 Depth=1
	s_add_co_i32 s8, s15, 0xfffffed3
	s_branch .LBB35_47
.LBB35_57:
	s_cmp_lt_i32 s24, 0x85
	s_cbranch_scc1 .LBB35_69
; %bb.58:
	v_mov_b32_e32 v0, 0
	s_mov_b64 s[2:3], 0xfffffffffffffdf0
	s_add_nc_u64 s[4:5], s[40:41], 0x210
	s_movk_i32 s13, 0x84
	s_movk_i32 s14, 0x108
	s_mov_b64 s[6:7], s[36:37]
	s_branch .LBB35_60
.LBB35_59:                              ;   in Loop: Header=BB35_60 Depth=1
	v_mov_b32_e32 v3, s8
	s_add_co_i32 s13, s13, 1
	s_add_co_i32 s14, s14, 1
	s_add_nc_u64 s[4:5], s[4:5], 4
	s_add_nc_u64 s[6:7], s[6:7], 4
	s_cmp_lg_u32 s13, s24
	s_clause 0x1
	global_store_b32 v3, v1, s[36:37] scale_offset
	global_store_b32 v3, v2, s[40:41] scale_offset
	s_cbranch_scc0 .LBB35_69
.LBB35_60:                              ; =>This Loop Header: Depth=1
                                        ;     Child Loop BB35_61 Depth 2
	s_wait_xcnt 0x0
	v_mov_b32_e32 v3, s13
	s_mov_b64 s[8:9], s[6:7]
	s_mov_b64 s[10:11], s[4:5]
	s_mov_b32 s15, s14
	s_clause 0x1
	global_load_b32 v1, v3, s[36:37] scale_offset
	global_load_b32 v2, v3, s[40:41] scale_offset
.LBB35_61:                              ;   Parent Loop BB35_60 Depth=1
                                        ; =>  This Inner Loop Header: Depth=2
	global_load_b32 v3, v0, s[8:9]
	s_mov_b32 s17, -1
	s_mov_b32 s18, -1
                                        ; implicit-def: $sgpr16
	s_wait_loadcnt 0x0
	v_cmp_nlt_f32_e32 vcc_lo, v3, v1
	s_cbranch_vccnz .LBB35_63
; %bb.62:                               ;   in Loop: Header=BB35_61 Depth=2
	global_load_b32 v4, v0, s[10:11] offset:-528
	s_add_co_i32 s16, s15, 0xffffff7c
	s_add_nc_u64 s[30:31], s[10:11], s[2:3]
	s_cmp_lt_i32 s16, 0x108
	global_store_b32 v0, v3, s[8:9] offset:528
	s_wait_xcnt 0x0
	s_add_nc_u64 s[8:9], s[8:9], s[2:3]
	s_mov_b32 s17, 0
	s_cselect_b32 s18, -1, 0
	s_wait_loadcnt 0x0
	global_store_b32 v0, v4, s[10:11]
	s_wait_xcnt 0x0
	s_mov_b64 s[10:11], s[30:31]
.LBB35_63:                              ;   in Loop: Header=BB35_61 Depth=2
	s_and_not1_b32 vcc_lo, exec_lo, s18
	s_cbranch_vccz .LBB35_65
; %bb.64:                               ;   in Loop: Header=BB35_61 Depth=2
	s_mov_b32 s15, s16
	s_branch .LBB35_61
.LBB35_65:                              ;   in Loop: Header=BB35_60 Depth=1
	s_and_not1_b32 vcc_lo, exec_lo, s17
	s_wait_xcnt 0x0
	s_mov_b32 s9, -1
                                        ; implicit-def: $sgpr8
	s_cbranch_vccz .LBB35_67
; %bb.66:                               ;   in Loop: Header=BB35_60 Depth=1
	s_add_co_i32 s8, s16, 0xffffff7c
	s_mov_b32 s9, 0
.LBB35_67:                              ;   in Loop: Header=BB35_60 Depth=1
	s_delay_alu instid0(SALU_CYCLE_1)
	s_and_not1_b32 vcc_lo, exec_lo, s9
	s_cbranch_vccnz .LBB35_59
; %bb.68:                               ;   in Loop: Header=BB35_60 Depth=1
	s_add_co_i32 s8, s15, 0xffffff7c
	s_branch .LBB35_59
.LBB35_69:
	s_cmp_lt_i32 s24, 58
	s_cbranch_scc1 .LBB35_81
; %bb.70:
	v_mov_b32_e32 v0, 0
	s_mov_b64 s[2:3], 0xffffffffffffff1c
	s_add_nc_u64 s[4:5], s[40:41], 0xe4
	s_mov_b32 s13, 57
	s_movk_i32 s14, 0x72
	s_mov_b64 s[6:7], s[36:37]
	s_branch .LBB35_72
.LBB35_71:                              ;   in Loop: Header=BB35_72 Depth=1
	v_mov_b32_e32 v3, s8
	s_add_co_i32 s13, s13, 1
	s_add_co_i32 s14, s14, 1
	s_add_nc_u64 s[4:5], s[4:5], 4
	s_add_nc_u64 s[6:7], s[6:7], 4
	s_cmp_lg_u32 s13, s24
	s_clause 0x1
	global_store_b32 v3, v1, s[36:37] scale_offset
	global_store_b32 v3, v2, s[40:41] scale_offset
	s_cbranch_scc0 .LBB35_81
.LBB35_72:                              ; =>This Loop Header: Depth=1
                                        ;     Child Loop BB35_73 Depth 2
	s_wait_xcnt 0x0
	v_mov_b32_e32 v3, s13
	s_mov_b64 s[8:9], s[6:7]
	s_mov_b64 s[10:11], s[4:5]
	s_mov_b32 s15, s14
	s_clause 0x1
	global_load_b32 v1, v3, s[36:37] scale_offset
	global_load_b32 v2, v3, s[40:41] scale_offset
.LBB35_73:                              ;   Parent Loop BB35_72 Depth=1
                                        ; =>  This Inner Loop Header: Depth=2
	global_load_b32 v3, v0, s[8:9]
	s_mov_b32 s17, -1
	s_mov_b32 s18, -1
                                        ; implicit-def: $sgpr16
	s_wait_loadcnt 0x0
	v_cmp_nlt_f32_e32 vcc_lo, v3, v1
	s_cbranch_vccnz .LBB35_75
; %bb.74:                               ;   in Loop: Header=BB35_73 Depth=2
	global_load_b32 v4, v0, s[10:11] offset:-228
	s_sub_co_i32 s16, s15, 57
	s_add_nc_u64 s[30:31], s[10:11], s[2:3]
	s_cmp_lt_i32 s16, 0x72
	global_store_b32 v0, v3, s[8:9] offset:228
	s_wait_xcnt 0x0
	s_add_nc_u64 s[8:9], s[8:9], s[2:3]
	s_mov_b32 s17, 0
	s_cselect_b32 s18, -1, 0
	s_wait_loadcnt 0x0
	global_store_b32 v0, v4, s[10:11]
	s_wait_xcnt 0x0
	s_mov_b64 s[10:11], s[30:31]
.LBB35_75:                              ;   in Loop: Header=BB35_73 Depth=2
	s_and_not1_b32 vcc_lo, exec_lo, s18
	s_cbranch_vccz .LBB35_77
; %bb.76:                               ;   in Loop: Header=BB35_73 Depth=2
	s_mov_b32 s15, s16
	s_branch .LBB35_73
.LBB35_77:                              ;   in Loop: Header=BB35_72 Depth=1
	s_and_not1_b32 vcc_lo, exec_lo, s17
	s_wait_xcnt 0x0
	s_mov_b32 s9, -1
                                        ; implicit-def: $sgpr8
	s_cbranch_vccz .LBB35_79
; %bb.78:                               ;   in Loop: Header=BB35_72 Depth=1
	s_sub_co_i32 s8, s16, 57
	s_mov_b32 s9, 0
.LBB35_79:                              ;   in Loop: Header=BB35_72 Depth=1
	s_delay_alu instid0(SALU_CYCLE_1)
	s_and_not1_b32 vcc_lo, exec_lo, s9
	s_cbranch_vccnz .LBB35_71
; %bb.80:                               ;   in Loop: Header=BB35_72 Depth=1
	s_sub_co_i32 s8, s15, 57
	s_branch .LBB35_71
.LBB35_81:
	s_cmp_lt_i32 s24, 24
	s_cbranch_scc1 .LBB35_93
; %bb.82:
	v_mov_b32_e32 v0, 0
	s_mov_b64 s[2:3], 0xffffffffffffffa4
	s_add_nc_u64 s[4:5], s[40:41], 0x5c
	s_mov_b32 s13, 23
	s_mov_b32 s14, 46
	s_mov_b64 s[6:7], s[36:37]
	s_branch .LBB35_84
.LBB35_83:                              ;   in Loop: Header=BB35_84 Depth=1
	v_mov_b32_e32 v3, s8
	s_add_co_i32 s13, s13, 1
	s_add_co_i32 s14, s14, 1
	s_add_nc_u64 s[4:5], s[4:5], 4
	s_add_nc_u64 s[6:7], s[6:7], 4
	s_cmp_lg_u32 s13, s24
	s_clause 0x1
	global_store_b32 v3, v1, s[36:37] scale_offset
	global_store_b32 v3, v2, s[40:41] scale_offset
	s_cbranch_scc0 .LBB35_93
.LBB35_84:                              ; =>This Loop Header: Depth=1
                                        ;     Child Loop BB35_85 Depth 2
	s_wait_xcnt 0x0
	v_mov_b32_e32 v3, s13
	s_mov_b64 s[8:9], s[6:7]
	s_mov_b64 s[10:11], s[4:5]
	s_mov_b32 s15, s14
	s_clause 0x1
	global_load_b32 v1, v3, s[36:37] scale_offset
	global_load_b32 v2, v3, s[40:41] scale_offset
.LBB35_85:                              ;   Parent Loop BB35_84 Depth=1
                                        ; =>  This Inner Loop Header: Depth=2
	global_load_b32 v3, v0, s[8:9]
	s_mov_b32 s17, -1
	s_mov_b32 s18, -1
                                        ; implicit-def: $sgpr16
	s_wait_loadcnt 0x0
	v_cmp_nlt_f32_e32 vcc_lo, v3, v1
	s_cbranch_vccnz .LBB35_87
; %bb.86:                               ;   in Loop: Header=BB35_85 Depth=2
	global_load_b32 v4, v0, s[10:11] offset:-92
	s_sub_co_i32 s16, s15, 23
	s_add_nc_u64 s[30:31], s[10:11], s[2:3]
	s_cmp_lt_i32 s16, 46
	global_store_b32 v0, v3, s[8:9] offset:92
	s_wait_xcnt 0x0
	s_add_nc_u64 s[8:9], s[8:9], s[2:3]
	s_mov_b32 s17, 0
	s_cselect_b32 s18, -1, 0
	s_wait_loadcnt 0x0
	global_store_b32 v0, v4, s[10:11]
	s_wait_xcnt 0x0
	s_mov_b64 s[10:11], s[30:31]
.LBB35_87:                              ;   in Loop: Header=BB35_85 Depth=2
	s_and_not1_b32 vcc_lo, exec_lo, s18
	s_cbranch_vccz .LBB35_89
; %bb.88:                               ;   in Loop: Header=BB35_85 Depth=2
	s_mov_b32 s15, s16
	s_branch .LBB35_85
.LBB35_89:                              ;   in Loop: Header=BB35_84 Depth=1
	s_and_not1_b32 vcc_lo, exec_lo, s17
	s_wait_xcnt 0x0
	s_mov_b32 s9, -1
                                        ; implicit-def: $sgpr8
	s_cbranch_vccz .LBB35_91
; %bb.90:                               ;   in Loop: Header=BB35_84 Depth=1
	s_sub_co_i32 s8, s16, 23
	s_mov_b32 s9, 0
.LBB35_91:                              ;   in Loop: Header=BB35_84 Depth=1
	s_delay_alu instid0(SALU_CYCLE_1)
	s_and_not1_b32 vcc_lo, exec_lo, s9
	s_cbranch_vccnz .LBB35_83
; %bb.92:                               ;   in Loop: Header=BB35_84 Depth=1
	s_sub_co_i32 s8, s15, 23
	s_branch .LBB35_83
.LBB35_93:
	s_cmp_lt_i32 s24, 11
	s_cbranch_scc1 .LBB35_105
; %bb.94:
	v_mov_b32_e32 v0, 0
	s_mov_b64 s[2:3], 0xffffffffffffffd8
	s_add_nc_u64 s[4:5], s[40:41], 40
	s_mov_b32 s13, 10
	s_mov_b32 s14, 20
	s_mov_b64 s[6:7], s[36:37]
	s_branch .LBB35_96
.LBB35_95:                              ;   in Loop: Header=BB35_96 Depth=1
	v_mov_b32_e32 v3, s8
	s_add_co_i32 s13, s13, 1
	s_add_co_i32 s14, s14, 1
	s_add_nc_u64 s[4:5], s[4:5], 4
	s_add_nc_u64 s[6:7], s[6:7], 4
	s_cmp_lg_u32 s13, s24
	s_clause 0x1
	global_store_b32 v3, v1, s[36:37] scale_offset
	global_store_b32 v3, v2, s[40:41] scale_offset
	s_cbranch_scc0 .LBB35_105
.LBB35_96:                              ; =>This Loop Header: Depth=1
                                        ;     Child Loop BB35_97 Depth 2
	s_wait_xcnt 0x0
	v_mov_b32_e32 v3, s13
	s_mov_b64 s[8:9], s[6:7]
	s_mov_b64 s[10:11], s[4:5]
	s_mov_b32 s15, s14
	s_clause 0x1
	global_load_b32 v1, v3, s[36:37] scale_offset
	global_load_b32 v2, v3, s[40:41] scale_offset
.LBB35_97:                              ;   Parent Loop BB35_96 Depth=1
                                        ; =>  This Inner Loop Header: Depth=2
	global_load_b32 v3, v0, s[8:9]
	s_mov_b32 s17, -1
	s_mov_b32 s18, -1
                                        ; implicit-def: $sgpr16
	s_wait_loadcnt 0x0
	v_cmp_nlt_f32_e32 vcc_lo, v3, v1
	s_cbranch_vccnz .LBB35_99
; %bb.98:                               ;   in Loop: Header=BB35_97 Depth=2
	global_load_b32 v4, v0, s[10:11] offset:-40
	s_add_co_i32 s16, s15, -10
	s_add_nc_u64 s[30:31], s[10:11], s[2:3]
	s_cmp_lt_i32 s16, 20
	global_store_b32 v0, v3, s[8:9] offset:40
	s_wait_xcnt 0x0
	s_add_nc_u64 s[8:9], s[8:9], s[2:3]
	s_mov_b32 s17, 0
	s_cselect_b32 s18, -1, 0
	s_wait_loadcnt 0x0
	global_store_b32 v0, v4, s[10:11]
	s_wait_xcnt 0x0
	s_mov_b64 s[10:11], s[30:31]
.LBB35_99:                              ;   in Loop: Header=BB35_97 Depth=2
	s_and_not1_b32 vcc_lo, exec_lo, s18
	s_cbranch_vccz .LBB35_101
; %bb.100:                              ;   in Loop: Header=BB35_97 Depth=2
	s_mov_b32 s15, s16
	s_branch .LBB35_97
.LBB35_101:                             ;   in Loop: Header=BB35_96 Depth=1
	s_and_not1_b32 vcc_lo, exec_lo, s17
	s_wait_xcnt 0x0
	s_mov_b32 s9, -1
                                        ; implicit-def: $sgpr8
	s_cbranch_vccz .LBB35_103
; %bb.102:                              ;   in Loop: Header=BB35_96 Depth=1
	s_add_co_i32 s8, s16, -10
	s_mov_b32 s9, 0
.LBB35_103:                             ;   in Loop: Header=BB35_96 Depth=1
	s_delay_alu instid0(SALU_CYCLE_1)
	s_and_not1_b32 vcc_lo, exec_lo, s9
	s_cbranch_vccnz .LBB35_95
; %bb.104:                              ;   in Loop: Header=BB35_96 Depth=1
	s_add_co_i32 s8, s15, -10
	s_branch .LBB35_95
.LBB35_105:
	s_cmp_lt_i32 s24, 5
	s_cbranch_scc1 .LBB35_117
; %bb.106:
	v_mov_b32_e32 v0, 0
	s_add_nc_u64 s[4:5], s[52:53], s[50:51]
	s_add_nc_u64 s[2:3], s[40:41], 16
	;; [unrolled: 1-line block ×3, first 2 shown]
	s_mov_b32 s10, 4
	s_mov_b32 s11, 8
	s_branch .LBB35_108
.LBB35_107:                             ;   in Loop: Header=BB35_108 Depth=1
	v_mov_b32_e32 v3, s6
	s_add_co_i32 s10, s10, 1
	s_add_co_i32 s11, s11, 1
	s_add_nc_u64 s[2:3], s[2:3], 4
	s_add_nc_u64 s[4:5], s[4:5], 4
	s_cmp_lg_u32 s10, s24
	s_clause 0x1
	global_store_b32 v3, v1, s[36:37] scale_offset
	global_store_b32 v3, v2, s[40:41] scale_offset
	s_cbranch_scc0 .LBB35_117
.LBB35_108:                             ; =>This Loop Header: Depth=1
                                        ;     Child Loop BB35_109 Depth 2
	s_wait_xcnt 0x0
	v_mov_b32_e32 v3, s10
	s_mov_b64 s[6:7], s[4:5]
	s_mov_b64 s[8:9], s[2:3]
	s_mov_b32 s13, s11
	s_clause 0x1
	global_load_b32 v1, v3, s[36:37] scale_offset
	global_load_b32 v2, v3, s[40:41] scale_offset
.LBB35_109:                             ;   Parent Loop BB35_108 Depth=1
                                        ; =>  This Inner Loop Header: Depth=2
	global_load_b32 v3, v0, s[6:7] offset:-16
	s_mov_b32 s15, -1
	s_mov_b32 s16, -1
                                        ; implicit-def: $sgpr14
	s_wait_loadcnt 0x0
	v_cmp_nlt_f32_e32 vcc_lo, v3, v1
	s_cbranch_vccnz .LBB35_111
; %bb.110:                              ;   in Loop: Header=BB35_109 Depth=2
	global_load_b32 v4, v0, s[8:9] offset:-16
	s_add_co_i32 s14, s13, -4
	s_add_nc_u64 s[18:19], s[8:9], -16
	s_cmp_lt_i32 s14, 8
	s_mov_b32 s15, 0
	s_cselect_b32 s16, -1, 0
	global_store_b32 v0, v3, s[6:7]
	s_wait_loadcnt 0x0
	global_store_b32 v0, v4, s[8:9]
	s_wait_xcnt 0x0
	s_mov_b64 s[8:9], s[18:19]
.LBB35_111:                             ;   in Loop: Header=BB35_109 Depth=2
	s_and_not1_b32 vcc_lo, exec_lo, s16
	s_wait_xcnt 0x0
	s_add_nc_u64 s[6:7], s[6:7], -16
	s_cbranch_vccz .LBB35_113
; %bb.112:                              ;   in Loop: Header=BB35_109 Depth=2
	s_mov_b32 s13, s14
	s_branch .LBB35_109
.LBB35_113:                             ;   in Loop: Header=BB35_108 Depth=1
	s_and_not1_b32 vcc_lo, exec_lo, s15
	s_mov_b32 s7, -1
                                        ; implicit-def: $sgpr6
	s_cbranch_vccz .LBB35_115
; %bb.114:                              ;   in Loop: Header=BB35_108 Depth=1
	s_add_co_i32 s6, s14, -4
	s_mov_b32 s7, 0
.LBB35_115:                             ;   in Loop: Header=BB35_108 Depth=1
	s_delay_alu instid0(SALU_CYCLE_1)
	s_and_not1_b32 vcc_lo, exec_lo, s7
	s_cbranch_vccnz .LBB35_107
; %bb.116:                              ;   in Loop: Header=BB35_108 Depth=1
	s_add_co_i32 s6, s13, -4
	s_branch .LBB35_107
.LBB35_117:
	s_cmp_lt_i32 s24, 2
	s_mov_b32 s10, 2
	s_cbranch_scc1 .LBB35_126
; %bb.118:
	v_mov_b32_e32 v0, 0
	s_add_nc_u64 s[4:5], s[52:53], s[50:51]
	s_add_nc_u64 s[2:3], s[40:41], 4
	;; [unrolled: 1-line block ×3, first 2 shown]
	s_mov_b32 s11, 1
	s_branch .LBB35_120
.LBB35_119:                             ;   in Loop: Header=BB35_120 Depth=1
	v_mov_b32_e32 v3, s6
	s_add_co_i32 s11, s11, 1
	s_add_co_i32 s10, s10, 1
	s_add_nc_u64 s[2:3], s[2:3], 4
	s_add_nc_u64 s[4:5], s[4:5], 4
	s_cmp_eq_u32 s11, s24
	s_clause 0x1
	global_store_b32 v3, v1, s[36:37] scale_offset
	global_store_b32 v3, v2, s[40:41] scale_offset
	s_cbranch_scc1 .LBB35_126
.LBB35_120:                             ; =>This Loop Header: Depth=1
                                        ;     Child Loop BB35_122 Depth 2
	s_wait_xcnt 0x0
	v_mov_b32_e32 v3, s11
	s_mov_b64 s[6:7], s[4:5]
	s_mov_b64 s[8:9], s[2:3]
	s_mov_b32 s14, s10
	s_clause 0x1
	global_load_b32 v1, v3, s[36:37] scale_offset
	global_load_b32 v2, v3, s[40:41] scale_offset
	s_branch .LBB35_122
.LBB35_121:                             ;   in Loop: Header=BB35_122 Depth=2
	s_and_not1_b32 vcc_lo, exec_lo, s16
	s_wait_xcnt 0x0
	s_add_nc_u64 s[6:7], s[6:7], -4
	s_cbranch_vccz .LBB35_124
.LBB35_122:                             ;   Parent Loop BB35_120 Depth=1
                                        ; =>  This Inner Loop Header: Depth=2
	global_load_b32 v3, v0, s[6:7] offset:-4
	s_mov_b32 s13, s14
	s_mov_b32 s15, -1
	s_mov_b32 s16, -1
                                        ; implicit-def: $sgpr14
	s_wait_loadcnt 0x0
	v_cmp_nlt_f32_e32 vcc_lo, v3, v1
	s_cbranch_vccnz .LBB35_121
; %bb.123:                              ;   in Loop: Header=BB35_122 Depth=2
	global_load_b32 v4, v0, s[8:9] offset:-4
	s_add_co_i32 s14, s13, -1
	s_add_nc_u64 s[18:19], s[8:9], -4
	s_cmp_lt_i32 s14, 2
	s_mov_b32 s15, 0
	s_cselect_b32 s16, -1, 0
	global_store_b32 v0, v3, s[6:7]
	s_wait_loadcnt 0x0
	global_store_b32 v0, v4, s[8:9]
	s_wait_xcnt 0x0
	s_mov_b64 s[8:9], s[18:19]
	s_branch .LBB35_121
.LBB35_124:                             ;   in Loop: Header=BB35_120 Depth=1
	s_and_b32 vcc_lo, exec_lo, s15
	s_mov_b32 s6, 0
	s_cbranch_vccz .LBB35_119
; %bb.125:                              ;   in Loop: Header=BB35_120 Depth=1
	s_add_co_i32 s6, s13, -1
	s_branch .LBB35_119
.LBB35_126:
	s_wait_xcnt 0x0
	s_or_b32 exec_lo, exec_lo, s12
	s_cmp_lt_i32 s24, 2
	s_mov_b32 s58, 0
	s_cselect_b32 s5, -1, 0
	s_wait_storecnt 0x0
	s_and_b32 vcc_lo, exec_lo, s5
	s_barrier_signal -1
	s_barrier_wait -1
	s_cbranch_vccnz .LBB35_134
; %bb.127:
	s_add_co_i32 s4, s24, -1
	s_mov_b32 s5, -1
	s_mov_b32 s2, 0
	s_mov_b32 s3, exec_lo
	v_cmpx_gt_u32_e64 s4, v41
	s_cbranch_execz .LBB35_136
; %bb.128:
	v_dual_mov_b32 v1, 0 :: v_dual_mov_b32 v0, v41
	s_mov_b32 s5, 0
                                        ; implicit-def: $sgpr6
	s_branch .LBB35_130
.LBB35_129:                             ;   in Loop: Header=BB35_130 Depth=1
	s_or_b32 exec_lo, exec_lo, s9
	s_xor_b32 s7, s8, -1
	s_and_b32 s2, exec_lo, s2
	s_delay_alu instid0(SALU_CYCLE_1) | instskip(SKIP_2) | instid1(SALU_CYCLE_1)
	s_or_b32 s5, s2, s5
	s_and_not1_b32 s2, s6, exec_lo
	s_and_b32 s6, s7, exec_lo
	s_or_b32 s6, s2, s6
	s_and_not1_b32 exec_lo, exec_lo, s5
	s_cbranch_execz .LBB35_135
.LBB35_130:                             ; =>This Inner Loop Header: Depth=1
	global_load_b32 v2, v0, s[36:37] scale_offset
	s_mov_b32 s8, exec_lo
	s_wait_loadcnt 0x0
	v_cmp_u_f32_e64 s7, v2, v2
	v_cmpx_o_f32_e32 v2, v2
	s_cbranch_execz .LBB35_132
; %bb.131:                              ;   in Loop: Header=BB35_130 Depth=1
	v_lshl_add_u64 v[4:5], v[0:1], 2, s[36:37]
	s_and_not1_b32 s7, s7, exec_lo
	global_load_b32 v3, v[4:5], off offset:4
	s_wait_loadcnt 0x0
	v_cmp_u_f32_e32 vcc_lo, v3, v3
	v_cmp_ge_f32_e64 s2, v2, v3
	s_or_b32 s2, vcc_lo, s2
	s_delay_alu instid0(SALU_CYCLE_1) | instskip(NEXT) | instid1(SALU_CYCLE_1)
	s_and_b32 s2, s2, exec_lo
	s_or_b32 s7, s7, s2
.LBB35_132:                             ;   in Loop: Header=BB35_130 Depth=1
	s_or_b32 exec_lo, exec_lo, s8
	s_mov_b32 s2, -1
	s_mov_b32 s8, -1
	s_and_saveexec_b32 s9, s7
	s_cbranch_execz .LBB35_129
; %bb.133:                              ;   in Loop: Header=BB35_130 Depth=1
	v_add_nc_u32_e32 v0, s46, v0
	s_xor_b32 s8, exec_lo, -1
	s_delay_alu instid0(VALU_DEP_1)
	v_cmp_le_u32_e32 vcc_lo, s4, v0
	s_or_not1_b32 s2, vcc_lo, exec_lo
	s_branch .LBB35_129
.LBB35_134:
	s_mov_b32 s2, 0
	s_branch .LBB35_137
.LBB35_135:
	s_or_b32 exec_lo, exec_lo, s5
	s_delay_alu instid0(SALU_CYCLE_1)
	s_mov_b32 s2, exec_lo
	s_or_not1_b32 s5, s6, exec_lo
.LBB35_136:
	s_or_b32 exec_lo, exec_lo, s3
.LBB35_137:
	s_and_saveexec_b32 s3, s5
	s_cbranch_execz .LBB35_139
; %bb.138:
	s_mov_b32 s58, exec_lo
	s_barrier_signal -1
	s_barrier_wait -1
	s_and_not1_b32 s2, s2, exec_lo
.LBB35_139:
	s_or_b32 exec_lo, exec_lo, s3
	s_mov_b32 s54, 0
	s_and_saveexec_b32 s59, s2
	s_cbranch_execz .LBB35_141
; %bb.140:
	s_get_pc_i64 s[2:3]
	s_add_nc_u64 s[2:3], s[2:3], __PRETTY_FUNCTION__._ZN9rocsolver6v33100L21shell_sort_descendingIfiEEvT0_PT_PS2_@rel64+4
	s_add_nc_u64 s[8:9], s[0:1], 0x90
	v_dual_mov_b32 v0, s2 :: v_dual_mov_b32 v1, s3
	s_get_pc_i64 s[4:5]
	s_add_nc_u64 s[4:5], s[4:5], __assert_fail@rel64+4
	s_mov_b64 s[54:55], s[0:1]
	s_swap_pc_i64 s[30:31], s[4:5]
	s_mov_b64 s[0:1], s[54:55]
	s_mov_b32 s54, exec_lo
.LBB35_141:
	s_or_b32 exec_lo, exec_lo, s59
.LBB35_142:
	s_wait_xcnt 0x0
	s_and_saveexec_b32 s20, s58
	s_cbranch_execz .LBB35_167
; %bb.143:
	s_and_not1_b32 vcc_lo, exec_lo, s57
	s_wait_storecnt 0x0
	s_barrier_signal -1
	s_barrier_wait -1
	s_cbranch_vccnz .LBB35_166
; %bb.144:
	s_cmp_gt_i32 s25, 0
	v_cmp_eq_u32_e64 s2, 0, v41
	s_cselect_b32 s30, -1, 0
	s_ashr_i32 s9, s47, 31
	s_cmp_gt_i32 s26, 0
	v_cmp_gt_u32_e64 s3, s25, v41
	s_cselect_b32 s31, -1, 0
	v_cmp_gt_u32_e64 s4, s26, v41
	s_ashr_i32 s11, s43, 31
	v_cmp_gt_u32_e64 s5, s27, v41
	v_mov_b32_e32 v1, 0
	s_mov_b32 s7, 0
	s_cmp_gt_i32 s27, 0
	s_mov_b32 s8, s47
	s_mov_b32 s10, s43
	s_cselect_b32 s33, -1, 0
	s_ashr_i32 s13, s49, 31
	s_mov_b32 s12, s49
	s_mov_b32 s6, s7
	s_branch .LBB35_146
.LBB35_145:                             ;   in Loop: Header=BB35_146 Depth=1
	s_add_co_i32 s6, s6, 1
	s_delay_alu instid0(SALU_CYCLE_1)
	s_cmp_eq_u32 s6, s24
	s_cbranch_scc1 .LBB35_166
.LBB35_146:                             ; =>This Loop Header: Depth=1
                                        ;     Child Loop BB35_150 Depth 2
                                        ;       Child Loop BB35_155 Depth 3
                                        ;       Child Loop BB35_160 Depth 3
	;; [unrolled: 1-line block ×3, first 2 shown]
	v_mov_b32_e32 v0, s6
	global_load_b32 v2, v0, s[40:41] scale_offset
	s_wait_loadcnt 0x0
	v_cmp_eq_u32_e32 vcc_lo, s6, v2
	s_cbranch_vccnz .LBB35_145
; %bb.147:                              ;   in Loop: Header=BB35_146 Depth=1
	s_lshl_b64 s[14:15], s[6:7], 2
	s_delay_alu instid0(SALU_CYCLE_1)
	s_add_nc_u64 s[14:15], s[40:41], s[14:15]
	s_branch .LBB35_150
.LBB35_148:                             ;   in Loop: Header=BB35_150 Depth=2
	s_or_b32 exec_lo, exec_lo, s18
	s_wait_storecnt 0x0
	s_barrier_signal -1
	s_barrier_wait -1
.LBB35_149:                             ;   in Loop: Header=BB35_150 Depth=2
	global_load_b32 v2, v1, s[14:15]
	s_wait_loadcnt 0x0
	v_cmp_ne_u32_e32 vcc_lo, s6, v2
	s_cbranch_vccz .LBB35_145
.LBB35_150:                             ;   Parent Loop BB35_146 Depth=1
                                        ; =>  This Loop Header: Depth=2
                                        ;       Child Loop BB35_155 Depth 3
                                        ;       Child Loop BB35_160 Depth 3
	;; [unrolled: 1-line block ×3, first 2 shown]
	global_load_b32 v0, v2, s[40:41] scale_offset
	v_ashrrev_i32_e32 v3, 31, v2
	s_wait_loadcnt 0x0
	s_barrier_signal -1
	s_barrier_wait -1
	v_readfirstlane_b32 s16, v0
	s_wait_xcnt 0x0
	s_and_saveexec_b32 s17, s2
	s_cbranch_execz .LBB35_152
; %bb.151:                              ;   in Loop: Header=BB35_150 Depth=2
	v_lshlrev_b64_e32 v[4:5], 2, v[2:3]
	v_mov_b32_e32 v0, s16
	s_delay_alu instid0(VALU_DEP_2)
	v_add_nc_u64_e32 v[4:5], s[40:41], v[4:5]
	s_clause 0x1
	global_store_b32 v[4:5], v2, off
	global_store_b32 v1, v0, s[14:15]
.LBB35_152:                             ;   in Loop: Header=BB35_150 Depth=2
	s_wait_xcnt 0x0
	s_or_b32 exec_lo, exec_lo, s17
	s_delay_alu instid0(SALU_CYCLE_1)
	s_and_not1_b32 vcc_lo, exec_lo, s30
	s_wait_storecnt 0x0
	s_barrier_signal -1
	s_barrier_wait -1
	s_cbranch_vccnz .LBB35_157
; %bb.153:                              ;   in Loop: Header=BB35_150 Depth=2
	s_and_saveexec_b32 s18, s3
	s_cbranch_execz .LBB35_156
; %bb.154:                              ;   in Loop: Header=BB35_150 Depth=2
	v_mov_b32_e32 v0, v41
	s_ashr_i32 s17, s16, 31
	s_mov_b32 s19, 0
.LBB35_155:                             ;   Parent Loop BB35_146 Depth=1
                                        ;     Parent Loop BB35_150 Depth=2
                                        ; =>    This Inner Loop Header: Depth=3
	s_delay_alu instid0(VALU_DEP_1) | instskip(SKIP_1) | instid1(VALU_DEP_1)
	v_mul_u64_e32 v[4:5], s[8:9], v[0:1]
	v_add_nc_u32_e32 v0, s46, v0
	v_cmp_le_u32_e32 vcc_lo, s25, v0
	s_or_b32 s19, vcc_lo, s19
	s_delay_alu instid0(VALU_DEP_3) | instskip(NEXT) | instid1(VALU_DEP_1)
	v_lshl_add_u64 v[4:5], v[4:5], 2, s[34:35]
	v_lshl_add_u64 v[6:7], s[16:17], 2, v[4:5]
	;; [unrolled: 1-line block ×3, first 2 shown]
	s_clause 0x1
	global_load_b32 v8, v[6:7], off
	global_load_b32 v9, v[4:5], off
	s_wait_loadcnt 0x1
	global_store_b32 v[4:5], v8, off
	s_wait_loadcnt 0x0
	global_store_b32 v[6:7], v9, off
	s_wait_xcnt 0x0
	s_and_not1_b32 exec_lo, exec_lo, s19
	s_cbranch_execnz .LBB35_155
.LBB35_156:                             ;   in Loop: Header=BB35_150 Depth=2
	s_or_b32 exec_lo, exec_lo, s18
	s_wait_storecnt 0x0
	s_barrier_signal -1
	s_barrier_wait -1
.LBB35_157:                             ;   in Loop: Header=BB35_150 Depth=2
	s_and_not1_b32 vcc_lo, exec_lo, s31
	s_cbranch_vccnz .LBB35_162
; %bb.158:                              ;   in Loop: Header=BB35_150 Depth=2
	s_and_saveexec_b32 s55, s4
	s_cbranch_execz .LBB35_161
; %bb.159:                              ;   in Loop: Header=BB35_150 Depth=2
	v_mul_u64_e32 v[4:5], s[10:11], v[2:3]
	s_ashr_i32 s17, s16, 31
	v_mov_b32_e32 v0, v41
	s_mul_u64 s[18:19], s[16:17], s[10:11]
	s_mov_b32 s17, 0
	s_lshl_b64 s[18:19], s[18:19], 2
	s_delay_alu instid0(SALU_CYCLE_1) | instskip(NEXT) | instid1(VALU_DEP_2)
	s_add_nc_u64 s[18:19], s[28:29], s[18:19]
	v_lshlrev_b64_e32 v[4:5], 2, v[4:5]
	s_delay_alu instid0(VALU_DEP_1)
	v_add_nc_u64_e32 v[4:5], s[28:29], v[4:5]
.LBB35_160:                             ;   Parent Loop BB35_146 Depth=1
                                        ;     Parent Loop BB35_150 Depth=2
                                        ; =>    This Inner Loop Header: Depth=3
	s_delay_alu instid0(VALU_DEP_1) | instskip(NEXT) | instid1(VALU_DEP_2)
	v_readfirstlane_b32 s56, v4
	v_readfirstlane_b32 s57, v5
	s_clause 0x1
	global_load_b32 v6, v0, s[18:19] scale_offset
	global_load_b32 v7, v0, s[56:57] scale_offset
	s_wait_loadcnt 0x1
	global_store_b32 v0, v6, s[56:57] scale_offset
	s_wait_loadcnt 0x0
	global_store_b32 v0, v7, s[18:19] scale_offset
	s_wait_xcnt 0x0
	v_add_nc_u32_e32 v0, s46, v0
	s_delay_alu instid0(VALU_DEP_1) | instskip(SKIP_1) | instid1(SALU_CYCLE_1)
	v_cmp_le_u32_e32 vcc_lo, s26, v0
	s_or_b32 s17, vcc_lo, s17
	s_and_not1_b32 exec_lo, exec_lo, s17
	s_cbranch_execnz .LBB35_160
.LBB35_161:                             ;   in Loop: Header=BB35_150 Depth=2
	s_or_b32 exec_lo, exec_lo, s55
	s_wait_storecnt 0x0
	s_barrier_signal -1
	s_barrier_wait -1
.LBB35_162:                             ;   in Loop: Header=BB35_150 Depth=2
	s_and_not1_b32 vcc_lo, exec_lo, s33
	s_cbranch_vccnz .LBB35_149
; %bb.163:                              ;   in Loop: Header=BB35_150 Depth=2
	s_and_saveexec_b32 s18, s5
	s_cbranch_execz .LBB35_148
; %bb.164:                              ;   in Loop: Header=BB35_150 Depth=2
	v_mov_b32_e32 v0, v41
	s_ashr_i32 s17, s16, 31
	s_mov_b32 s19, 0
.LBB35_165:                             ;   Parent Loop BB35_146 Depth=1
                                        ;     Parent Loop BB35_150 Depth=2
                                        ; =>    This Inner Loop Header: Depth=3
	s_delay_alu instid0(VALU_DEP_1) | instskip(SKIP_1) | instid1(VALU_DEP_1)
	v_mul_u64_e32 v[4:5], s[12:13], v[0:1]
	v_add_nc_u32_e32 v0, s46, v0
	v_cmp_le_u32_e32 vcc_lo, s27, v0
	s_or_b32 s19, vcc_lo, s19
	s_delay_alu instid0(VALU_DEP_3) | instskip(NEXT) | instid1(VALU_DEP_1)
	v_lshl_add_u64 v[4:5], v[4:5], 2, s[44:45]
	v_lshl_add_u64 v[6:7], s[16:17], 2, v[4:5]
	;; [unrolled: 1-line block ×3, first 2 shown]
	s_clause 0x1
	global_load_b32 v8, v[6:7], off
	global_load_b32 v9, v[4:5], off
	s_wait_loadcnt 0x1
	global_store_b32 v[4:5], v8, off
	s_wait_loadcnt 0x0
	global_store_b32 v[6:7], v9, off
	s_wait_xcnt 0x0
	s_and_not1_b32 exec_lo, exec_lo, s19
	s_cbranch_execnz .LBB35_165
	s_branch .LBB35_148
.LBB35_166:
	s_mov_b32 s56, exec_lo
.LBB35_167:
	s_or_b32 exec_lo, exec_lo, s20
	s_branch .LBB35_279
.LBB35_168:
	s_and_b32 vcc_lo, exec_lo, s48
	s_mov_b32 s56, -1
	s_cbranch_vccz .LBB35_279
; %bb.169:
	v_or3_b32 v0, v43, v44, v42
	s_mov_b32 s8, exec_lo
	s_wait_storecnt 0x0
	s_barrier_signal -1
	s_barrier_wait -1
	s_barrier_signal -1
	s_barrier_wait -1
	s_wait_xcnt 0x0
	v_cmpx_eq_u32_e32 0, v0
	s_cbranch_execz .LBB35_263
; %bb.170:
	s_cmp_lt_u32 s24, 0x2be
	s_cbranch_scc1 .LBB35_182
; %bb.171:
	v_mov_b32_e32 v0, 0
	s_add_nc_u64 s[4:5], s[52:53], s[50:51]
	s_mov_b64 s[2:3], 0xfffffffffffff50c
	s_add_nc_u64 s[4:5], s[4:5], 0xaf4
	s_movk_i32 s9, 0x2bd
	s_movk_i32 s10, 0x57a
	s_branch .LBB35_173
.LBB35_172:                             ;   in Loop: Header=BB35_173 Depth=1
	v_mov_b32_e32 v2, s6
	s_add_co_i32 s9, s9, 1
	s_add_co_i32 s10, s10, 1
	s_cmp_eq_u32 s9, s24
	s_add_nc_u64 s[4:5], s[4:5], 4
	global_store_b32 v2, v1, s[36:37] scale_offset
	s_cbranch_scc1 .LBB35_182
.LBB35_173:                             ; =>This Loop Header: Depth=1
                                        ;     Child Loop BB35_174 Depth 2
	s_wait_xcnt 0x0
	v_mov_b32_e32 v1, s9
	s_mov_b64 s[6:7], s[4:5]
	s_mov_b32 s11, s10
	global_load_b32 v1, v1, s[36:37] scale_offset
.LBB35_174:                             ;   Parent Loop BB35_173 Depth=1
                                        ; =>  This Inner Loop Header: Depth=2
	global_load_b32 v2, v0, s[6:7] offset:-2804
	s_mov_b32 s13, -1
	s_mov_b32 s14, -1
                                        ; implicit-def: $sgpr12
	s_wait_loadcnt 0x0
	v_cmp_nlt_f32_e32 vcc_lo, v2, v1
	s_cbranch_vccnz .LBB35_176
; %bb.175:                              ;   in Loop: Header=BB35_174 Depth=2
	s_add_co_i32 s12, s11, 0xfffffd43
	s_mov_b32 s13, 0
	s_cmp_lt_i32 s12, 0x57a
	global_store_b32 v0, v2, s[6:7]
	s_cselect_b32 s14, -1, 0
.LBB35_176:                             ;   in Loop: Header=BB35_174 Depth=2
	s_delay_alu instid0(SALU_CYCLE_1)
	s_and_not1_b32 vcc_lo, exec_lo, s14
	s_wait_xcnt 0x0
	s_add_nc_u64 s[6:7], s[6:7], s[2:3]
	s_cbranch_vccz .LBB35_178
; %bb.177:                              ;   in Loop: Header=BB35_174 Depth=2
	s_mov_b32 s11, s12
	s_branch .LBB35_174
.LBB35_178:                             ;   in Loop: Header=BB35_173 Depth=1
	s_and_not1_b32 vcc_lo, exec_lo, s13
	s_mov_b32 s7, -1
                                        ; implicit-def: $sgpr6
	s_cbranch_vccz .LBB35_180
; %bb.179:                              ;   in Loop: Header=BB35_173 Depth=1
	s_add_co_i32 s6, s12, 0xfffffd43
	s_mov_b32 s7, 0
.LBB35_180:                             ;   in Loop: Header=BB35_173 Depth=1
	s_delay_alu instid0(SALU_CYCLE_1)
	s_and_not1_b32 vcc_lo, exec_lo, s7
	s_cbranch_vccnz .LBB35_172
; %bb.181:                              ;   in Loop: Header=BB35_173 Depth=1
	s_add_co_i32 s6, s11, 0xfffffd43
	s_branch .LBB35_172
.LBB35_182:
	s_cmp_lt_i32 s24, 0x12e
	s_cbranch_scc1 .LBB35_194
; %bb.183:
	v_mov_b32_e32 v0, 0
	s_add_nc_u64 s[4:5], s[52:53], s[50:51]
	s_mov_b64 s[2:3], 0xfffffffffffffb4c
	s_add_nc_u64 s[4:5], s[4:5], 0x4b4
	s_movk_i32 s9, 0x12d
	s_movk_i32 s10, 0x25a
	s_branch .LBB35_185
.LBB35_184:                             ;   in Loop: Header=BB35_185 Depth=1
	v_mov_b32_e32 v2, s6
	s_add_co_i32 s9, s9, 1
	s_add_co_i32 s10, s10, 1
	s_cmp_lg_u32 s9, s24
	s_add_nc_u64 s[4:5], s[4:5], 4
	global_store_b32 v2, v1, s[36:37] scale_offset
	s_cbranch_scc0 .LBB35_194
.LBB35_185:                             ; =>This Loop Header: Depth=1
                                        ;     Child Loop BB35_186 Depth 2
	s_wait_xcnt 0x0
	v_mov_b32_e32 v1, s9
	s_mov_b64 s[6:7], s[4:5]
	s_mov_b32 s11, s10
	global_load_b32 v1, v1, s[36:37] scale_offset
.LBB35_186:                             ;   Parent Loop BB35_185 Depth=1
                                        ; =>  This Inner Loop Header: Depth=2
	global_load_b32 v2, v0, s[6:7] offset:-1204
	s_mov_b32 s13, -1
	s_mov_b32 s14, -1
                                        ; implicit-def: $sgpr12
	s_wait_loadcnt 0x0
	v_cmp_nlt_f32_e32 vcc_lo, v2, v1
	s_cbranch_vccnz .LBB35_188
; %bb.187:                              ;   in Loop: Header=BB35_186 Depth=2
	s_add_co_i32 s12, s11, 0xfffffed3
	s_mov_b32 s13, 0
	s_cmp_lt_i32 s12, 0x25a
	global_store_b32 v0, v2, s[6:7]
	s_cselect_b32 s14, -1, 0
.LBB35_188:                             ;   in Loop: Header=BB35_186 Depth=2
	s_delay_alu instid0(SALU_CYCLE_1)
	s_and_not1_b32 vcc_lo, exec_lo, s14
	s_wait_xcnt 0x0
	s_add_nc_u64 s[6:7], s[6:7], s[2:3]
	s_cbranch_vccz .LBB35_190
; %bb.189:                              ;   in Loop: Header=BB35_186 Depth=2
	s_mov_b32 s11, s12
	s_branch .LBB35_186
.LBB35_190:                             ;   in Loop: Header=BB35_185 Depth=1
	s_and_not1_b32 vcc_lo, exec_lo, s13
	s_mov_b32 s7, -1
                                        ; implicit-def: $sgpr6
	s_cbranch_vccz .LBB35_192
; %bb.191:                              ;   in Loop: Header=BB35_185 Depth=1
	s_add_co_i32 s6, s12, 0xfffffed3
	s_mov_b32 s7, 0
.LBB35_192:                             ;   in Loop: Header=BB35_185 Depth=1
	s_delay_alu instid0(SALU_CYCLE_1)
	s_and_not1_b32 vcc_lo, exec_lo, s7
	s_cbranch_vccnz .LBB35_184
; %bb.193:                              ;   in Loop: Header=BB35_185 Depth=1
	s_add_co_i32 s6, s11, 0xfffffed3
	s_branch .LBB35_184
.LBB35_194:
	s_cmp_lt_i32 s24, 0x85
	s_cbranch_scc1 .LBB35_206
; %bb.195:
	v_mov_b32_e32 v0, 0
	s_add_nc_u64 s[4:5], s[52:53], s[50:51]
	s_mov_b64 s[2:3], 0xfffffffffffffdf0
	s_add_nc_u64 s[4:5], s[4:5], 0x210
	s_movk_i32 s9, 0x84
	s_movk_i32 s10, 0x108
	s_branch .LBB35_197
.LBB35_196:                             ;   in Loop: Header=BB35_197 Depth=1
	v_mov_b32_e32 v2, s6
	s_add_co_i32 s9, s9, 1
	s_add_co_i32 s10, s10, 1
	s_cmp_lg_u32 s9, s24
	s_add_nc_u64 s[4:5], s[4:5], 4
	global_store_b32 v2, v1, s[36:37] scale_offset
	s_cbranch_scc0 .LBB35_206
.LBB35_197:                             ; =>This Loop Header: Depth=1
                                        ;     Child Loop BB35_198 Depth 2
	s_wait_xcnt 0x0
	v_mov_b32_e32 v1, s9
	s_mov_b64 s[6:7], s[4:5]
	s_mov_b32 s11, s10
	global_load_b32 v1, v1, s[36:37] scale_offset
.LBB35_198:                             ;   Parent Loop BB35_197 Depth=1
                                        ; =>  This Inner Loop Header: Depth=2
	global_load_b32 v2, v0, s[6:7] offset:-528
	s_mov_b32 s13, -1
	s_mov_b32 s14, -1
                                        ; implicit-def: $sgpr12
	s_wait_loadcnt 0x0
	v_cmp_nlt_f32_e32 vcc_lo, v2, v1
	s_cbranch_vccnz .LBB35_200
; %bb.199:                              ;   in Loop: Header=BB35_198 Depth=2
	s_add_co_i32 s12, s11, 0xffffff7c
	s_mov_b32 s13, 0
	s_cmp_lt_i32 s12, 0x108
	global_store_b32 v0, v2, s[6:7]
	s_cselect_b32 s14, -1, 0
.LBB35_200:                             ;   in Loop: Header=BB35_198 Depth=2
	s_delay_alu instid0(SALU_CYCLE_1)
	s_and_not1_b32 vcc_lo, exec_lo, s14
	s_wait_xcnt 0x0
	s_add_nc_u64 s[6:7], s[6:7], s[2:3]
	s_cbranch_vccz .LBB35_202
; %bb.201:                              ;   in Loop: Header=BB35_198 Depth=2
	s_mov_b32 s11, s12
	s_branch .LBB35_198
.LBB35_202:                             ;   in Loop: Header=BB35_197 Depth=1
	s_and_not1_b32 vcc_lo, exec_lo, s13
	s_mov_b32 s7, -1
                                        ; implicit-def: $sgpr6
	s_cbranch_vccz .LBB35_204
; %bb.203:                              ;   in Loop: Header=BB35_197 Depth=1
	s_add_co_i32 s6, s12, 0xffffff7c
	s_mov_b32 s7, 0
.LBB35_204:                             ;   in Loop: Header=BB35_197 Depth=1
	s_delay_alu instid0(SALU_CYCLE_1)
	s_and_not1_b32 vcc_lo, exec_lo, s7
	s_cbranch_vccnz .LBB35_196
; %bb.205:                              ;   in Loop: Header=BB35_197 Depth=1
	s_add_co_i32 s6, s11, 0xffffff7c
	s_branch .LBB35_196
.LBB35_206:
	s_cmp_lt_i32 s24, 58
	s_cbranch_scc1 .LBB35_218
; %bb.207:
	v_mov_b32_e32 v0, 0
	s_add_nc_u64 s[4:5], s[52:53], s[50:51]
	s_mov_b64 s[2:3], 0xffffffffffffff1c
	s_add_nc_u64 s[4:5], s[4:5], 0xe4
	s_mov_b32 s9, 57
	s_movk_i32 s10, 0x72
	s_branch .LBB35_209
.LBB35_208:                             ;   in Loop: Header=BB35_209 Depth=1
	v_mov_b32_e32 v2, s6
	s_add_co_i32 s9, s9, 1
	s_add_co_i32 s10, s10, 1
	s_cmp_lg_u32 s9, s24
	s_add_nc_u64 s[4:5], s[4:5], 4
	global_store_b32 v2, v1, s[36:37] scale_offset
	s_cbranch_scc0 .LBB35_218
.LBB35_209:                             ; =>This Loop Header: Depth=1
                                        ;     Child Loop BB35_210 Depth 2
	s_wait_xcnt 0x0
	v_mov_b32_e32 v1, s9
	s_mov_b64 s[6:7], s[4:5]
	s_mov_b32 s11, s10
	global_load_b32 v1, v1, s[36:37] scale_offset
.LBB35_210:                             ;   Parent Loop BB35_209 Depth=1
                                        ; =>  This Inner Loop Header: Depth=2
	global_load_b32 v2, v0, s[6:7] offset:-228
	s_mov_b32 s13, -1
	s_mov_b32 s14, -1
                                        ; implicit-def: $sgpr12
	s_wait_loadcnt 0x0
	v_cmp_nlt_f32_e32 vcc_lo, v2, v1
	s_cbranch_vccnz .LBB35_212
; %bb.211:                              ;   in Loop: Header=BB35_210 Depth=2
	s_sub_co_i32 s12, s11, 57
	s_mov_b32 s13, 0
	s_cmp_lt_i32 s12, 0x72
	global_store_b32 v0, v2, s[6:7]
	s_cselect_b32 s14, -1, 0
.LBB35_212:                             ;   in Loop: Header=BB35_210 Depth=2
	s_delay_alu instid0(SALU_CYCLE_1)
	s_and_not1_b32 vcc_lo, exec_lo, s14
	s_wait_xcnt 0x0
	s_add_nc_u64 s[6:7], s[6:7], s[2:3]
	s_cbranch_vccz .LBB35_214
; %bb.213:                              ;   in Loop: Header=BB35_210 Depth=2
	s_mov_b32 s11, s12
	s_branch .LBB35_210
.LBB35_214:                             ;   in Loop: Header=BB35_209 Depth=1
	s_and_not1_b32 vcc_lo, exec_lo, s13
	s_mov_b32 s7, -1
                                        ; implicit-def: $sgpr6
	s_cbranch_vccz .LBB35_216
; %bb.215:                              ;   in Loop: Header=BB35_209 Depth=1
	s_sub_co_i32 s6, s12, 57
	s_mov_b32 s7, 0
.LBB35_216:                             ;   in Loop: Header=BB35_209 Depth=1
	s_delay_alu instid0(SALU_CYCLE_1)
	s_and_not1_b32 vcc_lo, exec_lo, s7
	s_cbranch_vccnz .LBB35_208
; %bb.217:                              ;   in Loop: Header=BB35_209 Depth=1
	s_sub_co_i32 s6, s11, 57
	s_branch .LBB35_208
.LBB35_218:
	s_cmp_lt_i32 s24, 24
	s_cbranch_scc1 .LBB35_230
; %bb.219:
	v_mov_b32_e32 v0, 0
	s_add_nc_u64 s[4:5], s[52:53], s[50:51]
	s_mov_b64 s[2:3], 0xffffffffffffffa4
	s_add_nc_u64 s[4:5], s[4:5], 0x5c
	s_mov_b32 s9, 23
	s_mov_b32 s10, 46
	s_branch .LBB35_221
.LBB35_220:                             ;   in Loop: Header=BB35_221 Depth=1
	v_mov_b32_e32 v2, s6
	s_add_co_i32 s9, s9, 1
	s_add_co_i32 s10, s10, 1
	s_cmp_lg_u32 s9, s24
	s_add_nc_u64 s[4:5], s[4:5], 4
	global_store_b32 v2, v1, s[36:37] scale_offset
	s_cbranch_scc0 .LBB35_230
.LBB35_221:                             ; =>This Loop Header: Depth=1
                                        ;     Child Loop BB35_222 Depth 2
	s_wait_xcnt 0x0
	v_mov_b32_e32 v1, s9
	s_mov_b64 s[6:7], s[4:5]
	s_mov_b32 s11, s10
	global_load_b32 v1, v1, s[36:37] scale_offset
.LBB35_222:                             ;   Parent Loop BB35_221 Depth=1
                                        ; =>  This Inner Loop Header: Depth=2
	global_load_b32 v2, v0, s[6:7] offset:-92
	s_mov_b32 s13, -1
	s_mov_b32 s14, -1
                                        ; implicit-def: $sgpr12
	s_wait_loadcnt 0x0
	v_cmp_nlt_f32_e32 vcc_lo, v2, v1
	s_cbranch_vccnz .LBB35_224
; %bb.223:                              ;   in Loop: Header=BB35_222 Depth=2
	s_sub_co_i32 s12, s11, 23
	s_mov_b32 s13, 0
	s_cmp_lt_i32 s12, 46
	global_store_b32 v0, v2, s[6:7]
	s_cselect_b32 s14, -1, 0
.LBB35_224:                             ;   in Loop: Header=BB35_222 Depth=2
	s_delay_alu instid0(SALU_CYCLE_1)
	s_and_not1_b32 vcc_lo, exec_lo, s14
	s_wait_xcnt 0x0
	s_add_nc_u64 s[6:7], s[6:7], s[2:3]
	s_cbranch_vccz .LBB35_226
; %bb.225:                              ;   in Loop: Header=BB35_222 Depth=2
	s_mov_b32 s11, s12
	s_branch .LBB35_222
.LBB35_226:                             ;   in Loop: Header=BB35_221 Depth=1
	s_and_not1_b32 vcc_lo, exec_lo, s13
	s_mov_b32 s7, -1
                                        ; implicit-def: $sgpr6
	s_cbranch_vccz .LBB35_228
; %bb.227:                              ;   in Loop: Header=BB35_221 Depth=1
	s_sub_co_i32 s6, s12, 23
	s_mov_b32 s7, 0
.LBB35_228:                             ;   in Loop: Header=BB35_221 Depth=1
	s_delay_alu instid0(SALU_CYCLE_1)
	s_and_not1_b32 vcc_lo, exec_lo, s7
	s_cbranch_vccnz .LBB35_220
; %bb.229:                              ;   in Loop: Header=BB35_221 Depth=1
	s_sub_co_i32 s6, s11, 23
	s_branch .LBB35_220
.LBB35_230:
	s_cmp_lt_i32 s24, 11
	s_cbranch_scc1 .LBB35_242
; %bb.231:
	v_mov_b32_e32 v0, 0
	s_add_nc_u64 s[4:5], s[52:53], s[50:51]
	s_mov_b64 s[2:3], 0xffffffffffffffd8
	s_add_nc_u64 s[4:5], s[4:5], 40
	s_mov_b32 s9, 10
	s_mov_b32 s10, 20
	s_branch .LBB35_233
.LBB35_232:                             ;   in Loop: Header=BB35_233 Depth=1
	v_mov_b32_e32 v2, s6
	s_add_co_i32 s9, s9, 1
	s_add_co_i32 s10, s10, 1
	s_cmp_lg_u32 s9, s24
	s_add_nc_u64 s[4:5], s[4:5], 4
	global_store_b32 v2, v1, s[36:37] scale_offset
	s_cbranch_scc0 .LBB35_242
.LBB35_233:                             ; =>This Loop Header: Depth=1
                                        ;     Child Loop BB35_234 Depth 2
	s_wait_xcnt 0x0
	v_mov_b32_e32 v1, s9
	s_mov_b64 s[6:7], s[4:5]
	s_mov_b32 s11, s10
	global_load_b32 v1, v1, s[36:37] scale_offset
.LBB35_234:                             ;   Parent Loop BB35_233 Depth=1
                                        ; =>  This Inner Loop Header: Depth=2
	global_load_b32 v2, v0, s[6:7] offset:-40
	s_mov_b32 s13, -1
	s_mov_b32 s14, -1
                                        ; implicit-def: $sgpr12
	s_wait_loadcnt 0x0
	v_cmp_nlt_f32_e32 vcc_lo, v2, v1
	s_cbranch_vccnz .LBB35_236
; %bb.235:                              ;   in Loop: Header=BB35_234 Depth=2
	s_add_co_i32 s12, s11, -10
	s_mov_b32 s13, 0
	s_cmp_lt_i32 s12, 20
	global_store_b32 v0, v2, s[6:7]
	s_cselect_b32 s14, -1, 0
.LBB35_236:                             ;   in Loop: Header=BB35_234 Depth=2
	s_delay_alu instid0(SALU_CYCLE_1)
	s_and_not1_b32 vcc_lo, exec_lo, s14
	s_wait_xcnt 0x0
	s_add_nc_u64 s[6:7], s[6:7], s[2:3]
	s_cbranch_vccz .LBB35_238
; %bb.237:                              ;   in Loop: Header=BB35_234 Depth=2
	s_mov_b32 s11, s12
	s_branch .LBB35_234
.LBB35_238:                             ;   in Loop: Header=BB35_233 Depth=1
	s_and_not1_b32 vcc_lo, exec_lo, s13
	s_mov_b32 s7, -1
                                        ; implicit-def: $sgpr6
	s_cbranch_vccz .LBB35_240
; %bb.239:                              ;   in Loop: Header=BB35_233 Depth=1
	s_add_co_i32 s6, s12, -10
	s_mov_b32 s7, 0
.LBB35_240:                             ;   in Loop: Header=BB35_233 Depth=1
	s_delay_alu instid0(SALU_CYCLE_1)
	s_and_not1_b32 vcc_lo, exec_lo, s7
	s_cbranch_vccnz .LBB35_232
; %bb.241:                              ;   in Loop: Header=BB35_233 Depth=1
	s_add_co_i32 s6, s11, -10
	s_branch .LBB35_232
.LBB35_242:
	s_cmp_lt_i32 s24, 5
	s_cbranch_scc1 .LBB35_254
; %bb.243:
	v_mov_b32_e32 v0, 0
	s_add_nc_u64 s[2:3], s[52:53], s[50:51]
	s_mov_b32 s6, 4
	s_add_nc_u64 s[2:3], s[2:3], 16
	s_mov_b32 s7, 8
	s_branch .LBB35_245
.LBB35_244:                             ;   in Loop: Header=BB35_245 Depth=1
	v_mov_b32_e32 v2, s4
	s_add_co_i32 s6, s6, 1
	s_add_co_i32 s7, s7, 1
	s_cmp_lg_u32 s6, s24
	s_add_nc_u64 s[2:3], s[2:3], 4
	global_store_b32 v2, v1, s[36:37] scale_offset
	s_cbranch_scc0 .LBB35_254
.LBB35_245:                             ; =>This Loop Header: Depth=1
                                        ;     Child Loop BB35_246 Depth 2
	s_wait_xcnt 0x0
	v_mov_b32_e32 v1, s6
	s_mov_b64 s[4:5], s[2:3]
	s_mov_b32 s9, s7
	global_load_b32 v1, v1, s[36:37] scale_offset
.LBB35_246:                             ;   Parent Loop BB35_245 Depth=1
                                        ; =>  This Inner Loop Header: Depth=2
	global_load_b32 v2, v0, s[4:5] offset:-16
	s_mov_b32 s11, -1
	s_mov_b32 s12, -1
                                        ; implicit-def: $sgpr10
	s_wait_loadcnt 0x0
	v_cmp_nlt_f32_e32 vcc_lo, v2, v1
	s_cbranch_vccnz .LBB35_248
; %bb.247:                              ;   in Loop: Header=BB35_246 Depth=2
	s_add_co_i32 s10, s9, -4
	s_mov_b32 s11, 0
	s_cmp_lt_i32 s10, 8
	global_store_b32 v0, v2, s[4:5]
	s_cselect_b32 s12, -1, 0
.LBB35_248:                             ;   in Loop: Header=BB35_246 Depth=2
	s_delay_alu instid0(SALU_CYCLE_1)
	s_and_not1_b32 vcc_lo, exec_lo, s12
	s_wait_xcnt 0x0
	s_add_nc_u64 s[4:5], s[4:5], -16
	s_cbranch_vccz .LBB35_250
; %bb.249:                              ;   in Loop: Header=BB35_246 Depth=2
	s_mov_b32 s9, s10
	s_branch .LBB35_246
.LBB35_250:                             ;   in Loop: Header=BB35_245 Depth=1
	s_and_not1_b32 vcc_lo, exec_lo, s11
	s_mov_b32 s5, -1
                                        ; implicit-def: $sgpr4
	s_cbranch_vccz .LBB35_252
; %bb.251:                              ;   in Loop: Header=BB35_245 Depth=1
	s_add_co_i32 s4, s10, -4
	s_mov_b32 s5, 0
.LBB35_252:                             ;   in Loop: Header=BB35_245 Depth=1
	s_delay_alu instid0(SALU_CYCLE_1)
	s_and_not1_b32 vcc_lo, exec_lo, s5
	s_cbranch_vccnz .LBB35_244
; %bb.253:                              ;   in Loop: Header=BB35_245 Depth=1
	s_add_co_i32 s4, s9, -4
	s_branch .LBB35_244
.LBB35_254:
	s_cmp_lt_i32 s24, 2
	s_mov_b32 s6, 2
	s_cbranch_scc1 .LBB35_263
; %bb.255:
	v_mov_b32_e32 v0, 0
	s_add_nc_u64 s[2:3], s[52:53], s[50:51]
	s_mov_b32 s7, 1
	s_add_nc_u64 s[2:3], s[2:3], 4
	s_branch .LBB35_257
.LBB35_256:                             ;   in Loop: Header=BB35_257 Depth=1
	v_mov_b32_e32 v2, s4
	s_add_co_i32 s7, s7, 1
	s_add_co_i32 s6, s6, 1
	s_cmp_eq_u32 s7, s24
	s_add_nc_u64 s[2:3], s[2:3], 4
	global_store_b32 v2, v1, s[36:37] scale_offset
	s_cbranch_scc1 .LBB35_263
.LBB35_257:                             ; =>This Loop Header: Depth=1
                                        ;     Child Loop BB35_259 Depth 2
	s_wait_xcnt 0x0
	v_mov_b32_e32 v1, s7
	s_mov_b64 s[4:5], s[2:3]
	s_mov_b32 s10, s6
	global_load_b32 v1, v1, s[36:37] scale_offset
	s_branch .LBB35_259
.LBB35_258:                             ;   in Loop: Header=BB35_259 Depth=2
	s_and_not1_b32 vcc_lo, exec_lo, s12
	s_wait_xcnt 0x0
	s_add_nc_u64 s[4:5], s[4:5], -4
	s_cbranch_vccz .LBB35_261
.LBB35_259:                             ;   Parent Loop BB35_257 Depth=1
                                        ; =>  This Inner Loop Header: Depth=2
	global_load_b32 v2, v0, s[4:5] offset:-4
	s_mov_b32 s9, s10
	s_mov_b32 s11, -1
	s_mov_b32 s12, -1
                                        ; implicit-def: $sgpr10
	s_wait_loadcnt 0x0
	v_cmp_nlt_f32_e32 vcc_lo, v2, v1
	s_cbranch_vccnz .LBB35_258
; %bb.260:                              ;   in Loop: Header=BB35_259 Depth=2
	s_add_co_i32 s10, s9, -1
	s_mov_b32 s11, 0
	s_cmp_lt_i32 s10, 2
	global_store_b32 v0, v2, s[4:5]
	s_cselect_b32 s12, -1, 0
	s_branch .LBB35_258
.LBB35_261:                             ;   in Loop: Header=BB35_257 Depth=1
	s_and_b32 vcc_lo, exec_lo, s11
	s_mov_b32 s4, 0
	s_cbranch_vccz .LBB35_256
; %bb.262:                              ;   in Loop: Header=BB35_257 Depth=1
	s_add_co_i32 s4, s9, -1
	s_branch .LBB35_256
.LBB35_263:
	s_wait_xcnt 0x0
	s_or_b32 exec_lo, exec_lo, s8
	s_cmp_lt_i32 s24, 2
	s_mov_b32 s56, 0
	s_cselect_b32 s5, -1, 0
	s_wait_storecnt 0x0
	s_and_b32 vcc_lo, exec_lo, s5
	s_barrier_signal -1
	s_barrier_wait -1
	s_cbranch_vccnz .LBB35_271
; %bb.264:
	s_add_co_i32 s4, s24, -1
	s_mov_b32 s5, -1
	s_mov_b32 s2, 0
	s_mov_b32 s3, exec_lo
	v_cmpx_gt_u32_e64 s4, v41
	s_cbranch_execz .LBB35_273
; %bb.265:
	v_dual_mov_b32 v1, 0 :: v_dual_mov_b32 v0, v41
	s_mov_b32 s5, 0
                                        ; implicit-def: $sgpr6
	s_branch .LBB35_267
.LBB35_266:                             ;   in Loop: Header=BB35_267 Depth=1
	s_or_b32 exec_lo, exec_lo, s9
	s_xor_b32 s7, s8, -1
	s_and_b32 s2, exec_lo, s2
	s_delay_alu instid0(SALU_CYCLE_1) | instskip(SKIP_2) | instid1(SALU_CYCLE_1)
	s_or_b32 s5, s2, s5
	s_and_not1_b32 s2, s6, exec_lo
	s_and_b32 s6, s7, exec_lo
	s_or_b32 s6, s2, s6
	s_and_not1_b32 exec_lo, exec_lo, s5
	s_cbranch_execz .LBB35_272
.LBB35_267:                             ; =>This Inner Loop Header: Depth=1
	global_load_b32 v2, v0, s[36:37] scale_offset
	s_mov_b32 s8, exec_lo
	s_wait_loadcnt 0x0
	v_cmp_u_f32_e64 s7, v2, v2
	v_cmpx_o_f32_e32 v2, v2
	s_cbranch_execz .LBB35_269
; %bb.268:                              ;   in Loop: Header=BB35_267 Depth=1
	v_lshl_add_u64 v[4:5], v[0:1], 2, s[36:37]
	s_and_not1_b32 s7, s7, exec_lo
	global_load_b32 v3, v[4:5], off offset:4
	s_wait_loadcnt 0x0
	v_cmp_u_f32_e32 vcc_lo, v3, v3
	v_cmp_ge_f32_e64 s2, v2, v3
	s_or_b32 s2, vcc_lo, s2
	s_delay_alu instid0(SALU_CYCLE_1) | instskip(NEXT) | instid1(SALU_CYCLE_1)
	s_and_b32 s2, s2, exec_lo
	s_or_b32 s7, s7, s2
.LBB35_269:                             ;   in Loop: Header=BB35_267 Depth=1
	s_or_b32 exec_lo, exec_lo, s8
	s_mov_b32 s2, -1
	s_mov_b32 s8, -1
	s_and_saveexec_b32 s9, s7
	s_cbranch_execz .LBB35_266
; %bb.270:                              ;   in Loop: Header=BB35_267 Depth=1
	v_add_nc_u32_e32 v0, s46, v0
	s_xor_b32 s8, exec_lo, -1
	s_delay_alu instid0(VALU_DEP_1)
	v_cmp_le_u32_e32 vcc_lo, s4, v0
	s_or_not1_b32 s2, vcc_lo, exec_lo
	s_branch .LBB35_266
.LBB35_271:
	s_mov_b32 s2, 0
	s_branch .LBB35_274
.LBB35_272:
	s_or_b32 exec_lo, exec_lo, s5
	s_delay_alu instid0(SALU_CYCLE_1)
	s_mov_b32 s2, exec_lo
	s_or_not1_b32 s5, s6, exec_lo
.LBB35_273:
	s_or_b32 exec_lo, exec_lo, s3
.LBB35_274:
	s_and_saveexec_b32 s3, s5
	s_cbranch_execz .LBB35_276
; %bb.275:
	s_mov_b32 s56, exec_lo
	s_barrier_signal -1
	s_barrier_wait -1
	s_and_not1_b32 s2, s2, exec_lo
.LBB35_276:
	s_or_b32 exec_lo, exec_lo, s3
	s_and_saveexec_b32 s40, s2
	s_cbranch_execz .LBB35_278
; %bb.277:
	s_get_pc_i64 s[2:3]
	s_add_nc_u64 s[2:3], s[2:3], __PRETTY_FUNCTION__._ZN9rocsolver6v33100L21shell_sort_descendingIfiEEvT0_PT_PS2_@rel64+4
	s_add_nc_u64 s[8:9], s[0:1], 0x90
	v_dual_mov_b32 v0, s2 :: v_dual_mov_b32 v1, s3
	s_get_pc_i64 s[0:1]
	s_add_nc_u64 s[0:1], s[0:1], __assert_fail@rel64+4
	s_delay_alu instid0(SALU_CYCLE_1)
	s_swap_pc_i64 s[30:31], s[0:1]
	s_or_b32 s54, s54, exec_lo
.LBB35_278:
	s_or_b32 exec_lo, exec_lo, s40
.LBB35_279:
	s_wait_xcnt 0x0
	s_and_saveexec_b32 s0, s54
; %bb.280:
	; divergent unreachable
; %bb.281:
	s_delay_alu instid0(SALU_CYCLE_1)
	s_or_b32 exec_lo, exec_lo, s0
	s_and_saveexec_b32 s0, s56
	s_cbranch_execz .LBB35_283
; %bb.282:
	s_wait_storecnt 0x0
	s_barrier_signal -1
	s_barrier_wait -1
.LBB35_283:
	s_or_b32 exec_lo, exec_lo, s0
	s_cbranch_execnz .LBB35_307
.LBB35_284:
	s_cmp_lt_i32 s24, 2
	s_cbranch_scc1 .LBB35_307
; %bb.285:
	v_mul_lo_u32 v0, s47, v41
	s_wait_xcnt 0x0
	v_mul_lo_u32 v1, s49, v41
	s_cmp_lg_u32 s25, 0
	v_cmp_eq_u32_e64 s0, 0, v41
	s_cselect_b32 s12, -1, 0
	s_cmp_lg_u32 s26, 0
	v_cmp_gt_i32_e64 s1, s25, v41
	v_cmp_gt_i32_e64 s2, s26, v41
	;; [unrolled: 1-line block ×3, first 2 shown]
	v_mov_b32_e32 v2, 0
	s_cselect_b32 s13, -1, 0
	s_cmp_lg_u32 s27, 0
	s_add_nc_u64 s[6:7], s[52:53], s[50:51]
	s_mov_b32 s5, 0
	s_cselect_b32 s14, -1, 0
	s_add_co_i32 s15, s24, -2
	s_add_nc_u64 s[6:7], s[6:7], 4
	s_mul_i32 s16, s47, s21
	s_mul_i32 s17, s49, s21
	s_mov_b32 s18, 0
	s_mov_b32 s19, 0
	s_branch .LBB35_288
.LBB35_286:                             ;   in Loop: Header=BB35_288 Depth=1
	s_or_b32 exec_lo, exec_lo, s8
	s_wait_storecnt 0x0
	s_barrier_signal -1
	s_barrier_wait -1
.LBB35_287:                             ;   in Loop: Header=BB35_288 Depth=1
	s_add_co_i32 s18, s18, s43
	s_cmp_eq_u32 s4, s15
	s_add_nc_u64 s[6:7], s[6:7], 4
	s_cbranch_scc1 .LBB35_307
.LBB35_288:                             ; =>This Loop Header: Depth=1
                                        ;     Child Loop BB35_289 Depth 2
                                        ;     Child Loop BB35_296 Depth 2
	;; [unrolled: 1-line block ×4, first 2 shown]
	v_mov_b32_e32 v3, s19
	s_mov_b32 s4, s19
	s_add_co_i32 s19, s19, 1
	s_lshl_b64 s[8:9], s[4:5], 2
	s_mov_b64 s[10:11], s[6:7]
	global_load_b32 v4, v3, s[36:37] scale_offset
	s_add_nc_u64 s[8:9], s[36:37], s[8:9]
	s_mov_b32 s20, s19
.LBB35_289:                             ;   Parent Loop BB35_288 Depth=1
                                        ; =>  This Inner Loop Header: Depth=2
	global_load_b32 v5, v2, s[10:11]
	s_wait_xcnt 0x0
	s_add_nc_u64 s[10:11], s[10:11], 4
	s_wait_loadcnt 0x0
	v_cmp_gt_f32_e32 vcc_lo, v5, v4
	v_cndmask_b32_e64 v3, v3, s20, vcc_lo
	v_cndmask_b32_e32 v4, v4, v5, vcc_lo
	s_add_co_i32 s20, s20, 1
	s_delay_alu instid0(SALU_CYCLE_1)
	s_cmp_lg_u32 s24, s20
	s_cbranch_scc1 .LBB35_289
; %bb.290:                              ;   in Loop: Header=BB35_288 Depth=1
	v_cmp_eq_u32_e32 vcc_lo, s4, v3
	s_wait_storecnt 0x0
	s_barrier_signal -1
	s_barrier_wait -1
	s_cbranch_vccnz .LBB35_287
; %bb.291:                              ;   in Loop: Header=BB35_288 Depth=1
	s_and_saveexec_b32 s10, s0
	s_cbranch_execz .LBB35_293
; %bb.292:                              ;   in Loop: Header=BB35_288 Depth=1
	global_load_b32 v5, v2, s[8:9]
	s_wait_loadcnt 0x0
	s_clause 0x1
	global_store_b32 v3, v5, s[36:37] scale_offset
	global_store_b32 v2, v4, s[8:9]
.LBB35_293:                             ;   in Loop: Header=BB35_288 Depth=1
	s_wait_xcnt 0x0
	s_or_b32 exec_lo, exec_lo, s10
	s_delay_alu instid0(SALU_CYCLE_1)
	s_and_not1_b32 vcc_lo, exec_lo, s12
	s_cbranch_vccnz .LBB35_298
; %bb.294:                              ;   in Loop: Header=BB35_288 Depth=1
	s_and_saveexec_b32 s8, s1
	s_cbranch_execz .LBB35_297
; %bb.295:                              ;   in Loop: Header=BB35_288 Depth=1
	v_dual_mov_b32 v4, v0 :: v_dual_mov_b32 v5, v41
	s_mov_b32 s9, 0
.LBB35_296:                             ;   Parent Loop BB35_288 Depth=1
                                        ; =>  This Inner Loop Header: Depth=2
	s_delay_alu instid0(VALU_DEP_1) | instskip(NEXT) | instid1(VALU_DEP_2)
	v_dual_add_nc_u32 v6, s4, v4 :: v_dual_add_nc_u32 v7, v3, v4
	v_dual_add_nc_u32 v5, s21, v5 :: v_dual_add_nc_u32 v4, s16, v4
	s_clause 0x1
	global_load_b32 v8, v6, s[34:35] scale_offset
	global_load_b32 v9, v7, s[34:35] scale_offset
	s_wait_loadcnt 0x1
	global_store_b32 v7, v8, s[34:35] scale_offset
	s_wait_loadcnt 0x0
	global_store_b32 v6, v9, s[34:35] scale_offset
	v_cmp_le_i32_e32 vcc_lo, s25, v5
	s_or_b32 s9, vcc_lo, s9
	s_wait_xcnt 0x0
	s_and_not1_b32 exec_lo, exec_lo, s9
	s_cbranch_execnz .LBB35_296
.LBB35_297:                             ;   in Loop: Header=BB35_288 Depth=1
	s_or_b32 exec_lo, exec_lo, s8
	s_wait_storecnt 0x0
	s_barrier_signal -1
	s_barrier_wait -1
.LBB35_298:                             ;   in Loop: Header=BB35_288 Depth=1
	s_and_not1_b32 vcc_lo, exec_lo, s13
	s_cbranch_vccnz .LBB35_303
; %bb.299:                              ;   in Loop: Header=BB35_288 Depth=1
	s_and_saveexec_b32 s8, s2
	s_cbranch_execz .LBB35_302
; %bb.300:                              ;   in Loop: Header=BB35_288 Depth=1
	v_mul_lo_u32 v4, v3, s43
	v_mov_b32_e32 v5, v41
	s_mov_b32 s9, 0
.LBB35_301:                             ;   Parent Loop BB35_288 Depth=1
                                        ; =>  This Inner Loop Header: Depth=2
	s_delay_alu instid0(VALU_DEP_1)
	v_dual_add_nc_u32 v6, s18, v5 :: v_dual_add_nc_u32 v7, v4, v5
	v_add_nc_u32_e32 v5, s21, v5
	s_clause 0x1
	global_load_b32 v8, v6, s[28:29] scale_offset
	global_load_b32 v9, v7, s[28:29] scale_offset
	s_wait_loadcnt 0x1
	global_store_b32 v7, v8, s[28:29] scale_offset
	s_wait_loadcnt 0x0
	global_store_b32 v6, v9, s[28:29] scale_offset
	v_cmp_le_i32_e32 vcc_lo, s26, v5
	s_or_b32 s9, vcc_lo, s9
	s_wait_xcnt 0x0
	s_and_not1_b32 exec_lo, exec_lo, s9
	s_cbranch_execnz .LBB35_301
.LBB35_302:                             ;   in Loop: Header=BB35_288 Depth=1
	s_or_b32 exec_lo, exec_lo, s8
	s_wait_storecnt 0x0
	s_barrier_signal -1
	s_barrier_wait -1
.LBB35_303:                             ;   in Loop: Header=BB35_288 Depth=1
	s_and_not1_b32 vcc_lo, exec_lo, s14
	s_cbranch_vccnz .LBB35_287
; %bb.304:                              ;   in Loop: Header=BB35_288 Depth=1
	s_and_saveexec_b32 s8, s3
	s_cbranch_execz .LBB35_286
; %bb.305:                              ;   in Loop: Header=BB35_288 Depth=1
	v_dual_mov_b32 v4, v1 :: v_dual_mov_b32 v5, v41
	s_mov_b32 s9, 0
.LBB35_306:                             ;   Parent Loop BB35_288 Depth=1
                                        ; =>  This Inner Loop Header: Depth=2
	s_delay_alu instid0(VALU_DEP_1) | instskip(NEXT) | instid1(VALU_DEP_2)
	v_dual_add_nc_u32 v6, s4, v4 :: v_dual_add_nc_u32 v7, v3, v4
	v_dual_add_nc_u32 v5, s21, v5 :: v_dual_add_nc_u32 v4, s17, v4
	s_clause 0x1
	global_load_b32 v8, v6, s[44:45] scale_offset
	global_load_b32 v9, v7, s[44:45] scale_offset
	s_wait_loadcnt 0x1
	global_store_b32 v7, v8, s[44:45] scale_offset
	s_wait_loadcnt 0x0
	global_store_b32 v6, v9, s[44:45] scale_offset
	v_cmp_le_i32_e32 vcc_lo, s27, v5
	s_or_b32 s9, vcc_lo, s9
	s_wait_xcnt 0x0
	s_and_not1_b32 exec_lo, exec_lo, s9
	s_cbranch_execnz .LBB35_306
	s_branch .LBB35_286
.LBB35_307:
	s_mov_b32 s2, 0
.LBB35_308:
	s_delay_alu instid0(SALU_CYCLE_1)
	s_and_not1_b32 vcc_lo, exec_lo, s2
	s_cbranch_vccnz .LBB35_311
; %bb.309:
	s_mov_b32 s0, exec_lo
	s_wait_xcnt 0x0
	v_cmpx_eq_u32_e32 0, v41
	s_cbranch_execz .LBB35_311
; %bb.310:
	v_dual_mov_b32 v0, 0 :: v_dual_mov_b32 v1, s42
	s_add_nc_u64 s[0:1], s[38:39], s[22:23]
	global_store_b32 v0, v1, s[0:1]
.LBB35_311:
	s_endpgm
	.section	.rodata,"a",@progbits
	.p2align	6, 0x0
	.amdhsa_kernel _ZN9rocsolver6v33100L14bdsqr_finalizeIffPfS2_S2_EEviiiiPT0_lS4_lT1_iilT2_iilT3_iilPiS8_S8_
		.amdhsa_group_segment_fixed_size 0
		.amdhsa_private_segment_fixed_size 64
		.amdhsa_kernarg_size 400
		.amdhsa_user_sgpr_count 2
		.amdhsa_user_sgpr_dispatch_ptr 0
		.amdhsa_user_sgpr_queue_ptr 0
		.amdhsa_user_sgpr_kernarg_segment_ptr 1
		.amdhsa_user_sgpr_dispatch_id 0
		.amdhsa_user_sgpr_kernarg_preload_length 0
		.amdhsa_user_sgpr_kernarg_preload_offset 0
		.amdhsa_user_sgpr_private_segment_size 0
		.amdhsa_wavefront_size32 1
		.amdhsa_uses_dynamic_stack 0
		.amdhsa_enable_private_segment 1
		.amdhsa_system_sgpr_workgroup_id_x 1
		.amdhsa_system_sgpr_workgroup_id_y 1
		.amdhsa_system_sgpr_workgroup_id_z 0
		.amdhsa_system_sgpr_workgroup_info 0
		.amdhsa_system_vgpr_workitem_id 2
		.amdhsa_next_free_vgpr 49
		.amdhsa_next_free_sgpr 60
		.amdhsa_named_barrier_count 0
		.amdhsa_reserve_vcc 1
		.amdhsa_float_round_mode_32 0
		.amdhsa_float_round_mode_16_64 0
		.amdhsa_float_denorm_mode_32 3
		.amdhsa_float_denorm_mode_16_64 3
		.amdhsa_fp16_overflow 0
		.amdhsa_memory_ordered 1
		.amdhsa_forward_progress 1
		.amdhsa_inst_pref_size 63
		.amdhsa_round_robin_scheduling 0
		.amdhsa_exception_fp_ieee_invalid_op 0
		.amdhsa_exception_fp_denorm_src 0
		.amdhsa_exception_fp_ieee_div_zero 0
		.amdhsa_exception_fp_ieee_overflow 0
		.amdhsa_exception_fp_ieee_underflow 0
		.amdhsa_exception_fp_ieee_inexact 0
		.amdhsa_exception_int_div_zero 0
	.end_amdhsa_kernel
	.section	.text._ZN9rocsolver6v33100L14bdsqr_finalizeIffPfS2_S2_EEviiiiPT0_lS4_lT1_iilT2_iilT3_iilPiS8_S8_,"axG",@progbits,_ZN9rocsolver6v33100L14bdsqr_finalizeIffPfS2_S2_EEviiiiPT0_lS4_lT1_iilT2_iilT3_iilPiS8_S8_,comdat
.Lfunc_end35:
	.size	_ZN9rocsolver6v33100L14bdsqr_finalizeIffPfS2_S2_EEviiiiPT0_lS4_lT1_iilT2_iilT3_iilPiS8_S8_, .Lfunc_end35-_ZN9rocsolver6v33100L14bdsqr_finalizeIffPfS2_S2_EEviiiiPT0_lS4_lT1_iilT2_iilT3_iilPiS8_S8_
                                        ; -- End function
	.set _ZN9rocsolver6v33100L14bdsqr_finalizeIffPfS2_S2_EEviiiiPT0_lS4_lT1_iilT2_iilT3_iilPiS8_S8_.num_vgpr, max(45, .L__assert_fail.num_vgpr)
	.set _ZN9rocsolver6v33100L14bdsqr_finalizeIffPfS2_S2_EEviiiiPT0_lS4_lT1_iilT2_iilT3_iilPiS8_S8_.num_agpr, max(0, .L__assert_fail.num_agpr)
	.set _ZN9rocsolver6v33100L14bdsqr_finalizeIffPfS2_S2_EEviiiiPT0_lS4_lT1_iilT2_iilT3_iilPiS8_S8_.numbered_sgpr, max(60, .L__assert_fail.numbered_sgpr)
	.set _ZN9rocsolver6v33100L14bdsqr_finalizeIffPfS2_S2_EEviiiiPT0_lS4_lT1_iilT2_iilT3_iilPiS8_S8_.num_named_barrier, max(0, .L__assert_fail.num_named_barrier)
	.set _ZN9rocsolver6v33100L14bdsqr_finalizeIffPfS2_S2_EEviiiiPT0_lS4_lT1_iilT2_iilT3_iilPiS8_S8_.private_seg_size, 0+max(.L__assert_fail.private_seg_size)
	.set _ZN9rocsolver6v33100L14bdsqr_finalizeIffPfS2_S2_EEviiiiPT0_lS4_lT1_iilT2_iilT3_iilPiS8_S8_.uses_vcc, or(1, .L__assert_fail.uses_vcc)
	.set _ZN9rocsolver6v33100L14bdsqr_finalizeIffPfS2_S2_EEviiiiPT0_lS4_lT1_iilT2_iilT3_iilPiS8_S8_.uses_flat_scratch, or(0, .L__assert_fail.uses_flat_scratch)
	.set _ZN9rocsolver6v33100L14bdsqr_finalizeIffPfS2_S2_EEviiiiPT0_lS4_lT1_iilT2_iilT3_iilPiS8_S8_.has_dyn_sized_stack, or(0, .L__assert_fail.has_dyn_sized_stack)
	.set _ZN9rocsolver6v33100L14bdsqr_finalizeIffPfS2_S2_EEviiiiPT0_lS4_lT1_iilT2_iilT3_iilPiS8_S8_.has_recursion, or(0, .L__assert_fail.has_recursion)
	.set _ZN9rocsolver6v33100L14bdsqr_finalizeIffPfS2_S2_EEviiiiPT0_lS4_lT1_iilT2_iilT3_iilPiS8_S8_.has_indirect_call, or(0, .L__assert_fail.has_indirect_call)
	.section	.AMDGPU.csdata,"",@progbits
; Kernel info:
; codeLenInByte = 8044
; TotalNumSgprs: 62
; NumVgprs: 49
; ScratchSize: 64
; MemoryBound: 0
; FloatMode: 240
; IeeeMode: 1
; LDSByteSize: 0 bytes/workgroup (compile time only)
; SGPRBlocks: 0
; VGPRBlocks: 3
; NumSGPRsForWavesPerEU: 62
; NumVGPRsForWavesPerEU: 49
; NamedBarCnt: 0
; Occupancy: 16
; WaveLimiterHint : 1
; COMPUTE_PGM_RSRC2:SCRATCH_EN: 1
; COMPUTE_PGM_RSRC2:USER_SGPR: 2
; COMPUTE_PGM_RSRC2:TRAP_HANDLER: 0
; COMPUTE_PGM_RSRC2:TGID_X_EN: 1
; COMPUTE_PGM_RSRC2:TGID_Y_EN: 1
; COMPUTE_PGM_RSRC2:TGID_Z_EN: 0
; COMPUTE_PGM_RSRC2:TIDIG_COMP_CNT: 2
	.section	.text._ZN9rocsolver6v33100L8copy_matIfPfS2_NS0_7no_maskEEEviiT0_iilT1_iilT2_13rocblas_fill_17rocblas_diagonal_,"axG",@progbits,_ZN9rocsolver6v33100L8copy_matIfPfS2_NS0_7no_maskEEEviiT0_iilT1_iilT2_13rocblas_fill_17rocblas_diagonal_,comdat
	.globl	_ZN9rocsolver6v33100L8copy_matIfPfS2_NS0_7no_maskEEEviiT0_iilT1_iilT2_13rocblas_fill_17rocblas_diagonal_ ; -- Begin function _ZN9rocsolver6v33100L8copy_matIfPfS2_NS0_7no_maskEEEviiT0_iilT1_iilT2_13rocblas_fill_17rocblas_diagonal_
	.p2align	8
	.type	_ZN9rocsolver6v33100L8copy_matIfPfS2_NS0_7no_maskEEEviiT0_iilT1_iilT2_13rocblas_fill_17rocblas_diagonal_,@function
_ZN9rocsolver6v33100L8copy_matIfPfS2_NS0_7no_maskEEEviiT0_iilT1_iilT2_13rocblas_fill_17rocblas_diagonal_: ; @_ZN9rocsolver6v33100L8copy_matIfPfS2_NS0_7no_maskEEEviiT0_iilT1_iilT2_13rocblas_fill_17rocblas_diagonal_
; %bb.0:
	s_clause 0x1
	s_load_b32 s2, s[0:1], 0x54
	s_load_b64 s[4:5], s[0:1], 0x0
	s_bfe_u32 s7, ttmp6, 0x4000c
	s_bfe_u32 s9, ttmp6, 0x40010
	s_and_b32 s8, ttmp7, 0xffff
	s_add_co_i32 s7, s7, 1
	s_add_co_i32 s9, s9, 1
	s_and_b32 s6, ttmp6, 15
	s_bfe_u32 s10, ttmp6, 0x40004
	s_mul_i32 s7, ttmp9, s7
	s_mul_i32 s9, s8, s9
	s_getreg_b32 s3, hwreg(HW_REG_IB_STS2, 6, 4)
	v_bfe_u32 v1, v0, 10, 10
	v_and_b32_e32 v0, 0x3ff, v0
	s_add_co_i32 s6, s6, s7
	s_add_co_i32 s10, s10, s9
	s_wait_kmcnt 0x0
	s_lshr_b32 s7, s2, 16
	s_and_b32 s2, s2, 0xffff
	s_cmp_eq_u32 s3, 0
	s_cselect_b32 s6, ttmp9, s6
	s_cselect_b32 s8, s8, s10
	v_mad_u32 v0, s6, s2, v0
	v_mad_u32 v1, s8, s7, v1
	s_delay_alu instid0(VALU_DEP_2) | instskip(NEXT) | instid1(VALU_DEP_2)
	v_cmp_gt_u32_e32 vcc_lo, s4, v0
	v_cmp_gt_u32_e64 s2, s5, v1
	s_and_b32 s2, s2, vcc_lo
	s_delay_alu instid0(SALU_CYCLE_1)
	s_and_saveexec_b32 s4, s2
	s_cbranch_execz .LBB36_14
; %bb.1:
	s_load_b64 s[4:5], s[0:1], 0x3c
	s_wait_kmcnt 0x0
	s_cmp_lt_i32 s4, 0x7a
	s_cbranch_scc1 .LBB36_4
; %bb.2:
	s_cmp_gt_i32 s4, 0x7a
	s_cbranch_scc0 .LBB36_5
; %bb.3:
	s_cmp_lg_u32 s4, 0x7b
	s_mov_b32 s6, -1
	s_cselect_b32 s7, -1, 0
	s_cbranch_execz .LBB36_6
	s_branch .LBB36_7
.LBB36_4:
	s_mov_b32 s7, 0
	s_mov_b32 s6, 0
	s_cbranch_execnz .LBB36_8
	s_branch .LBB36_10
.LBB36_5:
	s_mov_b32 s6, 0
	s_mov_b32 s7, 0
.LBB36_6:
	v_cmp_gt_u32_e32 vcc_lo, v0, v1
	v_cmp_le_u32_e64 s2, v0, v1
	s_and_not1_b32 s6, s6, exec_lo
	s_and_not1_b32 s7, s7, exec_lo
	s_and_b32 s8, vcc_lo, exec_lo
	s_and_b32 s2, s2, exec_lo
	s_or_b32 s6, s6, s8
	s_or_b32 s7, s7, s2
.LBB36_7:
	s_branch .LBB36_10
.LBB36_8:
	s_cmp_eq_u32 s4, 0x79
	s_mov_b32 s7, -1
	s_cbranch_scc0 .LBB36_10
; %bb.9:
	v_cmp_gt_u32_e32 vcc_lo, v1, v0
	v_cmp_le_u32_e64 s2, v1, v0
	s_and_not1_b32 s4, s6, exec_lo
	s_and_b32 s6, vcc_lo, exec_lo
	s_or_not1_b32 s7, s2, exec_lo
	s_or_b32 s6, s4, s6
.LBB36_10:
	s_and_saveexec_b32 s2, s7
; %bb.11:
	v_cmp_eq_u32_e32 vcc_lo, v0, v1
	s_cmp_eq_u32 s5, 0x83
	s_cselect_b32 s4, -1, 0
	s_and_not1_b32 s5, s6, exec_lo
	s_and_b32 s4, s4, vcc_lo
	s_delay_alu instid0(SALU_CYCLE_1) | instskip(NEXT) | instid1(SALU_CYCLE_1)
	s_and_b32 s4, s4, exec_lo
	s_or_b32 s6, s5, s4
; %bb.12:
	s_or_b32 exec_lo, exec_lo, s2
	s_delay_alu instid0(SALU_CYCLE_1)
	s_and_b32 exec_lo, exec_lo, s6
	s_cbranch_execz .LBB36_14
; %bb.13:
	s_load_b256 s[4:11], s[0:1], 0x8
	s_bfe_u32 s2, ttmp6, 0x40014
	s_lshr_b32 s12, ttmp7, 16
	s_add_co_i32 s2, s2, 1
	s_bfe_u32 s14, ttmp6, 0x40008
	s_mul_i32 s2, s12, s2
	s_mov_b32 s13, 0
	s_add_co_i32 s14, s14, s2
	s_wait_kmcnt 0x0
	s_ashr_i32 s15, s6, 31
	s_cmp_eq_u32 s3, 0
	v_mad_u32 v2, v1, s7, v0
	s_cselect_b32 s12, s12, s14
	s_mov_b32 s14, s6
	s_mul_u64 s[2:3], s[8:9], s[12:13]
	s_delay_alu instid0(SALU_CYCLE_1) | instskip(NEXT) | instid1(SALU_CYCLE_1)
	s_lshl_b64 s[2:3], s[2:3], 2
	s_add_nc_u64 s[2:3], s[4:5], s[2:3]
	s_lshl_b64 s[4:5], s[14:15], 2
	s_delay_alu instid0(SALU_CYCLE_1)
	s_add_nc_u64 s[2:3], s[2:3], s[4:5]
	s_load_b128 s[4:7], s[0:1], 0x28
	global_load_b32 v2, v2, s[2:3] scale_offset
	s_wait_kmcnt 0x0
	v_mad_u32 v0, v1, s5, v0
	s_mul_u64 s[0:1], s[6:7], s[12:13]
	s_wait_xcnt 0x0
	s_ashr_i32 s3, s4, 31
	s_lshl_b64 s[0:1], s[0:1], 2
	s_mov_b32 s2, s4
	s_add_nc_u64 s[0:1], s[10:11], s[0:1]
	s_lshl_b64 s[2:3], s[2:3], 2
	s_delay_alu instid0(SALU_CYCLE_1)
	s_add_nc_u64 s[0:1], s[0:1], s[2:3]
	s_wait_loadcnt 0x0
	global_store_b32 v0, v2, s[0:1] scale_offset
.LBB36_14:
	s_endpgm
	.section	.rodata,"a",@progbits
	.p2align	6, 0x0
	.amdhsa_kernel _ZN9rocsolver6v33100L8copy_matIfPfS2_NS0_7no_maskEEEviiT0_iilT1_iilT2_13rocblas_fill_17rocblas_diagonal_
		.amdhsa_group_segment_fixed_size 0
		.amdhsa_private_segment_fixed_size 0
		.amdhsa_kernarg_size 328
		.amdhsa_user_sgpr_count 2
		.amdhsa_user_sgpr_dispatch_ptr 0
		.amdhsa_user_sgpr_queue_ptr 0
		.amdhsa_user_sgpr_kernarg_segment_ptr 1
		.amdhsa_user_sgpr_dispatch_id 0
		.amdhsa_user_sgpr_kernarg_preload_length 0
		.amdhsa_user_sgpr_kernarg_preload_offset 0
		.amdhsa_user_sgpr_private_segment_size 0
		.amdhsa_wavefront_size32 1
		.amdhsa_uses_dynamic_stack 0
		.amdhsa_enable_private_segment 0
		.amdhsa_system_sgpr_workgroup_id_x 1
		.amdhsa_system_sgpr_workgroup_id_y 1
		.amdhsa_system_sgpr_workgroup_id_z 1
		.amdhsa_system_sgpr_workgroup_info 0
		.amdhsa_system_vgpr_workitem_id 1
		.amdhsa_next_free_vgpr 3
		.amdhsa_next_free_sgpr 16
		.amdhsa_named_barrier_count 0
		.amdhsa_reserve_vcc 1
		.amdhsa_float_round_mode_32 0
		.amdhsa_float_round_mode_16_64 0
		.amdhsa_float_denorm_mode_32 3
		.amdhsa_float_denorm_mode_16_64 3
		.amdhsa_fp16_overflow 0
		.amdhsa_memory_ordered 1
		.amdhsa_forward_progress 1
		.amdhsa_inst_pref_size 5
		.amdhsa_round_robin_scheduling 0
		.amdhsa_exception_fp_ieee_invalid_op 0
		.amdhsa_exception_fp_denorm_src 0
		.amdhsa_exception_fp_ieee_div_zero 0
		.amdhsa_exception_fp_ieee_overflow 0
		.amdhsa_exception_fp_ieee_underflow 0
		.amdhsa_exception_fp_ieee_inexact 0
		.amdhsa_exception_int_div_zero 0
	.end_amdhsa_kernel
	.section	.text._ZN9rocsolver6v33100L8copy_matIfPfS2_NS0_7no_maskEEEviiT0_iilT1_iilT2_13rocblas_fill_17rocblas_diagonal_,"axG",@progbits,_ZN9rocsolver6v33100L8copy_matIfPfS2_NS0_7no_maskEEEviiT0_iilT1_iilT2_13rocblas_fill_17rocblas_diagonal_,comdat
.Lfunc_end36:
	.size	_ZN9rocsolver6v33100L8copy_matIfPfS2_NS0_7no_maskEEEviiT0_iilT1_iilT2_13rocblas_fill_17rocblas_diagonal_, .Lfunc_end36-_ZN9rocsolver6v33100L8copy_matIfPfS2_NS0_7no_maskEEEviiT0_iilT1_iilT2_13rocblas_fill_17rocblas_diagonal_
                                        ; -- End function
	.set _ZN9rocsolver6v33100L8copy_matIfPfS2_NS0_7no_maskEEEviiT0_iilT1_iilT2_13rocblas_fill_17rocblas_diagonal_.num_vgpr, 3
	.set _ZN9rocsolver6v33100L8copy_matIfPfS2_NS0_7no_maskEEEviiT0_iilT1_iilT2_13rocblas_fill_17rocblas_diagonal_.num_agpr, 0
	.set _ZN9rocsolver6v33100L8copy_matIfPfS2_NS0_7no_maskEEEviiT0_iilT1_iilT2_13rocblas_fill_17rocblas_diagonal_.numbered_sgpr, 16
	.set _ZN9rocsolver6v33100L8copy_matIfPfS2_NS0_7no_maskEEEviiT0_iilT1_iilT2_13rocblas_fill_17rocblas_diagonal_.num_named_barrier, 0
	.set _ZN9rocsolver6v33100L8copy_matIfPfS2_NS0_7no_maskEEEviiT0_iilT1_iilT2_13rocblas_fill_17rocblas_diagonal_.private_seg_size, 0
	.set _ZN9rocsolver6v33100L8copy_matIfPfS2_NS0_7no_maskEEEviiT0_iilT1_iilT2_13rocblas_fill_17rocblas_diagonal_.uses_vcc, 1
	.set _ZN9rocsolver6v33100L8copy_matIfPfS2_NS0_7no_maskEEEviiT0_iilT1_iilT2_13rocblas_fill_17rocblas_diagonal_.uses_flat_scratch, 0
	.set _ZN9rocsolver6v33100L8copy_matIfPfS2_NS0_7no_maskEEEviiT0_iilT1_iilT2_13rocblas_fill_17rocblas_diagonal_.has_dyn_sized_stack, 0
	.set _ZN9rocsolver6v33100L8copy_matIfPfS2_NS0_7no_maskEEEviiT0_iilT1_iilT2_13rocblas_fill_17rocblas_diagonal_.has_recursion, 0
	.set _ZN9rocsolver6v33100L8copy_matIfPfS2_NS0_7no_maskEEEviiT0_iilT1_iilT2_13rocblas_fill_17rocblas_diagonal_.has_indirect_call, 0
	.section	.AMDGPU.csdata,"",@progbits
; Kernel info:
; codeLenInByte = 588
; TotalNumSgprs: 18
; NumVgprs: 3
; ScratchSize: 0
; MemoryBound: 0
; FloatMode: 240
; IeeeMode: 1
; LDSByteSize: 0 bytes/workgroup (compile time only)
; SGPRBlocks: 0
; VGPRBlocks: 0
; NumSGPRsForWavesPerEU: 18
; NumVGPRsForWavesPerEU: 3
; NamedBarCnt: 0
; Occupancy: 16
; WaveLimiterHint : 0
; COMPUTE_PGM_RSRC2:SCRATCH_EN: 0
; COMPUTE_PGM_RSRC2:USER_SGPR: 2
; COMPUTE_PGM_RSRC2:TRAP_HANDLER: 0
; COMPUTE_PGM_RSRC2:TGID_X_EN: 1
; COMPUTE_PGM_RSRC2:TGID_Y_EN: 1
; COMPUTE_PGM_RSRC2:TGID_Z_EN: 1
; COMPUTE_PGM_RSRC2:TIDIG_COMP_CNT: 1
	.section	.text._ZN9rocsolver6v33100L6iota_nIdEEvPT_jS2_,"axG",@progbits,_ZN9rocsolver6v33100L6iota_nIdEEvPT_jS2_,comdat
	.globl	_ZN9rocsolver6v33100L6iota_nIdEEvPT_jS2_ ; -- Begin function _ZN9rocsolver6v33100L6iota_nIdEEvPT_jS2_
	.p2align	8
	.type	_ZN9rocsolver6v33100L6iota_nIdEEvPT_jS2_,@function
_ZN9rocsolver6v33100L6iota_nIdEEvPT_jS2_: ; @_ZN9rocsolver6v33100L6iota_nIdEEvPT_jS2_
; %bb.0:
	s_load_b32 s2, s[0:1], 0x8
	s_wait_kmcnt 0x0
	v_cmp_gt_u32_e32 vcc_lo, s2, v0
	s_and_saveexec_b32 s2, vcc_lo
	s_cbranch_execz .LBB37_2
; %bb.1:
	v_cvt_f64_u32_e32 v[2:3], v0
	s_load_b64 s[2:3], s[0:1], 0x10
	s_wait_kmcnt 0x0
	s_delay_alu instid0(VALU_DEP_1)
	v_add_f64_e32 v[2:3], s[2:3], v[2:3]
	s_load_b64 s[0:1], s[0:1], 0x0
	s_wait_kmcnt 0x0
	global_store_b64 v0, v[2:3], s[0:1] scale_offset
.LBB37_2:
	s_endpgm
	.section	.rodata,"a",@progbits
	.p2align	6, 0x0
	.amdhsa_kernel _ZN9rocsolver6v33100L6iota_nIdEEvPT_jS2_
		.amdhsa_group_segment_fixed_size 0
		.amdhsa_private_segment_fixed_size 0
		.amdhsa_kernarg_size 24
		.amdhsa_user_sgpr_count 2
		.amdhsa_user_sgpr_dispatch_ptr 0
		.amdhsa_user_sgpr_queue_ptr 0
		.amdhsa_user_sgpr_kernarg_segment_ptr 1
		.amdhsa_user_sgpr_dispatch_id 0
		.amdhsa_user_sgpr_kernarg_preload_length 0
		.amdhsa_user_sgpr_kernarg_preload_offset 0
		.amdhsa_user_sgpr_private_segment_size 0
		.amdhsa_wavefront_size32 1
		.amdhsa_uses_dynamic_stack 0
		.amdhsa_enable_private_segment 0
		.amdhsa_system_sgpr_workgroup_id_x 1
		.amdhsa_system_sgpr_workgroup_id_y 0
		.amdhsa_system_sgpr_workgroup_id_z 0
		.amdhsa_system_sgpr_workgroup_info 0
		.amdhsa_system_vgpr_workitem_id 0
		.amdhsa_next_free_vgpr 4
		.amdhsa_next_free_sgpr 4
		.amdhsa_named_barrier_count 0
		.amdhsa_reserve_vcc 1
		.amdhsa_float_round_mode_32 0
		.amdhsa_float_round_mode_16_64 0
		.amdhsa_float_denorm_mode_32 3
		.amdhsa_float_denorm_mode_16_64 3
		.amdhsa_fp16_overflow 0
		.amdhsa_memory_ordered 1
		.amdhsa_forward_progress 1
		.amdhsa_inst_pref_size 1
		.amdhsa_round_robin_scheduling 0
		.amdhsa_exception_fp_ieee_invalid_op 0
		.amdhsa_exception_fp_denorm_src 0
		.amdhsa_exception_fp_ieee_div_zero 0
		.amdhsa_exception_fp_ieee_overflow 0
		.amdhsa_exception_fp_ieee_underflow 0
		.amdhsa_exception_fp_ieee_inexact 0
		.amdhsa_exception_int_div_zero 0
	.end_amdhsa_kernel
	.section	.text._ZN9rocsolver6v33100L6iota_nIdEEvPT_jS2_,"axG",@progbits,_ZN9rocsolver6v33100L6iota_nIdEEvPT_jS2_,comdat
.Lfunc_end37:
	.size	_ZN9rocsolver6v33100L6iota_nIdEEvPT_jS2_, .Lfunc_end37-_ZN9rocsolver6v33100L6iota_nIdEEvPT_jS2_
                                        ; -- End function
	.set _ZN9rocsolver6v33100L6iota_nIdEEvPT_jS2_.num_vgpr, 4
	.set _ZN9rocsolver6v33100L6iota_nIdEEvPT_jS2_.num_agpr, 0
	.set _ZN9rocsolver6v33100L6iota_nIdEEvPT_jS2_.numbered_sgpr, 4
	.set _ZN9rocsolver6v33100L6iota_nIdEEvPT_jS2_.num_named_barrier, 0
	.set _ZN9rocsolver6v33100L6iota_nIdEEvPT_jS2_.private_seg_size, 0
	.set _ZN9rocsolver6v33100L6iota_nIdEEvPT_jS2_.uses_vcc, 1
	.set _ZN9rocsolver6v33100L6iota_nIdEEvPT_jS2_.uses_flat_scratch, 0
	.set _ZN9rocsolver6v33100L6iota_nIdEEvPT_jS2_.has_dyn_sized_stack, 0
	.set _ZN9rocsolver6v33100L6iota_nIdEEvPT_jS2_.has_recursion, 0
	.set _ZN9rocsolver6v33100L6iota_nIdEEvPT_jS2_.has_indirect_call, 0
	.section	.AMDGPU.csdata,"",@progbits
; Kernel info:
; codeLenInByte = 76
; TotalNumSgprs: 6
; NumVgprs: 4
; ScratchSize: 0
; MemoryBound: 0
; FloatMode: 240
; IeeeMode: 1
; LDSByteSize: 0 bytes/workgroup (compile time only)
; SGPRBlocks: 0
; VGPRBlocks: 0
; NumSGPRsForWavesPerEU: 6
; NumVGPRsForWavesPerEU: 4
; NamedBarCnt: 0
; Occupancy: 16
; WaveLimiterHint : 0
; COMPUTE_PGM_RSRC2:SCRATCH_EN: 0
; COMPUTE_PGM_RSRC2:USER_SGPR: 2
; COMPUTE_PGM_RSRC2:TRAP_HANDLER: 0
; COMPUTE_PGM_RSRC2:TGID_X_EN: 1
; COMPUTE_PGM_RSRC2:TGID_Y_EN: 0
; COMPUTE_PGM_RSRC2:TGID_Z_EN: 0
; COMPUTE_PGM_RSRC2:TIDIG_COMP_CNT: 0
	.section	.text._ZN9rocsolver6v33100L18geqr2_kernel_smallILi256EdidPdEEvT1_S3_T3_lS3_lPT2_lPT0_l,"axG",@progbits,_ZN9rocsolver6v33100L18geqr2_kernel_smallILi256EdidPdEEvT1_S3_T3_lS3_lPT2_lPT0_l,comdat
	.globl	_ZN9rocsolver6v33100L18geqr2_kernel_smallILi256EdidPdEEvT1_S3_T3_lS3_lPT2_lPT0_l ; -- Begin function _ZN9rocsolver6v33100L18geqr2_kernel_smallILi256EdidPdEEvT1_S3_T3_lS3_lPT2_lPT0_l
	.p2align	8
	.type	_ZN9rocsolver6v33100L18geqr2_kernel_smallILi256EdidPdEEvT1_S3_T3_lS3_lPT2_lPT0_l,@function
_ZN9rocsolver6v33100L18geqr2_kernel_smallILi256EdidPdEEvT1_S3_T3_lS3_lPT2_lPT0_l: ; @_ZN9rocsolver6v33100L18geqr2_kernel_smallILi256EdidPdEEvT1_S3_T3_lS3_lPT2_lPT0_l
; %bb.0:
	s_clause 0x4
	s_load_b256 s[4:11], s[0:1], 0x20
	s_load_b64 s[16:17], s[0:1], 0x0
	s_load_b128 s[12:15], s[0:1], 0x8
	s_load_b32 s20, s[0:1], 0x18
	s_load_b64 s[2:3], s[0:1], 0x40
	s_bfe_u32 s19, ttmp6, 0x40014
	s_lshr_b32 s18, ttmp7, 16
	s_add_co_i32 s19, s19, 1
	s_wait_xcnt 0x0
	s_bfe_u32 s0, ttmp6, 0x40008
	s_mul_i32 s19, s18, s19
	s_getreg_b32 s1, hwreg(HW_REG_IB_STS2, 6, 4)
	s_add_co_i32 s0, s0, s19
	s_cmp_eq_u32 s1, 0
	v_and_b32_e32 v1, 0x7f, v0
	s_mov_b32 s19, 0
	s_cselect_b32 s18, s18, s0
	s_delay_alu instid0(VALU_DEP_1) | instskip(SKIP_2) | instid1(SALU_CYCLE_1)
	v_dual_lshrrev_b32 v10, 7, v0 :: v_dual_lshlrev_b32 v11, 3, v1
	s_wait_kmcnt 0x0
	s_mul_u64 s[0:1], s[4:5], s[18:19]
	s_lshl_b64 s[4:5], s[0:1], 3
	v_cmp_gt_i32_e64 s0, s16, v1
	s_add_nc_u64 s[4:5], s[12:13], s[4:5]
	s_lshl_b64 s[12:13], s[14:15], 3
	s_delay_alu instid0(SALU_CYCLE_1)
	s_add_nc_u64 s[12:13], s[4:5], s[12:13]
	s_and_saveexec_b32 s4, s0
	s_cbranch_execz .LBB38_6
; %bb.1:
	v_dual_mov_b32 v5, v1 :: v_dual_lshrrev_b32 v2, 7, v0
	s_lshl_b32 s5, s16, 4
	s_lshl_b32 s14, s20, 1
	s_mov_b32 s15, s19
	s_delay_alu instid0(VALU_DEP_1) | instskip(SKIP_2) | instid1(VALU_DEP_3)
	v_mul_lo_u32 v4, s16, v2
	v_mad_u32 v3, s20, v2, v1
	v_cmp_gt_i32_e32 vcc_lo, s17, v2
	v_lshlrev_b32_e32 v4, 3, v4
	s_delay_alu instid0(VALU_DEP_1)
	v_add3_u32 v4, v4, v11, 0
	s_branch .LBB38_3
.LBB38_2:                               ;   in Loop: Header=BB38_3 Depth=1
	s_or_b32 exec_lo, exec_lo, s21
	v_add_nc_u32_e32 v5, 0x80, v5
	v_add_nc_u32_e32 v4, 0x400, v4
	;; [unrolled: 1-line block ×3, first 2 shown]
	s_delay_alu instid0(VALU_DEP_3) | instskip(SKIP_1) | instid1(SALU_CYCLE_1)
	v_cmp_le_i32_e64 s1, s16, v5
	s_or_b32 s15, s1, s15
	s_and_not1_b32 exec_lo, exec_lo, s15
	s_cbranch_execz .LBB38_6
.LBB38_3:                               ; =>This Loop Header: Depth=1
                                        ;     Child Loop BB38_5 Depth 2
	s_and_saveexec_b32 s21, vcc_lo
	s_cbranch_execz .LBB38_2
; %bb.4:                                ;   in Loop: Header=BB38_3 Depth=1
	s_delay_alu instid0(VALU_DEP_1)
	v_dual_mov_b32 v6, v3 :: v_dual_mov_b32 v7, v4
	v_mov_b32_e32 v8, v2
	s_mov_b32 s22, 0
.LBB38_5:                               ;   Parent Loop BB38_3 Depth=1
                                        ; =>  This Inner Loop Header: Depth=2
	global_load_b64 v[12:13], v6, s[12:13] scale_offset
	s_wait_xcnt 0x0
	v_dual_add_nc_u32 v8, 2, v8 :: v_dual_add_nc_u32 v6, s14, v6
	s_delay_alu instid0(VALU_DEP_1)
	v_cmp_le_i32_e64 s1, s17, v8
	s_or_b32 s22, s1, s22
	s_wait_loadcnt 0x0
	ds_store_b64 v7, v[12:13]
	v_add_nc_u32_e32 v7, s5, v7
	s_and_not1_b32 exec_lo, exec_lo, s22
	s_cbranch_execnz .LBB38_5
	s_branch .LBB38_2
.LBB38_6:
	s_or_b32 exec_lo, exec_lo, s4
	s_min_i32 s5, s17, s16
	s_wait_dscnt 0x0
	s_cmp_lt_i32 s5, 1
	s_barrier_signal -1
	s_barrier_wait -1
	s_cbranch_scc1 .LBB38_43
; %bb.7:
	v_mbcnt_lo_u32_b32 v2, -1, 0
	s_mul_i32 s1, s17, s16
	s_mul_u64 s[8:9], s[8:9], s[18:19]
	s_lshl_b32 s1, s1, 3
	s_mul_u64 s[2:3], s[2:3], s[18:19]
	v_cmp_ne_u32_e32 vcc_lo, 31, v2
	v_lshl_or_b32 v16, v2, 2, 64
	s_add_co_i32 s18, s1, 0
	s_lshl_b32 s1, s17, 3
	s_lshl_b64 s[8:9], s[8:9], 3
	v_add_co_ci_u32_e64 v3, null, 0, v2, vcc_lo
	v_cmp_gt_u32_e32 vcc_lo, 30, v2
	s_lshl_b64 s[2:3], s[2:3], 3
	s_add_co_i32 s19, s18, s1
	s_delay_alu instid0(VALU_DEP_2)
	v_dual_lshlrev_b32 v12, 2, v3 :: v_dual_bitop2_b32 v3, 31, v0 bitop3:0x40
	v_cndmask_b32_e64 v4, 0, 2, vcc_lo
	v_cmp_gt_u32_e32 vcc_lo, 28, v2
	s_cmp_eq_u64 s[6:7], 0
	s_add_nc_u64 s[8:9], s[6:7], s[8:9]
	v_cmp_eq_u32_e64 s1, 0, v3
	v_add_lshl_u32 v13, v4, v2, 2
	v_cndmask_b32_e64 v5, 0, 4, vcc_lo
	v_cmp_gt_u32_e32 vcc_lo, 24, v2
	v_dual_lshrrev_b32 v3, 2, v0 :: v_dual_lshlrev_b32 v4, 3, v0
	s_cselect_b32 s21, -1, 0
	s_delay_alu instid0(VALU_DEP_3) | instskip(SKIP_4) | instid1(VALU_DEP_2)
	v_add_lshl_u32 v14, v5, v2, 2
	v_cndmask_b32_e64 v6, 0, 8, vcc_lo
	s_cmp_lg_u64 s[6:7], 0
	v_dual_mov_b32 v21, 0 :: v_dual_add_nc_u32 v20, s19, v3
	s_cselect_b32 s6, -1, 0
	v_add_lshl_u32 v15, v6, v2, 2
	v_mad_u32 v2, s16, v0, s16
	s_lshl_b32 s7, s16, 3
	s_add_nc_u64 s[10:11], s[10:11], s[2:3]
	v_cmp_eq_u32_e64 s2, 0, v0
	v_add3_u32 v17, v4, 0, 8
	v_add3_u32 v19, 0, s7, v4
	s_mov_b32 s15, 0
	s_add_co_i32 s22, s7, 8
	s_lshl_b32 s23, s16, 11
	s_mov_b32 s24, 0
	s_mov_b32 s25, s17
	v_lshl_add_u32 v18, v2, 3, 0
	v_mov_b64_e32 v[2:3], 0
	s_mov_b32 s26, s16
	s_mov_b32 s14, s15
	s_branch .LBB38_9
.LBB38_8:                               ;   in Loop: Header=BB38_9 Depth=1
	s_or_b32 exec_lo, exec_lo, s4
	v_dual_add_nc_u32 v17, s22, v17 :: v_dual_add_nc_u32 v18, s22, v18
	v_add_nc_u32_e32 v19, s22, v19
	s_add_co_i32 s14, s14, 1
	s_add_co_i32 s25, s25, -1
	s_add_co_i32 s26, s26, -1
	s_add_co_i32 s24, s24, s22
	s_cmp_eq_u32 s14, s5
	s_wait_dscnt 0x0
	s_barrier_signal -1
	s_barrier_wait -1
	s_cbranch_scc1 .LBB38_43
.LBB38_9:                               ; =>This Loop Header: Depth=1
                                        ;     Child Loop BB38_11 Depth 2
                                        ;     Child Loop BB38_24 Depth 2
	;; [unrolled: 1-line block ×3, first 2 shown]
                                        ;       Child Loop BB38_30 Depth 3
                                        ;     Child Loop BB38_34 Depth 2
                                        ;       Child Loop BB38_36 Depth 3
	s_sub_co_i32 s27, s16, s14
	v_mov_b64_e32 v[4:5], 0
	s_add_co_i32 s29, s27, -1
	s_delay_alu instid0(SALU_CYCLE_1)
	v_cmp_gt_i32_e64 s3, s29, v0
	s_and_saveexec_b32 s4, s3
	s_cbranch_execz .LBB38_13
; %bb.10:                               ;   in Loop: Header=BB38_9 Depth=1
	v_mov_b64_e32 v[4:5], 0
	v_dual_mov_b32 v6, v17 :: v_dual_mov_b32 v7, v0
	s_mov_b32 s28, 0
.LBB38_11:                              ;   Parent Loop BB38_9 Depth=1
                                        ; =>  This Inner Loop Header: Depth=2
	ds_load_b64 v[8:9], v6
	v_add_nc_u32_e32 v7, 0x100, v7
	v_add_nc_u32_e32 v6, 0x800, v6
	s_delay_alu instid0(VALU_DEP_2)
	v_cmp_le_i32_e32 vcc_lo, s29, v7
	s_or_b32 s28, vcc_lo, s28
	s_wait_dscnt 0x0
	v_fmac_f64_e32 v[4:5], v[8:9], v[8:9]
	s_and_not1_b32 exec_lo, exec_lo, s28
	s_cbranch_execnz .LBB38_11
; %bb.12:                               ;   in Loop: Header=BB38_9 Depth=1
	s_or_b32 exec_lo, exec_lo, s28
.LBB38_13:                              ;   in Loop: Header=BB38_9 Depth=1
	s_delay_alu instid0(SALU_CYCLE_1)
	s_or_b32 exec_lo, exec_lo, s4
	ds_bpermute_b32 v6, v12, v4
	ds_bpermute_b32 v7, v12, v5
	s_wait_dscnt 0x0
	v_add_f64_e32 v[4:5], v[4:5], v[6:7]
	ds_bpermute_b32 v6, v13, v4
	ds_bpermute_b32 v7, v13, v5
	s_wait_dscnt 0x0
	v_add_f64_e32 v[4:5], v[4:5], v[6:7]
	ds_bpermute_b32 v6, v14, v4
	ds_bpermute_b32 v7, v14, v5
	s_wait_dscnt 0x0
	v_add_f64_e32 v[4:5], v[4:5], v[6:7]
	ds_bpermute_b32 v6, v15, v4
	ds_bpermute_b32 v7, v15, v5
	s_wait_dscnt 0x0
	v_add_f64_e32 v[4:5], v[4:5], v[6:7]
	ds_bpermute_b32 v6, v16, v4
	ds_bpermute_b32 v7, v16, v5
	s_wait_dscnt 0x0
	v_add_f64_e32 v[4:5], v[4:5], v[6:7]
	s_and_saveexec_b32 s4, s1
; %bb.14:                               ;   in Loop: Header=BB38_9 Depth=1
	ds_store_b64 v20, v[4:5] offset:8
; %bb.15:                               ;   in Loop: Header=BB38_9 Depth=1
	s_or_b32 exec_lo, exec_lo, s4
	s_lshl_b32 s4, s14, 3
	s_mul_i32 s28, s14, s16
	s_add_co_i32 s4, s4, 0
	s_lshl_b32 s28, s28, 3
	s_wait_dscnt 0x0
	s_add_co_i32 s28, s4, s28
	s_barrier_signal -1
	s_barrier_wait -1
	s_and_saveexec_b32 s30, s2
	s_cbranch_execz .LBB38_22
; %bb.16:                               ;   in Loop: Header=BB38_9 Depth=1
	v_mov_b32_e32 v26, s19
	s_mov_b32 s4, 0
	s_mov_b32 s31, 0
	s_mov_b32 s33, exec_lo
	ds_load_2addr_b64 v[6:9], v26 offset0:2 offset1:3
	ds_load_2addr_b64 v[22:25], v26 offset0:4 offset1:5
	s_wait_dscnt 0x1
	v_add_f64_e32 v[4:5], v[4:5], v[6:7]
	s_delay_alu instid0(VALU_DEP_1) | instskip(SKIP_1) | instid1(VALU_DEP_1)
	v_add_f64_e32 v[4:5], v[4:5], v[8:9]
	s_wait_dscnt 0x0
	v_add_f64_e32 v[4:5], v[4:5], v[22:23]
	s_delay_alu instid0(VALU_DEP_1) | instskip(SKIP_4) | instid1(VALU_DEP_1)
	v_add_f64_e32 v[8:9], v[4:5], v[24:25]
	ds_load_2addr_b64 v[4:7], v26 offset0:6 offset1:7
	ds_load_b64 v[22:23], v26 offset:64
	s_wait_dscnt 0x1
	v_add_f64_e32 v[4:5], v[8:9], v[4:5]
	v_add_f64_e32 v[4:5], v[4:5], v[6:7]
	s_wait_dscnt 0x0
	s_delay_alu instid0(VALU_DEP_1) | instskip(NEXT) | instid1(VALU_DEP_1)
	v_add_f64_e32 v[8:9], v[4:5], v[22:23]
                                        ; implicit-def: $vgpr4_vgpr5
	v_cmpx_nlt_f64_e32 0, v[8:9]
	s_xor_b32 s33, exec_lo, s33
	s_cbranch_execnz .LBB38_37
; %bb.17:                               ;   in Loop: Header=BB38_9 Depth=1
	s_or_saveexec_b32 s33, s33
	v_mov_b64_e32 v[6:7], 1.0
	s_xor_b32 exec_lo, exec_lo, s33
	s_cbranch_execnz .LBB38_41
.LBB38_18:                              ;   in Loop: Header=BB38_9 Depth=1
	s_or_b32 exec_lo, exec_lo, s33
	s_and_saveexec_b32 s33, s31
	s_cbranch_execnz .LBB38_42
.LBB38_19:                              ;   in Loop: Header=BB38_9 Depth=1
	s_or_b32 exec_lo, exec_lo, s33
	v_mov_b64_e32 v[8:9], 0
	s_and_saveexec_b32 s31, s4
	s_cbranch_execz .LBB38_21
.LBB38_20:                              ;   in Loop: Header=BB38_9 Depth=1
	v_dual_mov_b32 v8, s28 :: v_dual_mov_b32 v9, s19
	s_wait_dscnt 0x0
	ds_store_b64 v8, v[4:5]
	ds_load_b64 v[8:9], v9
.LBB38_21:                              ;   in Loop: Header=BB38_9 Depth=1
	s_or_b32 exec_lo, exec_lo, s31
	s_wait_dscnt 0x0
	v_mov_b32_e32 v4, s19
	s_lshl_b64 s[34:35], s[14:15], 3
	s_delay_alu instid0(SALU_CYCLE_1)
	s_add_nc_u64 s[34:35], s[10:11], s[34:35]
	global_store_b64 v21, v[8:9], s[34:35]
	ds_store_b64 v4, v[6:7] offset:8
.LBB38_22:                              ;   in Loop: Header=BB38_9 Depth=1
	s_wait_xcnt 0x0
	s_or_b32 exec_lo, exec_lo, s30
	s_wait_storecnt_dscnt 0x0
	s_barrier_signal -1
	s_barrier_wait -1
	s_and_saveexec_b32 s4, s3
	s_cbranch_execz .LBB38_25
; %bb.23:                               ;   in Loop: Header=BB38_9 Depth=1
	v_mov_b32_e32 v4, v0
	s_mov_b32 s3, 0
	s_mov_b32 s30, 0
.LBB38_24:                              ;   Parent Loop BB38_9 Depth=1
                                        ; =>  This Inner Loop Header: Depth=2
	s_delay_alu instid0(SALU_CYCLE_1) | instskip(NEXT) | instid1(VALU_DEP_2)
	v_dual_mov_b32 v5, s19 :: v_dual_add_nc_u32 v22, s30, v17
	v_add_nc_u32_e32 v4, 0x100, v4
	s_addk_co_i32 s30, 0x800
	ds_load_b64 v[6:7], v5 offset:8
	ds_load_b64 v[8:9], v22
	v_cmp_le_i32_e32 vcc_lo, s29, v4
	s_or_b32 s3, vcc_lo, s3
	s_wait_dscnt 0x0
	v_mul_f64_e32 v[6:7], v[6:7], v[8:9]
	ds_store_b64 v22, v[6:7]
	s_and_not1_b32 exec_lo, exec_lo, s3
	s_cbranch_execnz .LBB38_24
.LBB38_25:                              ;   in Loop: Header=BB38_9 Depth=1
	s_or_b32 exec_lo, exec_lo, s4
	s_not_b32 s3, s14
	s_mov_b32 s4, exec_lo
	s_add_co_i32 s3, s17, s3
	s_wait_dscnt 0x0
	s_barrier_signal -1
	s_barrier_wait -1
	v_cmpx_gt_i32_e64 s3, v0
	s_cbranch_execz .LBB38_31
; %bb.26:                               ;   in Loop: Header=BB38_9 Depth=1
	v_dual_mov_b32 v6, v18 :: v_dual_mov_b32 v7, v0
	s_cmp_gt_i32 s27, 0
	s_mov_b32 s29, 0
	s_cselect_b32 s30, -1, 0
	s_branch .LBB38_28
.LBB38_27:                              ;   in Loop: Header=BB38_28 Depth=2
	v_dual_mov_b32 v8, s19 :: v_dual_add_nc_u32 v6, s23, v6
	ds_load_b64 v[8:9], v8
	s_wait_dscnt 0x0
	v_mul_f64_e32 v[4:5], v[4:5], v[8:9]
	v_lshl_add_u32 v8, v7, 3, s18
	v_add_nc_u32_e32 v7, 0x100, v7
	s_delay_alu instid0(VALU_DEP_1)
	v_cmp_le_i32_e32 vcc_lo, s3, v7
	s_or_b32 s29, vcc_lo, s29
	ds_store_b64 v8, v[4:5]
	s_and_not1_b32 exec_lo, exec_lo, s29
	s_cbranch_execz .LBB38_31
.LBB38_28:                              ;   Parent Loop BB38_9 Depth=1
                                        ; =>  This Loop Header: Depth=2
                                        ;       Child Loop BB38_30 Depth 3
	v_mov_b64_e32 v[4:5], 0
	s_and_not1_b32 vcc_lo, exec_lo, s30
	s_cbranch_vccnz .LBB38_27
; %bb.29:                               ;   in Loop: Header=BB38_28 Depth=2
	v_mov_b32_e32 v8, v6
	s_mov_b32 s31, s24
	s_mov_b32 s33, s26
.LBB38_30:                              ;   Parent Loop BB38_9 Depth=1
                                        ;     Parent Loop BB38_28 Depth=2
                                        ; =>    This Inner Loop Header: Depth=3
	v_mov_b32_e32 v9, s31
	s_add_co_i32 s33, s33, -1
	s_add_co_i32 s31, s31, 8
	s_cmp_eq_u32 s33, 0
	ds_load_b64 v[22:23], v8
	ds_load_b64 v[24:25], v9
	v_add_nc_u32_e32 v8, 8, v8
	s_wait_dscnt 0x0
	v_fmac_f64_e32 v[4:5], v[22:23], v[24:25]
	s_cbranch_scc0 .LBB38_30
	s_branch .LBB38_27
.LBB38_31:                              ;   in Loop: Header=BB38_9 Depth=1
	s_or_b32 exec_lo, exec_lo, s4
	s_delay_alu instid0(SALU_CYCLE_1)
	s_mov_b32 s4, exec_lo
	s_wait_dscnt 0x0
	s_barrier_signal -1
	s_barrier_wait -1
	v_cmpx_gt_i32_e64 s27, v0
	s_cbranch_execz .LBB38_8
; %bb.32:                               ;   in Loop: Header=BB38_9 Depth=1
	v_dual_mov_b32 v4, v19 :: v_dual_mov_b32 v5, v0
	s_cmp_gt_i32 s3, 0
	s_mov_b32 s3, 0
	s_cselect_b32 s29, -1, 0
	s_branch .LBB38_34
.LBB38_33:                              ;   in Loop: Header=BB38_34 Depth=2
	v_add_nc_u32_e32 v5, 0x100, v5
	v_add_nc_u32_e32 v4, 0x800, v4
	s_delay_alu instid0(VALU_DEP_2) | instskip(SKIP_1) | instid1(SALU_CYCLE_1)
	v_cmp_le_i32_e32 vcc_lo, s27, v5
	s_or_b32 s3, vcc_lo, s3
	s_and_not1_b32 exec_lo, exec_lo, s3
	s_cbranch_execz .LBB38_8
.LBB38_34:                              ;   Parent Loop BB38_9 Depth=1
                                        ; =>  This Loop Header: Depth=2
                                        ;       Child Loop BB38_36 Depth 3
	s_and_not1_b32 vcc_lo, exec_lo, s29
	s_cbranch_vccnz .LBB38_33
; %bb.35:                               ;   in Loop: Header=BB38_34 Depth=2
	v_lshl_add_u32 v6, v5, 3, s28
	v_mov_b32_e32 v7, v4
	s_mov_b32 s30, 1
	s_mov_b32 s31, s18
.LBB38_36:                              ;   Parent Loop BB38_9 Depth=1
                                        ;     Parent Loop BB38_34 Depth=2
                                        ; =>    This Inner Loop Header: Depth=3
	s_delay_alu instid0(SALU_CYCLE_1)
	v_mov_b32_e32 v24, s31
	s_add_co_i32 s30, s30, 1
	s_add_co_i32 s31, s31, 8
	ds_load_b64 v[8:9], v7
	ds_load_b64 v[22:23], v6
	ds_load_b64 v[24:25], v24
	s_cmp_eq_u32 s25, s30
	s_wait_dscnt 0x0
	v_fma_f64 v[8:9], -v[22:23], v[24:25], v[8:9]
	ds_store_b64 v7, v[8:9]
	v_add_nc_u32_e32 v7, s7, v7
	s_cbranch_scc0 .LBB38_36
	s_branch .LBB38_33
.LBB38_37:                              ;   in Loop: Header=BB38_9 Depth=1
	v_mov_b32_e32 v4, s19
	s_and_b32 vcc_lo, exec_lo, s6
	ds_store_b64 v4, v[2:3]
	s_cbranch_vccz .LBB38_39
; %bb.38:                               ;   in Loop: Header=BB38_9 Depth=1
	v_mov_b32_e32 v4, s28
	s_mov_b32 s31, -1
	ds_load_b64 v[4:5], v4
	s_branch .LBB38_40
.LBB38_39:                              ;   in Loop: Header=BB38_9 Depth=1
                                        ; implicit-def: $vgpr4_vgpr5
.LBB38_40:                              ;   in Loop: Header=BB38_9 Depth=1
	s_and_b32 s31, s31, exec_lo
                                        ; implicit-def: $vgpr8_vgpr9
	s_or_saveexec_b32 s33, s33
	v_mov_b64_e32 v[6:7], 1.0
	s_xor_b32 exec_lo, exec_lo, s33
	s_cbranch_execz .LBB38_18
.LBB38_41:                              ;   in Loop: Header=BB38_9 Depth=1
	s_wait_dscnt 0x0
	v_mov_b32_e32 v4, s28
	s_and_not1_b32 s31, s31, exec_lo
	s_and_b32 s34, s6, exec_lo
	s_delay_alu instid0(SALU_CYCLE_1) | instskip(SKIP_3) | instid1(VALU_DEP_1)
	s_or_b32 s31, s31, s34
	ds_load_b64 v[6:7], v4
	s_wait_dscnt 0x0
	v_fmac_f64_e32 v[8:9], v[6:7], v[6:7]
	v_cmp_gt_f64_e32 vcc_lo, 0x10000000, v[8:9]
	v_cndmask_b32_e64 v4, 0, 0x100, vcc_lo
	s_delay_alu instid0(VALU_DEP_1) | instskip(NEXT) | instid1(VALU_DEP_1)
	v_ldexp_f64 v[4:5], v[8:9], v4
	v_rsq_f64_e32 v[8:9], v[4:5]
	v_nop
	s_delay_alu instid0(TRANS32_DEP_1) | instskip(SKIP_1) | instid1(VALU_DEP_1)
	v_mul_f64_e32 v[22:23], v[4:5], v[8:9]
	v_mul_f64_e32 v[8:9], 0.5, v[8:9]
	v_fma_f64 v[24:25], -v[8:9], v[22:23], 0.5
	s_delay_alu instid0(VALU_DEP_1) | instskip(SKIP_1) | instid1(VALU_DEP_2)
	v_fmac_f64_e32 v[22:23], v[22:23], v[24:25]
	v_fmac_f64_e32 v[8:9], v[8:9], v[24:25]
	v_fma_f64 v[24:25], -v[22:23], v[22:23], v[4:5]
	s_delay_alu instid0(VALU_DEP_1) | instskip(NEXT) | instid1(VALU_DEP_1)
	v_fmac_f64_e32 v[22:23], v[24:25], v[8:9]
	v_fma_f64 v[24:25], -v[22:23], v[22:23], v[4:5]
	s_delay_alu instid0(VALU_DEP_1) | instskip(SKIP_2) | instid1(VALU_DEP_2)
	v_fmac_f64_e32 v[22:23], v[24:25], v[8:9]
	v_cndmask_b32_e64 v8, 0, 0xffffff80, vcc_lo
	v_cmp_class_f64_e64 vcc_lo, v[4:5], 0x260
	v_ldexp_f64 v[8:9], v[22:23], v8
	s_delay_alu instid0(VALU_DEP_1) | instskip(SKIP_1) | instid1(VALU_DEP_2)
	v_dual_cndmask_b32 v4, v8, v4 :: v_dual_cndmask_b32 v5, v9, v5
	v_cmp_le_f64_e32 vcc_lo, 0, v[6:7]
	v_xor_b32_e32 v8, 0x80000000, v5
	s_delay_alu instid0(VALU_DEP_1) | instskip(NEXT) | instid1(VALU_DEP_1)
	v_cndmask_b32_e32 v5, v5, v8, vcc_lo
	v_add_f64_e64 v[8:9], v[6:7], -v[4:5]
	v_add_f64_e64 v[6:7], v[4:5], -v[6:7]
	s_delay_alu instid0(VALU_DEP_2) | instskip(NEXT) | instid1(VALU_DEP_2)
	v_div_scale_f64 v[22:23], null, v[8:9], v[8:9], 1.0
	v_div_scale_f64 v[24:25], null, v[4:5], v[4:5], v[6:7]
	v_div_scale_f64 v[34:35], vcc_lo, 1.0, v[8:9], 1.0
	s_delay_alu instid0(VALU_DEP_3) | instskip(NEXT) | instid1(VALU_DEP_2)
	v_rcp_f64_e32 v[26:27], v[22:23]
	v_rcp_f64_e32 v[28:29], v[24:25]
	s_delay_alu instid0(TRANS32_DEP_2) | instskip(NEXT) | instid1(TRANS32_DEP_1)
	v_fma_f64 v[30:31], -v[22:23], v[26:27], 1.0
	v_fma_f64 v[32:33], -v[24:25], v[28:29], 1.0
	s_delay_alu instid0(VALU_DEP_2) | instskip(NEXT) | instid1(VALU_DEP_2)
	v_fmac_f64_e32 v[26:27], v[26:27], v[30:31]
	v_fmac_f64_e32 v[28:29], v[28:29], v[32:33]
	s_delay_alu instid0(VALU_DEP_2) | instskip(NEXT) | instid1(VALU_DEP_2)
	v_fma_f64 v[30:31], -v[22:23], v[26:27], 1.0
	v_fma_f64 v[32:33], -v[24:25], v[28:29], 1.0
	s_delay_alu instid0(VALU_DEP_2) | instskip(NEXT) | instid1(VALU_DEP_2)
	v_fmac_f64_e32 v[26:27], v[26:27], v[30:31]
	v_fmac_f64_e32 v[28:29], v[28:29], v[32:33]
	s_delay_alu instid0(VALU_DEP_2) | instskip(SKIP_1) | instid1(VALU_DEP_2)
	v_mul_f64_e32 v[32:33], v[34:35], v[26:27]
	v_div_scale_f64 v[30:31], s4, v[6:7], v[4:5], v[6:7]
	v_fma_f64 v[22:23], -v[22:23], v[32:33], v[34:35]
	s_delay_alu instid0(VALU_DEP_2) | instskip(NEXT) | instid1(VALU_DEP_2)
	v_mul_f64_e32 v[36:37], v[30:31], v[28:29]
	v_div_fmas_f64 v[22:23], v[22:23], v[26:27], v[32:33]
	s_delay_alu instid0(VALU_DEP_2) | instskip(SKIP_2) | instid1(VALU_DEP_1)
	v_fma_f64 v[24:25], -v[24:25], v[36:37], v[30:31]
	s_mov_b32 vcc_lo, s4
	s_and_b32 s4, s21, exec_lo
	v_div_fmas_f64 v[24:25], v[24:25], v[28:29], v[36:37]
	s_delay_alu instid0(VALU_DEP_1) | instskip(NEXT) | instid1(VALU_DEP_4)
	v_div_fixup_f64 v[24:25], v[24:25], v[4:5], v[6:7]
	v_div_fixup_f64 v[6:7], v[22:23], v[8:9], 1.0
	v_mov_b32_e32 v8, s19
	ds_store_b64 v8, v[24:25]
	s_or_b32 exec_lo, exec_lo, s33
	s_and_saveexec_b32 s33, s31
	s_cbranch_execz .LBB38_19
.LBB38_42:                              ;   in Loop: Header=BB38_9 Depth=1
	s_lshl_b64 s[34:35], s[14:15], 3
	s_or_b32 s4, s4, exec_lo
	s_add_nc_u64 s[34:35], s[8:9], s[34:35]
	s_wait_dscnt 0x0
	global_store_b64 v21, v[4:5], s[34:35]
	s_wait_xcnt 0x0
	v_mov_b64_e32 v[4:5], 1.0
	s_or_b32 exec_lo, exec_lo, s33
	v_mov_b64_e32 v[8:9], 0
	s_and_saveexec_b32 s31, s4
	s_cbranch_execnz .LBB38_20
	s_branch .LBB38_21
.LBB38_43:
	s_and_saveexec_b32 s1, s0
	s_cbranch_execz .LBB38_49
; %bb.44:
	v_mul_lo_u32 v2, s16, v10
	v_mad_u32 v0, s20, v10, v1
	s_lshl_b32 s1, s20, 1
	s_mov_b32 s2, 0
	s_lshl_b32 s3, s16, 4
	v_cmp_gt_i32_e32 vcc_lo, s17, v10
	s_delay_alu instid0(VALU_DEP_3) | instskip(NEXT) | instid1(VALU_DEP_1)
	v_lshlrev_b32_e32 v2, 3, v2
	v_add3_u32 v2, v2, v11, 0
	s_branch .LBB38_46
.LBB38_45:                              ;   in Loop: Header=BB38_46 Depth=1
	s_or_b32 exec_lo, exec_lo, s4
	v_add_nc_u32_e32 v1, 0x80, v1
	v_add_nc_u32_e32 v0, 0x80, v0
	;; [unrolled: 1-line block ×3, first 2 shown]
	s_delay_alu instid0(VALU_DEP_3) | instskip(SKIP_1) | instid1(SALU_CYCLE_1)
	v_cmp_le_i32_e64 s0, s16, v1
	s_or_b32 s2, s0, s2
	s_and_not1_b32 exec_lo, exec_lo, s2
	s_cbranch_execz .LBB38_49
.LBB38_46:                              ; =>This Loop Header: Depth=1
                                        ;     Child Loop BB38_48 Depth 2
	s_and_saveexec_b32 s4, vcc_lo
	s_cbranch_execz .LBB38_45
; %bb.47:                               ;   in Loop: Header=BB38_46 Depth=1
	s_delay_alu instid0(VALU_DEP_1)
	v_dual_mov_b32 v3, v2 :: v_dual_mov_b32 v4, v0
	v_mov_b32_e32 v5, v10
	s_mov_b32 s5, 0
.LBB38_48:                              ;   Parent Loop BB38_46 Depth=1
                                        ; =>  This Inner Loop Header: Depth=2
	ds_load_b64 v[6:7], v3
	v_dual_add_nc_u32 v5, 2, v5 :: v_dual_add_nc_u32 v3, s3, v3
	s_delay_alu instid0(VALU_DEP_1)
	v_cmp_le_i32_e64 s0, s17, v5
	s_or_b32 s5, s0, s5
	s_wait_dscnt 0x0
	global_store_b64 v4, v[6:7], s[12:13] scale_offset
	s_wait_xcnt 0x0
	v_add_nc_u32_e32 v4, s1, v4
	s_and_not1_b32 exec_lo, exec_lo, s5
	s_cbranch_execnz .LBB38_48
	s_branch .LBB38_45
.LBB38_49:
	s_endpgm
	.section	.rodata,"a",@progbits
	.p2align	6, 0x0
	.amdhsa_kernel _ZN9rocsolver6v33100L18geqr2_kernel_smallILi256EdidPdEEvT1_S3_T3_lS3_lPT2_lPT0_l
		.amdhsa_group_segment_fixed_size 0
		.amdhsa_private_segment_fixed_size 0
		.amdhsa_kernarg_size 72
		.amdhsa_user_sgpr_count 2
		.amdhsa_user_sgpr_dispatch_ptr 0
		.amdhsa_user_sgpr_queue_ptr 0
		.amdhsa_user_sgpr_kernarg_segment_ptr 1
		.amdhsa_user_sgpr_dispatch_id 0
		.amdhsa_user_sgpr_kernarg_preload_length 0
		.amdhsa_user_sgpr_kernarg_preload_offset 0
		.amdhsa_user_sgpr_private_segment_size 0
		.amdhsa_wavefront_size32 1
		.amdhsa_uses_dynamic_stack 0
		.amdhsa_enable_private_segment 0
		.amdhsa_system_sgpr_workgroup_id_x 1
		.amdhsa_system_sgpr_workgroup_id_y 0
		.amdhsa_system_sgpr_workgroup_id_z 1
		.amdhsa_system_sgpr_workgroup_info 0
		.amdhsa_system_vgpr_workitem_id 0
		.amdhsa_next_free_vgpr 38
		.amdhsa_next_free_sgpr 36
		.amdhsa_named_barrier_count 0
		.amdhsa_reserve_vcc 1
		.amdhsa_float_round_mode_32 0
		.amdhsa_float_round_mode_16_64 0
		.amdhsa_float_denorm_mode_32 3
		.amdhsa_float_denorm_mode_16_64 3
		.amdhsa_fp16_overflow 0
		.amdhsa_memory_ordered 1
		.amdhsa_forward_progress 1
		.amdhsa_inst_pref_size 20
		.amdhsa_round_robin_scheduling 0
		.amdhsa_exception_fp_ieee_invalid_op 0
		.amdhsa_exception_fp_denorm_src 0
		.amdhsa_exception_fp_ieee_div_zero 0
		.amdhsa_exception_fp_ieee_overflow 0
		.amdhsa_exception_fp_ieee_underflow 0
		.amdhsa_exception_fp_ieee_inexact 0
		.amdhsa_exception_int_div_zero 0
	.end_amdhsa_kernel
	.section	.text._ZN9rocsolver6v33100L18geqr2_kernel_smallILi256EdidPdEEvT1_S3_T3_lS3_lPT2_lPT0_l,"axG",@progbits,_ZN9rocsolver6v33100L18geqr2_kernel_smallILi256EdidPdEEvT1_S3_T3_lS3_lPT2_lPT0_l,comdat
.Lfunc_end38:
	.size	_ZN9rocsolver6v33100L18geqr2_kernel_smallILi256EdidPdEEvT1_S3_T3_lS3_lPT2_lPT0_l, .Lfunc_end38-_ZN9rocsolver6v33100L18geqr2_kernel_smallILi256EdidPdEEvT1_S3_T3_lS3_lPT2_lPT0_l
                                        ; -- End function
	.set _ZN9rocsolver6v33100L18geqr2_kernel_smallILi256EdidPdEEvT1_S3_T3_lS3_lPT2_lPT0_l.num_vgpr, 38
	.set _ZN9rocsolver6v33100L18geqr2_kernel_smallILi256EdidPdEEvT1_S3_T3_lS3_lPT2_lPT0_l.num_agpr, 0
	.set _ZN9rocsolver6v33100L18geqr2_kernel_smallILi256EdidPdEEvT1_S3_T3_lS3_lPT2_lPT0_l.numbered_sgpr, 36
	.set _ZN9rocsolver6v33100L18geqr2_kernel_smallILi256EdidPdEEvT1_S3_T3_lS3_lPT2_lPT0_l.num_named_barrier, 0
	.set _ZN9rocsolver6v33100L18geqr2_kernel_smallILi256EdidPdEEvT1_S3_T3_lS3_lPT2_lPT0_l.private_seg_size, 0
	.set _ZN9rocsolver6v33100L18geqr2_kernel_smallILi256EdidPdEEvT1_S3_T3_lS3_lPT2_lPT0_l.uses_vcc, 1
	.set _ZN9rocsolver6v33100L18geqr2_kernel_smallILi256EdidPdEEvT1_S3_T3_lS3_lPT2_lPT0_l.uses_flat_scratch, 0
	.set _ZN9rocsolver6v33100L18geqr2_kernel_smallILi256EdidPdEEvT1_S3_T3_lS3_lPT2_lPT0_l.has_dyn_sized_stack, 0
	.set _ZN9rocsolver6v33100L18geqr2_kernel_smallILi256EdidPdEEvT1_S3_T3_lS3_lPT2_lPT0_l.has_recursion, 0
	.set _ZN9rocsolver6v33100L18geqr2_kernel_smallILi256EdidPdEEvT1_S3_T3_lS3_lPT2_lPT0_l.has_indirect_call, 0
	.section	.AMDGPU.csdata,"",@progbits
; Kernel info:
; codeLenInByte = 2556
; TotalNumSgprs: 38
; NumVgprs: 38
; ScratchSize: 0
; MemoryBound: 0
; FloatMode: 240
; IeeeMode: 1
; LDSByteSize: 0 bytes/workgroup (compile time only)
; SGPRBlocks: 0
; VGPRBlocks: 2
; NumSGPRsForWavesPerEU: 38
; NumVGPRsForWavesPerEU: 38
; NamedBarCnt: 0
; Occupancy: 16
; WaveLimiterHint : 0
; COMPUTE_PGM_RSRC2:SCRATCH_EN: 0
; COMPUTE_PGM_RSRC2:USER_SGPR: 2
; COMPUTE_PGM_RSRC2:TRAP_HANDLER: 0
; COMPUTE_PGM_RSRC2:TGID_X_EN: 1
; COMPUTE_PGM_RSRC2:TGID_Y_EN: 0
; COMPUTE_PGM_RSRC2:TGID_Z_EN: 1
; COMPUTE_PGM_RSRC2:TIDIG_COMP_CNT: 0
	.section	.text._ZN9rocsolver6v33100L16reset_batch_infoIdiiPdEEvT2_lT0_T1_,"axG",@progbits,_ZN9rocsolver6v33100L16reset_batch_infoIdiiPdEEvT2_lT0_T1_,comdat
	.globl	_ZN9rocsolver6v33100L16reset_batch_infoIdiiPdEEvT2_lT0_T1_ ; -- Begin function _ZN9rocsolver6v33100L16reset_batch_infoIdiiPdEEvT2_lT0_T1_
	.p2align	8
	.type	_ZN9rocsolver6v33100L16reset_batch_infoIdiiPdEEvT2_lT0_T1_,@function
_ZN9rocsolver6v33100L16reset_batch_infoIdiiPdEEvT2_lT0_T1_: ; @_ZN9rocsolver6v33100L16reset_batch_infoIdiiPdEEvT2_lT0_T1_
; %bb.0:
	s_clause 0x1
	s_load_b32 s5, s[0:1], 0x24
	s_load_b64 s[2:3], s[0:1], 0x10
	s_bfe_u32 s4, ttmp6, 0x4000c
	s_and_b32 s6, ttmp6, 15
	s_add_co_i32 s7, s4, 1
	s_getreg_b32 s4, hwreg(HW_REG_IB_STS2, 6, 4)
	s_mul_i32 s7, ttmp9, s7
	s_delay_alu instid0(SALU_CYCLE_1) | instskip(SKIP_4) | instid1(SALU_CYCLE_1)
	s_add_co_i32 s6, s6, s7
	s_wait_kmcnt 0x0
	s_and_b32 s5, s5, 0xffff
	s_cmp_eq_u32 s4, 0
	s_cselect_b32 s6, ttmp9, s6
	v_mad_u32 v0, s6, s5, v0
	s_delay_alu instid0(VALU_DEP_1)
	v_cmp_gt_i32_e32 vcc_lo, s2, v0
	s_and_saveexec_b32 s2, vcc_lo
	s_cbranch_execz .LBB39_2
; %bb.1:
	v_cvt_f64_i32_e32 v[2:3], s3
	s_load_b128 s[0:3], s[0:1], 0x0
	s_bfe_u32 s5, ttmp6, 0x40010
	s_bfe_u32 s6, ttmp6, 0x40004
	s_add_co_i32 s5, s5, 1
	s_delay_alu instid0(SALU_CYCLE_1) | instskip(NEXT) | instid1(SALU_CYCLE_1)
	s_mul_i32 s5, ttmp7, s5
	s_add_co_i32 s6, s6, s5
	s_cmp_eq_u32 s4, 0
	s_cselect_b32 s4, ttmp7, s6
	s_delay_alu instid0(SALU_CYCLE_1) | instskip(SKIP_2) | instid1(SALU_CYCLE_1)
	s_ashr_i32 s5, s4, 31
	s_wait_kmcnt 0x0
	s_mul_u64 s[2:3], s[2:3], s[4:5]
	s_lshl_b64 s[2:3], s[2:3], 3
	s_delay_alu instid0(SALU_CYCLE_1)
	s_add_nc_u64 s[0:1], s[0:1], s[2:3]
	global_store_b64 v0, v[2:3], s[0:1] scale_offset
.LBB39_2:
	s_endpgm
	.section	.rodata,"a",@progbits
	.p2align	6, 0x0
	.amdhsa_kernel _ZN9rocsolver6v33100L16reset_batch_infoIdiiPdEEvT2_lT0_T1_
		.amdhsa_group_segment_fixed_size 0
		.amdhsa_private_segment_fixed_size 0
		.amdhsa_kernarg_size 280
		.amdhsa_user_sgpr_count 2
		.amdhsa_user_sgpr_dispatch_ptr 0
		.amdhsa_user_sgpr_queue_ptr 0
		.amdhsa_user_sgpr_kernarg_segment_ptr 1
		.amdhsa_user_sgpr_dispatch_id 0
		.amdhsa_user_sgpr_kernarg_preload_length 0
		.amdhsa_user_sgpr_kernarg_preload_offset 0
		.amdhsa_user_sgpr_private_segment_size 0
		.amdhsa_wavefront_size32 1
		.amdhsa_uses_dynamic_stack 0
		.amdhsa_enable_private_segment 0
		.amdhsa_system_sgpr_workgroup_id_x 1
		.amdhsa_system_sgpr_workgroup_id_y 1
		.amdhsa_system_sgpr_workgroup_id_z 0
		.amdhsa_system_sgpr_workgroup_info 0
		.amdhsa_system_vgpr_workitem_id 0
		.amdhsa_next_free_vgpr 4
		.amdhsa_next_free_sgpr 8
		.amdhsa_named_barrier_count 0
		.amdhsa_reserve_vcc 1
		.amdhsa_float_round_mode_32 0
		.amdhsa_float_round_mode_16_64 0
		.amdhsa_float_denorm_mode_32 3
		.amdhsa_float_denorm_mode_16_64 3
		.amdhsa_fp16_overflow 0
		.amdhsa_memory_ordered 1
		.amdhsa_forward_progress 1
		.amdhsa_inst_pref_size 2
		.amdhsa_round_robin_scheduling 0
		.amdhsa_exception_fp_ieee_invalid_op 0
		.amdhsa_exception_fp_denorm_src 0
		.amdhsa_exception_fp_ieee_div_zero 0
		.amdhsa_exception_fp_ieee_overflow 0
		.amdhsa_exception_fp_ieee_underflow 0
		.amdhsa_exception_fp_ieee_inexact 0
		.amdhsa_exception_int_div_zero 0
	.end_amdhsa_kernel
	.section	.text._ZN9rocsolver6v33100L16reset_batch_infoIdiiPdEEvT2_lT0_T1_,"axG",@progbits,_ZN9rocsolver6v33100L16reset_batch_infoIdiiPdEEvT2_lT0_T1_,comdat
.Lfunc_end39:
	.size	_ZN9rocsolver6v33100L16reset_batch_infoIdiiPdEEvT2_lT0_T1_, .Lfunc_end39-_ZN9rocsolver6v33100L16reset_batch_infoIdiiPdEEvT2_lT0_T1_
                                        ; -- End function
	.set _ZN9rocsolver6v33100L16reset_batch_infoIdiiPdEEvT2_lT0_T1_.num_vgpr, 4
	.set _ZN9rocsolver6v33100L16reset_batch_infoIdiiPdEEvT2_lT0_T1_.num_agpr, 0
	.set _ZN9rocsolver6v33100L16reset_batch_infoIdiiPdEEvT2_lT0_T1_.numbered_sgpr, 8
	.set _ZN9rocsolver6v33100L16reset_batch_infoIdiiPdEEvT2_lT0_T1_.num_named_barrier, 0
	.set _ZN9rocsolver6v33100L16reset_batch_infoIdiiPdEEvT2_lT0_T1_.private_seg_size, 0
	.set _ZN9rocsolver6v33100L16reset_batch_infoIdiiPdEEvT2_lT0_T1_.uses_vcc, 1
	.set _ZN9rocsolver6v33100L16reset_batch_infoIdiiPdEEvT2_lT0_T1_.uses_flat_scratch, 0
	.set _ZN9rocsolver6v33100L16reset_batch_infoIdiiPdEEvT2_lT0_T1_.has_dyn_sized_stack, 0
	.set _ZN9rocsolver6v33100L16reset_batch_infoIdiiPdEEvT2_lT0_T1_.has_recursion, 0
	.set _ZN9rocsolver6v33100L16reset_batch_infoIdiiPdEEvT2_lT0_T1_.has_indirect_call, 0
	.section	.AMDGPU.csdata,"",@progbits
; Kernel info:
; codeLenInByte = 192
; TotalNumSgprs: 10
; NumVgprs: 4
; ScratchSize: 0
; MemoryBound: 0
; FloatMode: 240
; IeeeMode: 1
; LDSByteSize: 0 bytes/workgroup (compile time only)
; SGPRBlocks: 0
; VGPRBlocks: 0
; NumSGPRsForWavesPerEU: 10
; NumVGPRsForWavesPerEU: 4
; NamedBarCnt: 0
; Occupancy: 16
; WaveLimiterHint : 0
; COMPUTE_PGM_RSRC2:SCRATCH_EN: 0
; COMPUTE_PGM_RSRC2:USER_SGPR: 2
; COMPUTE_PGM_RSRC2:TRAP_HANDLER: 0
; COMPUTE_PGM_RSRC2:TGID_X_EN: 1
; COMPUTE_PGM_RSRC2:TGID_Y_EN: 1
; COMPUTE_PGM_RSRC2:TGID_Z_EN: 0
; COMPUTE_PGM_RSRC2:TIDIG_COMP_CNT: 0
	.section	.text._ZN9rocsolver6v33100L8set_diagIdidPdTnNSt9enable_ifIXoont18rocblas_is_complexIT_E18rocblas_is_complexIT1_EEiE4typeELi0EEEvPS5_llT2_lT0_lSA_b,"axG",@progbits,_ZN9rocsolver6v33100L8set_diagIdidPdTnNSt9enable_ifIXoont18rocblas_is_complexIT_E18rocblas_is_complexIT1_EEiE4typeELi0EEEvPS5_llT2_lT0_lSA_b,comdat
	.globl	_ZN9rocsolver6v33100L8set_diagIdidPdTnNSt9enable_ifIXoont18rocblas_is_complexIT_E18rocblas_is_complexIT1_EEiE4typeELi0EEEvPS5_llT2_lT0_lSA_b ; -- Begin function _ZN9rocsolver6v33100L8set_diagIdidPdTnNSt9enable_ifIXoont18rocblas_is_complexIT_E18rocblas_is_complexIT1_EEiE4typeELi0EEEvPS5_llT2_lT0_lSA_b
	.p2align	8
	.type	_ZN9rocsolver6v33100L8set_diagIdidPdTnNSt9enable_ifIXoont18rocblas_is_complexIT_E18rocblas_is_complexIT1_EEiE4typeELi0EEEvPS5_llT2_lT0_lSA_b,@function
_ZN9rocsolver6v33100L8set_diagIdidPdTnNSt9enable_ifIXoont18rocblas_is_complexIT_E18rocblas_is_complexIT1_EEiE4typeELi0EEEvPS5_llT2_lT0_lSA_b: ; @_ZN9rocsolver6v33100L8set_diagIdidPdTnNSt9enable_ifIXoont18rocblas_is_complexIT_E18rocblas_is_complexIT1_EEiE4typeELi0EEEvPS5_llT2_lT0_lSA_b
; %bb.0:
	s_load_u16 s5, s[0:1], 0x4e
	s_bfe_u32 s2, ttmp6, 0x40010
	s_bfe_u32 s6, ttmp6, 0x40004
	s_add_co_i32 s4, s2, 1
	s_load_b64 s[2:3], s[0:1], 0x38
	s_mul_i32 s4, ttmp7, s4
	v_bfe_u32 v0, v0, 10, 10
	s_add_co_i32 s6, s6, s4
	s_getreg_b32 s4, hwreg(HW_REG_IB_STS2, 6, 4)
	s_delay_alu instid0(SALU_CYCLE_1) | instskip(SKIP_3) | instid1(VALU_DEP_1)
	s_cmp_eq_u32 s4, 0
	s_cselect_b32 s6, ttmp7, s6
	s_wait_kmcnt 0x0
	v_mad_u32 v0, s6, s5, v0
	v_cmp_gt_i32_e32 vcc_lo, s2, v0
	s_and_saveexec_b32 s2, vcc_lo
	s_cbranch_execz .LBB40_2
; %bb.1:
	s_clause 0x2
	s_load_b96 s[16:18], s[0:1], 0x20
	s_load_b64 s[6:7], s[0:1], 0x30
	s_load_b256 s[8:15], s[0:1], 0x0
	s_bitcmp1_b32 s3, 0
	s_cselect_b32 s19, -1, 0
	s_wait_xcnt 0x0
	s_bfe_u32 s0, ttmp6, 0x4000c
	s_and_b32 s1, ttmp6, 15
	s_add_co_i32 s0, s0, 1
	s_delay_alu instid0(SALU_CYCLE_1) | instskip(NEXT) | instid1(SALU_CYCLE_1)
	s_mul_i32 s0, ttmp9, s0
	s_add_co_i32 s1, s1, s0
	s_cmp_eq_u32 s4, 0
	s_cselect_b32 s0, ttmp9, s1
	s_delay_alu instid0(SALU_CYCLE_1)
	s_ashr_i32 s1, s0, 31
	s_wait_kmcnt 0x0
	v_mad_u32 v1, v0, s18, v0
	s_mul_u64 s[2:3], s[6:7], s[0:1]
	s_lshl_b64 s[4:5], s[16:17], 3
	s_lshl_b64 s[2:3], s[2:3], 3
	s_mul_u64 s[0:1], s[12:13], s[0:1]
	s_add_nc_u64 s[2:3], s[14:15], s[2:3]
	s_lshl_b64 s[0:1], s[0:1], 3
	s_add_nc_u64 s[2:3], s[2:3], s[4:5]
	s_lshl_b64 s[4:5], s[10:11], 3
	s_add_nc_u64 s[0:1], s[8:9], s[0:1]
	s_delay_alu instid0(SALU_CYCLE_1)
	s_add_nc_u64 s[0:1], s[0:1], s[4:5]
	global_load_b64 v[2:3], v1, s[2:3] scale_offset
	s_wait_loadcnt 0x0
	v_cndmask_b32_e64 v5, v3, 0x3ff00000, s19
	v_cndmask_b32_e64 v4, v2, 0, s19
	global_store_b64 v0, v[2:3], s[0:1] scale_offset
	global_store_b64 v1, v[4:5], s[2:3] scale_offset
.LBB40_2:
	s_endpgm
	.section	.rodata,"a",@progbits
	.p2align	6, 0x0
	.amdhsa_kernel _ZN9rocsolver6v33100L8set_diagIdidPdTnNSt9enable_ifIXoont18rocblas_is_complexIT_E18rocblas_is_complexIT1_EEiE4typeELi0EEEvPS5_llT2_lT0_lSA_b
		.amdhsa_group_segment_fixed_size 0
		.amdhsa_private_segment_fixed_size 0
		.amdhsa_kernarg_size 320
		.amdhsa_user_sgpr_count 2
		.amdhsa_user_sgpr_dispatch_ptr 0
		.amdhsa_user_sgpr_queue_ptr 0
		.amdhsa_user_sgpr_kernarg_segment_ptr 1
		.amdhsa_user_sgpr_dispatch_id 0
		.amdhsa_user_sgpr_kernarg_preload_length 0
		.amdhsa_user_sgpr_kernarg_preload_offset 0
		.amdhsa_user_sgpr_private_segment_size 0
		.amdhsa_wavefront_size32 1
		.amdhsa_uses_dynamic_stack 0
		.amdhsa_enable_private_segment 0
		.amdhsa_system_sgpr_workgroup_id_x 1
		.amdhsa_system_sgpr_workgroup_id_y 1
		.amdhsa_system_sgpr_workgroup_id_z 0
		.amdhsa_system_sgpr_workgroup_info 0
		.amdhsa_system_vgpr_workitem_id 1
		.amdhsa_next_free_vgpr 6
		.amdhsa_next_free_sgpr 20
		.amdhsa_named_barrier_count 0
		.amdhsa_reserve_vcc 1
		.amdhsa_float_round_mode_32 0
		.amdhsa_float_round_mode_16_64 0
		.amdhsa_float_denorm_mode_32 3
		.amdhsa_float_denorm_mode_16_64 3
		.amdhsa_fp16_overflow 0
		.amdhsa_memory_ordered 1
		.amdhsa_forward_progress 1
		.amdhsa_inst_pref_size 3
		.amdhsa_round_robin_scheduling 0
		.amdhsa_exception_fp_ieee_invalid_op 0
		.amdhsa_exception_fp_denorm_src 0
		.amdhsa_exception_fp_ieee_div_zero 0
		.amdhsa_exception_fp_ieee_overflow 0
		.amdhsa_exception_fp_ieee_underflow 0
		.amdhsa_exception_fp_ieee_inexact 0
		.amdhsa_exception_int_div_zero 0
	.end_amdhsa_kernel
	.section	.text._ZN9rocsolver6v33100L8set_diagIdidPdTnNSt9enable_ifIXoont18rocblas_is_complexIT_E18rocblas_is_complexIT1_EEiE4typeELi0EEEvPS5_llT2_lT0_lSA_b,"axG",@progbits,_ZN9rocsolver6v33100L8set_diagIdidPdTnNSt9enable_ifIXoont18rocblas_is_complexIT_E18rocblas_is_complexIT1_EEiE4typeELi0EEEvPS5_llT2_lT0_lSA_b,comdat
.Lfunc_end40:
	.size	_ZN9rocsolver6v33100L8set_diagIdidPdTnNSt9enable_ifIXoont18rocblas_is_complexIT_E18rocblas_is_complexIT1_EEiE4typeELi0EEEvPS5_llT2_lT0_lSA_b, .Lfunc_end40-_ZN9rocsolver6v33100L8set_diagIdidPdTnNSt9enable_ifIXoont18rocblas_is_complexIT_E18rocblas_is_complexIT1_EEiE4typeELi0EEEvPS5_llT2_lT0_lSA_b
                                        ; -- End function
	.set _ZN9rocsolver6v33100L8set_diagIdidPdTnNSt9enable_ifIXoont18rocblas_is_complexIT_E18rocblas_is_complexIT1_EEiE4typeELi0EEEvPS5_llT2_lT0_lSA_b.num_vgpr, 6
	.set _ZN9rocsolver6v33100L8set_diagIdidPdTnNSt9enable_ifIXoont18rocblas_is_complexIT_E18rocblas_is_complexIT1_EEiE4typeELi0EEEvPS5_llT2_lT0_lSA_b.num_agpr, 0
	.set _ZN9rocsolver6v33100L8set_diagIdidPdTnNSt9enable_ifIXoont18rocblas_is_complexIT_E18rocblas_is_complexIT1_EEiE4typeELi0EEEvPS5_llT2_lT0_lSA_b.numbered_sgpr, 20
	.set _ZN9rocsolver6v33100L8set_diagIdidPdTnNSt9enable_ifIXoont18rocblas_is_complexIT_E18rocblas_is_complexIT1_EEiE4typeELi0EEEvPS5_llT2_lT0_lSA_b.num_named_barrier, 0
	.set _ZN9rocsolver6v33100L8set_diagIdidPdTnNSt9enable_ifIXoont18rocblas_is_complexIT_E18rocblas_is_complexIT1_EEiE4typeELi0EEEvPS5_llT2_lT0_lSA_b.private_seg_size, 0
	.set _ZN9rocsolver6v33100L8set_diagIdidPdTnNSt9enable_ifIXoont18rocblas_is_complexIT_E18rocblas_is_complexIT1_EEiE4typeELi0EEEvPS5_llT2_lT0_lSA_b.uses_vcc, 1
	.set _ZN9rocsolver6v33100L8set_diagIdidPdTnNSt9enable_ifIXoont18rocblas_is_complexIT_E18rocblas_is_complexIT1_EEiE4typeELi0EEEvPS5_llT2_lT0_lSA_b.uses_flat_scratch, 0
	.set _ZN9rocsolver6v33100L8set_diagIdidPdTnNSt9enable_ifIXoont18rocblas_is_complexIT_E18rocblas_is_complexIT1_EEiE4typeELi0EEEvPS5_llT2_lT0_lSA_b.has_dyn_sized_stack, 0
	.set _ZN9rocsolver6v33100L8set_diagIdidPdTnNSt9enable_ifIXoont18rocblas_is_complexIT_E18rocblas_is_complexIT1_EEiE4typeELi0EEEvPS5_llT2_lT0_lSA_b.has_recursion, 0
	.set _ZN9rocsolver6v33100L8set_diagIdidPdTnNSt9enable_ifIXoont18rocblas_is_complexIT_E18rocblas_is_complexIT1_EEiE4typeELi0EEEvPS5_llT2_lT0_lSA_b.has_indirect_call, 0
	.section	.AMDGPU.csdata,"",@progbits
; Kernel info:
; codeLenInByte = 296
; TotalNumSgprs: 22
; NumVgprs: 6
; ScratchSize: 0
; MemoryBound: 0
; FloatMode: 240
; IeeeMode: 1
; LDSByteSize: 0 bytes/workgroup (compile time only)
; SGPRBlocks: 0
; VGPRBlocks: 0
; NumSGPRsForWavesPerEU: 22
; NumVGPRsForWavesPerEU: 6
; NamedBarCnt: 0
; Occupancy: 16
; WaveLimiterHint : 0
; COMPUTE_PGM_RSRC2:SCRATCH_EN: 0
; COMPUTE_PGM_RSRC2:USER_SGPR: 2
; COMPUTE_PGM_RSRC2:TRAP_HANDLER: 0
; COMPUTE_PGM_RSRC2:TGID_X_EN: 1
; COMPUTE_PGM_RSRC2:TGID_Y_EN: 1
; COMPUTE_PGM_RSRC2:TGID_Z_EN: 0
; COMPUTE_PGM_RSRC2:TIDIG_COMP_CNT: 1
	.section	.text._ZN9rocsolver6v33100L11set_taubetaIdidPdEEvPT_lS4_T2_llPT1_ll,"axG",@progbits,_ZN9rocsolver6v33100L11set_taubetaIdidPdEEvPT_lS4_T2_llPT1_ll,comdat
	.globl	_ZN9rocsolver6v33100L11set_taubetaIdidPdEEvPT_lS4_T2_llPT1_ll ; -- Begin function _ZN9rocsolver6v33100L11set_taubetaIdidPdEEvPT_lS4_T2_llPT1_ll
	.p2align	8
	.type	_ZN9rocsolver6v33100L11set_taubetaIdidPdEEvPT_lS4_T2_llPT1_ll,@function
_ZN9rocsolver6v33100L11set_taubetaIdidPdEEvPT_lS4_T2_llPT1_ll: ; @_ZN9rocsolver6v33100L11set_taubetaIdidPdEEvPT_lS4_T2_llPT1_ll
; %bb.0:
	s_load_b512 s[4:19], s[0:1], 0x0
	s_bfe_u32 s2, ttmp6, 0x4000c
	s_and_b32 s3, ttmp6, 15
	s_add_co_i32 s2, s2, 1
	s_getreg_b32 s20, hwreg(HW_REG_IB_STS2, 6, 4)
	s_mul_i32 s2, ttmp9, s2
	s_mov_b32 s22, 0
	s_add_co_i32 s3, s3, s2
	s_cmp_eq_u32 s20, 0
	s_cselect_b32 s20, ttmp9, s3
	s_mov_b64 s[2:3], 0
	s_ashr_i32 s21, s20, 31
	s_wait_kmcnt 0x0
	s_cmp_eq_u64 s[16:17], 0
	s_cbranch_scc1 .LBB41_2
; %bb.1:
	s_load_b64 s[0:1], s[0:1], 0x40
	s_lshl_b64 s[2:3], s[18:19], 3
	s_wait_kmcnt 0x0
	s_mul_u64 s[0:1], s[0:1], s[20:21]
	s_delay_alu instid0(SALU_CYCLE_1) | instskip(NEXT) | instid1(SALU_CYCLE_1)
	s_lshl_b64 s[0:1], s[0:1], 3
	s_add_nc_u64 s[0:1], s[16:17], s[0:1]
	s_delay_alu instid0(SALU_CYCLE_1)
	s_add_nc_u64 s[2:3], s[0:1], s[2:3]
.LBB41_2:
	s_lshl_b64 s[0:1], s[20:21], 3
	s_mul_u64 s[6:7], s[6:7], s[20:21]
	s_add_nc_u64 s[8:9], s[8:9], s[0:1]
	s_mul_u64 s[0:1], s[14:15], s[20:21]
	s_load_b64 s[16:17], s[8:9], 0x0
	s_lshl_b64 s[0:1], s[0:1], 3
	s_lshl_b64 s[12:13], s[12:13], 3
	;; [unrolled: 1-line block ×3, first 2 shown]
	s_cmp_eq_u64 s[2:3], 0
	s_add_nc_u64 s[0:1], s[10:11], s[0:1]
	s_cselect_b32 s6, -1, 0
	s_cmp_lg_u64 s[2:3], 0
	s_add_nc_u64 s[0:1], s[0:1], s[12:13]
	s_cselect_b32 s7, -1, 0
	s_add_nc_u64 s[4:5], s[4:5], s[14:15]
	s_wait_kmcnt 0x0
	v_cmp_ngt_f64_e64 s18, s[16:17], 0
	s_and_b32 vcc_lo, exec_lo, s18
	s_cbranch_vccz .LBB41_6
; %bb.3:
	v_mov_b64_e32 v[2:3], 1.0
	v_mov_b64_e32 v[4:5], 0
	v_mov_b32_e32 v0, 0
	s_mov_b32 s10, 0
	s_and_b32 vcc_lo, exec_lo, s7
	s_clause 0x1
	global_store_b64 v0, v[2:3], s[8:9]
	global_store_b64 v0, v[4:5], s[4:5]
	s_cbranch_vccz .LBB41_7
; %bb.4:
	global_load_b64 v[0:1], v0, s[0:1]
	s_mov_b32 s22, -1
	s_and_b32 vcc_lo, exec_lo, s10
	s_cbranch_vccnz .LBB41_8
.LBB41_5:
	s_mov_b32 s6, 0
	s_and_not1_b32 vcc_lo, exec_lo, s22
	s_cbranch_vccz .LBB41_9
	s_branch .LBB41_10
.LBB41_6:
	s_mov_b32 s10, -1
.LBB41_7:
                                        ; implicit-def: $vgpr0_vgpr1
	s_delay_alu instid0(SALU_CYCLE_1)
	s_and_b32 vcc_lo, exec_lo, s10
	s_cbranch_vccz .LBB41_5
.LBB41_8:
	v_mov_b32_e32 v12, 0
	s_mov_b32 s22, s7
	global_load_b64 v[2:3], v12, s[0:1]
	s_wait_loadcnt 0x0
	s_wait_xcnt 0x1
	v_fma_f64 v[0:1], v[2:3], v[2:3], s[16:17]
	s_delay_alu instid0(VALU_DEP_1) | instskip(SKIP_2) | instid1(SALU_CYCLE_1)
	v_cmp_gt_f64_e32 vcc_lo, 0x10000000, v[0:1]
	s_and_b32 s10, vcc_lo, exec_lo
	s_cselect_b32 s10, 0x100, 0
	v_ldexp_f64 v[0:1], v[0:1], s10
	s_cselect_b32 s10, 0xffffff80, 0
	s_delay_alu instid0(VALU_DEP_1) | instskip(SKIP_1) | instid1(TRANS32_DEP_1)
	v_rsq_f64_e32 v[4:5], v[0:1]
	v_cmp_class_f64_e64 vcc_lo, v[0:1], 0x260
	v_mul_f64_e32 v[6:7], v[0:1], v[4:5]
	v_mul_f64_e32 v[4:5], 0.5, v[4:5]
	s_delay_alu instid0(VALU_DEP_1) | instskip(NEXT) | instid1(VALU_DEP_1)
	v_fma_f64 v[8:9], -v[4:5], v[6:7], 0.5
	v_fmac_f64_e32 v[6:7], v[6:7], v[8:9]
	v_fmac_f64_e32 v[4:5], v[4:5], v[8:9]
	s_delay_alu instid0(VALU_DEP_2) | instskip(NEXT) | instid1(VALU_DEP_1)
	v_fma_f64 v[8:9], -v[6:7], v[6:7], v[0:1]
	v_fmac_f64_e32 v[6:7], v[8:9], v[4:5]
	s_delay_alu instid0(VALU_DEP_1) | instskip(NEXT) | instid1(VALU_DEP_1)
	v_fma_f64 v[8:9], -v[6:7], v[6:7], v[0:1]
	v_fmac_f64_e32 v[6:7], v[8:9], v[4:5]
	s_delay_alu instid0(VALU_DEP_1) | instskip(NEXT) | instid1(VALU_DEP_1)
	v_ldexp_f64 v[4:5], v[6:7], s10
	v_dual_cndmask_b32 v0, v4, v0 :: v_dual_cndmask_b32 v1, v5, v1
	v_cmp_le_f64_e32 vcc_lo, 0, v[2:3]
	s_delay_alu instid0(VALU_DEP_2) | instskip(NEXT) | instid1(VALU_DEP_1)
	v_xor_b32_e32 v4, 0x80000000, v1
	v_cndmask_b32_e32 v1, v1, v4, vcc_lo
	s_delay_alu instid0(VALU_DEP_1) | instskip(NEXT) | instid1(VALU_DEP_1)
	v_add_f64_e64 v[2:3], v[2:3], -v[0:1]
	v_div_scale_f64 v[4:5], null, v[2:3], v[2:3], 1.0
	v_div_scale_f64 v[10:11], vcc_lo, 1.0, v[2:3], 1.0
	s_delay_alu instid0(VALU_DEP_2) | instskip(SKIP_1) | instid1(TRANS32_DEP_1)
	v_rcp_f64_e32 v[6:7], v[4:5]
	v_nop
	v_fma_f64 v[8:9], -v[4:5], v[6:7], 1.0
	s_delay_alu instid0(VALU_DEP_1) | instskip(NEXT) | instid1(VALU_DEP_1)
	v_fmac_f64_e32 v[6:7], v[6:7], v[8:9]
	v_fma_f64 v[8:9], -v[4:5], v[6:7], 1.0
	s_delay_alu instid0(VALU_DEP_1) | instskip(NEXT) | instid1(VALU_DEP_1)
	v_fmac_f64_e32 v[6:7], v[6:7], v[8:9]
	v_mul_f64_e32 v[8:9], v[10:11], v[6:7]
	s_delay_alu instid0(VALU_DEP_1) | instskip(NEXT) | instid1(VALU_DEP_1)
	v_fma_f64 v[4:5], -v[4:5], v[8:9], v[10:11]
	v_div_fmas_f64 v[4:5], v[4:5], v[6:7], v[8:9]
	s_delay_alu instid0(VALU_DEP_1)
	v_div_fixup_f64 v[2:3], v[4:5], v[2:3], 1.0
	s_clause 0x1
	global_store_b64 v12, v[2:3], s[8:9]
	global_load_b64 v[2:3], v12, s[0:1]
	s_wait_loadcnt 0x0
	v_add_f64_e64 v[2:3], v[0:1], -v[2:3]
	s_delay_alu instid0(VALU_DEP_1) | instskip(NEXT) | instid1(VALU_DEP_1)
	v_div_scale_f64 v[4:5], null, v[0:1], v[0:1], v[2:3]
	v_rcp_f64_e32 v[6:7], v[4:5]
	v_nop
	s_delay_alu instid0(TRANS32_DEP_1) | instskip(NEXT) | instid1(VALU_DEP_1)
	v_fma_f64 v[8:9], -v[4:5], v[6:7], 1.0
	v_fmac_f64_e32 v[6:7], v[6:7], v[8:9]
	s_delay_alu instid0(VALU_DEP_1) | instskip(NEXT) | instid1(VALU_DEP_1)
	v_fma_f64 v[8:9], -v[4:5], v[6:7], 1.0
	v_fmac_f64_e32 v[6:7], v[6:7], v[8:9]
	v_div_scale_f64 v[8:9], vcc_lo, v[2:3], v[0:1], v[2:3]
	s_delay_alu instid0(VALU_DEP_1) | instskip(NEXT) | instid1(VALU_DEP_1)
	v_mul_f64_e32 v[10:11], v[8:9], v[6:7]
	v_fma_f64 v[4:5], -v[4:5], v[10:11], v[8:9]
	s_delay_alu instid0(VALU_DEP_1) | instskip(NEXT) | instid1(VALU_DEP_1)
	v_div_fmas_f64 v[4:5], v[4:5], v[6:7], v[10:11]
	v_div_fixup_f64 v[2:3], v[4:5], v[0:1], v[2:3]
	global_store_b64 v12, v[2:3], s[4:5]
	s_and_not1_b32 vcc_lo, exec_lo, s22
	s_cbranch_vccnz .LBB41_10
.LBB41_9:
	s_wait_xcnt 0x0
	v_mov_b32_e32 v2, 0
	s_mov_b32 s6, -1
	s_wait_loadcnt 0x0
	global_store_b64 v2, v[0:1], s[2:3]
	s_wait_xcnt 0x0
	v_mov_b64_e32 v[0:1], 1.0
.LBB41_10:
	s_and_not1_b32 vcc_lo, exec_lo, s6
	s_cbranch_vccz .LBB41_12
; %bb.11:
	s_endpgm
.LBB41_12:
	s_wait_xcnt 0x0
	v_mov_b32_e32 v2, 0
	s_wait_loadcnt 0x0
	global_store_b64 v2, v[0:1], s[0:1]
	s_endpgm
	.section	.rodata,"a",@progbits
	.p2align	6, 0x0
	.amdhsa_kernel _ZN9rocsolver6v33100L11set_taubetaIdidPdEEvPT_lS4_T2_llPT1_ll
		.amdhsa_group_segment_fixed_size 0
		.amdhsa_private_segment_fixed_size 0
		.amdhsa_kernarg_size 72
		.amdhsa_user_sgpr_count 2
		.amdhsa_user_sgpr_dispatch_ptr 0
		.amdhsa_user_sgpr_queue_ptr 0
		.amdhsa_user_sgpr_kernarg_segment_ptr 1
		.amdhsa_user_sgpr_dispatch_id 0
		.amdhsa_user_sgpr_kernarg_preload_length 0
		.amdhsa_user_sgpr_kernarg_preload_offset 0
		.amdhsa_user_sgpr_private_segment_size 0
		.amdhsa_wavefront_size32 1
		.amdhsa_uses_dynamic_stack 0
		.amdhsa_enable_private_segment 0
		.amdhsa_system_sgpr_workgroup_id_x 1
		.amdhsa_system_sgpr_workgroup_id_y 0
		.amdhsa_system_sgpr_workgroup_id_z 0
		.amdhsa_system_sgpr_workgroup_info 0
		.amdhsa_system_vgpr_workitem_id 0
		.amdhsa_next_free_vgpr 13
		.amdhsa_next_free_sgpr 23
		.amdhsa_named_barrier_count 0
		.amdhsa_reserve_vcc 1
		.amdhsa_float_round_mode_32 0
		.amdhsa_float_round_mode_16_64 0
		.amdhsa_float_denorm_mode_32 3
		.amdhsa_float_denorm_mode_16_64 3
		.amdhsa_fp16_overflow 0
		.amdhsa_memory_ordered 1
		.amdhsa_forward_progress 1
		.amdhsa_inst_pref_size 7
		.amdhsa_round_robin_scheduling 0
		.amdhsa_exception_fp_ieee_invalid_op 0
		.amdhsa_exception_fp_denorm_src 0
		.amdhsa_exception_fp_ieee_div_zero 0
		.amdhsa_exception_fp_ieee_overflow 0
		.amdhsa_exception_fp_ieee_underflow 0
		.amdhsa_exception_fp_ieee_inexact 0
		.amdhsa_exception_int_div_zero 0
	.end_amdhsa_kernel
	.section	.text._ZN9rocsolver6v33100L11set_taubetaIdidPdEEvPT_lS4_T2_llPT1_ll,"axG",@progbits,_ZN9rocsolver6v33100L11set_taubetaIdidPdEEvPT_lS4_T2_llPT1_ll,comdat
.Lfunc_end41:
	.size	_ZN9rocsolver6v33100L11set_taubetaIdidPdEEvPT_lS4_T2_llPT1_ll, .Lfunc_end41-_ZN9rocsolver6v33100L11set_taubetaIdidPdEEvPT_lS4_T2_llPT1_ll
                                        ; -- End function
	.set _ZN9rocsolver6v33100L11set_taubetaIdidPdEEvPT_lS4_T2_llPT1_ll.num_vgpr, 13
	.set _ZN9rocsolver6v33100L11set_taubetaIdidPdEEvPT_lS4_T2_llPT1_ll.num_agpr, 0
	.set _ZN9rocsolver6v33100L11set_taubetaIdidPdEEvPT_lS4_T2_llPT1_ll.numbered_sgpr, 23
	.set _ZN9rocsolver6v33100L11set_taubetaIdidPdEEvPT_lS4_T2_llPT1_ll.num_named_barrier, 0
	.set _ZN9rocsolver6v33100L11set_taubetaIdidPdEEvPT_lS4_T2_llPT1_ll.private_seg_size, 0
	.set _ZN9rocsolver6v33100L11set_taubetaIdidPdEEvPT_lS4_T2_llPT1_ll.uses_vcc, 1
	.set _ZN9rocsolver6v33100L11set_taubetaIdidPdEEvPT_lS4_T2_llPT1_ll.uses_flat_scratch, 0
	.set _ZN9rocsolver6v33100L11set_taubetaIdidPdEEvPT_lS4_T2_llPT1_ll.has_dyn_sized_stack, 0
	.set _ZN9rocsolver6v33100L11set_taubetaIdidPdEEvPT_lS4_T2_llPT1_ll.has_recursion, 0
	.set _ZN9rocsolver6v33100L11set_taubetaIdidPdEEvPT_lS4_T2_llPT1_ll.has_indirect_call, 0
	.section	.AMDGPU.csdata,"",@progbits
; Kernel info:
; codeLenInByte = 836
; TotalNumSgprs: 25
; NumVgprs: 13
; ScratchSize: 0
; MemoryBound: 0
; FloatMode: 240
; IeeeMode: 1
; LDSByteSize: 0 bytes/workgroup (compile time only)
; SGPRBlocks: 0
; VGPRBlocks: 0
; NumSGPRsForWavesPerEU: 25
; NumVGPRsForWavesPerEU: 13
; NamedBarCnt: 0
; Occupancy: 16
; WaveLimiterHint : 0
; COMPUTE_PGM_RSRC2:SCRATCH_EN: 0
; COMPUTE_PGM_RSRC2:USER_SGPR: 2
; COMPUTE_PGM_RSRC2:TRAP_HANDLER: 0
; COMPUTE_PGM_RSRC2:TGID_X_EN: 1
; COMPUTE_PGM_RSRC2:TGID_Y_EN: 0
; COMPUTE_PGM_RSRC2:TGID_Z_EN: 0
; COMPUTE_PGM_RSRC2:TIDIG_COMP_CNT: 0
	.section	.text._ZN9rocsolver6v33100L13conj_in_placeIdiPdTnNSt9enable_ifIXnt18rocblas_is_complexIT_EEiE4typeELi0EEEvT0_S7_T1_lS7_l,"axG",@progbits,_ZN9rocsolver6v33100L13conj_in_placeIdiPdTnNSt9enable_ifIXnt18rocblas_is_complexIT_EEiE4typeELi0EEEvT0_S7_T1_lS7_l,comdat
	.globl	_ZN9rocsolver6v33100L13conj_in_placeIdiPdTnNSt9enable_ifIXnt18rocblas_is_complexIT_EEiE4typeELi0EEEvT0_S7_T1_lS7_l ; -- Begin function _ZN9rocsolver6v33100L13conj_in_placeIdiPdTnNSt9enable_ifIXnt18rocblas_is_complexIT_EEiE4typeELi0EEEvT0_S7_T1_lS7_l
	.p2align	8
	.type	_ZN9rocsolver6v33100L13conj_in_placeIdiPdTnNSt9enable_ifIXnt18rocblas_is_complexIT_EEiE4typeELi0EEEvT0_S7_T1_lS7_l,@function
_ZN9rocsolver6v33100L13conj_in_placeIdiPdTnNSt9enable_ifIXnt18rocblas_is_complexIT_EEiE4typeELi0EEEvT0_S7_T1_lS7_l: ; @_ZN9rocsolver6v33100L13conj_in_placeIdiPdTnNSt9enable_ifIXnt18rocblas_is_complexIT_EEiE4typeELi0EEEvT0_S7_T1_lS7_l
; %bb.0:
	s_endpgm
	.section	.rodata,"a",@progbits
	.p2align	6, 0x0
	.amdhsa_kernel _ZN9rocsolver6v33100L13conj_in_placeIdiPdTnNSt9enable_ifIXnt18rocblas_is_complexIT_EEiE4typeELi0EEEvT0_S7_T1_lS7_l
		.amdhsa_group_segment_fixed_size 0
		.amdhsa_private_segment_fixed_size 0
		.amdhsa_kernarg_size 40
		.amdhsa_user_sgpr_count 2
		.amdhsa_user_sgpr_dispatch_ptr 0
		.amdhsa_user_sgpr_queue_ptr 0
		.amdhsa_user_sgpr_kernarg_segment_ptr 1
		.amdhsa_user_sgpr_dispatch_id 0
		.amdhsa_user_sgpr_kernarg_preload_length 0
		.amdhsa_user_sgpr_kernarg_preload_offset 0
		.amdhsa_user_sgpr_private_segment_size 0
		.amdhsa_wavefront_size32 1
		.amdhsa_uses_dynamic_stack 0
		.amdhsa_enable_private_segment 0
		.amdhsa_system_sgpr_workgroup_id_x 1
		.amdhsa_system_sgpr_workgroup_id_y 0
		.amdhsa_system_sgpr_workgroup_id_z 0
		.amdhsa_system_sgpr_workgroup_info 0
		.amdhsa_system_vgpr_workitem_id 0
		.amdhsa_next_free_vgpr 1
		.amdhsa_next_free_sgpr 1
		.amdhsa_named_barrier_count 0
		.amdhsa_reserve_vcc 0
		.amdhsa_float_round_mode_32 0
		.amdhsa_float_round_mode_16_64 0
		.amdhsa_float_denorm_mode_32 3
		.amdhsa_float_denorm_mode_16_64 3
		.amdhsa_fp16_overflow 0
		.amdhsa_memory_ordered 1
		.amdhsa_forward_progress 1
		.amdhsa_inst_pref_size 1
		.amdhsa_round_robin_scheduling 0
		.amdhsa_exception_fp_ieee_invalid_op 0
		.amdhsa_exception_fp_denorm_src 0
		.amdhsa_exception_fp_ieee_div_zero 0
		.amdhsa_exception_fp_ieee_overflow 0
		.amdhsa_exception_fp_ieee_underflow 0
		.amdhsa_exception_fp_ieee_inexact 0
		.amdhsa_exception_int_div_zero 0
	.end_amdhsa_kernel
	.section	.text._ZN9rocsolver6v33100L13conj_in_placeIdiPdTnNSt9enable_ifIXnt18rocblas_is_complexIT_EEiE4typeELi0EEEvT0_S7_T1_lS7_l,"axG",@progbits,_ZN9rocsolver6v33100L13conj_in_placeIdiPdTnNSt9enable_ifIXnt18rocblas_is_complexIT_EEiE4typeELi0EEEvT0_S7_T1_lS7_l,comdat
.Lfunc_end42:
	.size	_ZN9rocsolver6v33100L13conj_in_placeIdiPdTnNSt9enable_ifIXnt18rocblas_is_complexIT_EEiE4typeELi0EEEvT0_S7_T1_lS7_l, .Lfunc_end42-_ZN9rocsolver6v33100L13conj_in_placeIdiPdTnNSt9enable_ifIXnt18rocblas_is_complexIT_EEiE4typeELi0EEEvT0_S7_T1_lS7_l
                                        ; -- End function
	.set _ZN9rocsolver6v33100L13conj_in_placeIdiPdTnNSt9enable_ifIXnt18rocblas_is_complexIT_EEiE4typeELi0EEEvT0_S7_T1_lS7_l.num_vgpr, 0
	.set _ZN9rocsolver6v33100L13conj_in_placeIdiPdTnNSt9enable_ifIXnt18rocblas_is_complexIT_EEiE4typeELi0EEEvT0_S7_T1_lS7_l.num_agpr, 0
	.set _ZN9rocsolver6v33100L13conj_in_placeIdiPdTnNSt9enable_ifIXnt18rocblas_is_complexIT_EEiE4typeELi0EEEvT0_S7_T1_lS7_l.numbered_sgpr, 0
	.set _ZN9rocsolver6v33100L13conj_in_placeIdiPdTnNSt9enable_ifIXnt18rocblas_is_complexIT_EEiE4typeELi0EEEvT0_S7_T1_lS7_l.num_named_barrier, 0
	.set _ZN9rocsolver6v33100L13conj_in_placeIdiPdTnNSt9enable_ifIXnt18rocblas_is_complexIT_EEiE4typeELi0EEEvT0_S7_T1_lS7_l.private_seg_size, 0
	.set _ZN9rocsolver6v33100L13conj_in_placeIdiPdTnNSt9enable_ifIXnt18rocblas_is_complexIT_EEiE4typeELi0EEEvT0_S7_T1_lS7_l.uses_vcc, 0
	.set _ZN9rocsolver6v33100L13conj_in_placeIdiPdTnNSt9enable_ifIXnt18rocblas_is_complexIT_EEiE4typeELi0EEEvT0_S7_T1_lS7_l.uses_flat_scratch, 0
	.set _ZN9rocsolver6v33100L13conj_in_placeIdiPdTnNSt9enable_ifIXnt18rocblas_is_complexIT_EEiE4typeELi0EEEvT0_S7_T1_lS7_l.has_dyn_sized_stack, 0
	.set _ZN9rocsolver6v33100L13conj_in_placeIdiPdTnNSt9enable_ifIXnt18rocblas_is_complexIT_EEiE4typeELi0EEEvT0_S7_T1_lS7_l.has_recursion, 0
	.set _ZN9rocsolver6v33100L13conj_in_placeIdiPdTnNSt9enable_ifIXnt18rocblas_is_complexIT_EEiE4typeELi0EEEvT0_S7_T1_lS7_l.has_indirect_call, 0
	.section	.AMDGPU.csdata,"",@progbits
; Kernel info:
; codeLenInByte = 4
; TotalNumSgprs: 0
; NumVgprs: 0
; ScratchSize: 0
; MemoryBound: 0
; FloatMode: 240
; IeeeMode: 1
; LDSByteSize: 0 bytes/workgroup (compile time only)
; SGPRBlocks: 0
; VGPRBlocks: 0
; NumSGPRsForWavesPerEU: 1
; NumVGPRsForWavesPerEU: 1
; NamedBarCnt: 0
; Occupancy: 16
; WaveLimiterHint : 0
; COMPUTE_PGM_RSRC2:SCRATCH_EN: 0
; COMPUTE_PGM_RSRC2:USER_SGPR: 2
; COMPUTE_PGM_RSRC2:TRAP_HANDLER: 0
; COMPUTE_PGM_RSRC2:TGID_X_EN: 1
; COMPUTE_PGM_RSRC2:TGID_Y_EN: 0
; COMPUTE_PGM_RSRC2:TGID_Z_EN: 0
; COMPUTE_PGM_RSRC2:TIDIG_COMP_CNT: 0
	.section	.text._ZN9rocsolver6v33100L16larf_left_kernelILi1024EdiPdEEvT1_S3_T2_lS3_lPKT0_lS4_lS3_l,"axG",@progbits,_ZN9rocsolver6v33100L16larf_left_kernelILi1024EdiPdEEvT1_S3_T2_lS3_lPKT0_lS4_lS3_l,comdat
	.globl	_ZN9rocsolver6v33100L16larf_left_kernelILi1024EdiPdEEvT1_S3_T2_lS3_lPKT0_lS4_lS3_l ; -- Begin function _ZN9rocsolver6v33100L16larf_left_kernelILi1024EdiPdEEvT1_S3_T2_lS3_lPKT0_lS4_lS3_l
	.p2align	8
	.type	_ZN9rocsolver6v33100L16larf_left_kernelILi1024EdiPdEEvT1_S3_T2_lS3_lPKT0_lS4_lS3_l,@function
_ZN9rocsolver6v33100L16larf_left_kernelILi1024EdiPdEEvT1_S3_T2_lS3_lPKT0_lS4_lS3_l: ; @_ZN9rocsolver6v33100L16larf_left_kernelILi1024EdiPdEEvT1_S3_T2_lS3_lPKT0_lS4_lS3_l
; %bb.0:
	s_clause 0x3
	s_load_b96 s[12:14], s[0:1], 0x40
	s_load_b64 s[16:17], s[0:1], 0x50
	s_load_b32 s18, s[0:1], 0x0
	s_load_b256 s[4:11], s[0:1], 0x20
	s_bfe_u32 s2, ttmp6, 0x40010
	s_bfe_u32 s20, ttmp6, 0x40014
	s_and_b32 s15, ttmp7, 0xffff
	s_lshr_b32 s22, ttmp7, 16
	s_add_co_i32 s2, s2, 1
	s_add_co_i32 s20, s20, 1
	s_bfe_u32 s19, ttmp6, 0x40004
	s_bfe_u32 s21, ttmp6, 0x40008
	s_mul_i32 s2, s15, s2
	s_mul_i32 s20, s22, s20
	s_getreg_b32 s23, hwreg(HW_REG_IB_STS2, 6, 4)
	v_mov_b64_e32 v[4:5], 0
	s_add_co_i32 s19, s19, s2
	s_add_co_i32 s2, s21, s20
	s_mov_b32 s3, 0
	v_lshlrev_b32_e32 v2, 3, v0
	s_wait_kmcnt 0x0
	s_ashr_i32 s21, s14, 31
	s_cmp_eq_u32 s23, 0
	v_cmp_gt_i32_e32 vcc_lo, s18, v0
	s_mov_b32 s20, s14
	s_cselect_b32 s2, s22, s2
	s_cselect_b32 s22, s15, s19
	s_mov_b32 s23, s3
	s_mul_u64 s[14:15], s[16:17], s[2:3]
	s_mul_u64 s[16:17], s[22:23], s[20:21]
	s_and_saveexec_b32 s19, vcc_lo
	s_cbranch_execz .LBB43_6
; %bb.1:
	s_clause 0x1
	s_load_b32 s24, s[0:1], 0x18
	s_load_b128 s[20:23], s[0:1], 0x8
	v_dual_mov_b32 v1, 0 :: v_dual_mov_b32 v6, v0
	s_wait_xcnt 0x0
	s_sub_co_i32 s1, 1, s18
	s_mul_u64 s[4:5], s[4:5], s[2:3]
	s_wait_kmcnt 0x0
	s_ashr_i32 s25, s24, 31
	s_mul_i32 s1, s24, s1
	v_mul_u64_e32 v[4:5], s[24:25], v[0:1]
	v_cmp_lt_i64_e64 s0, s[24:25], 1
	v_add3_u32 v1, v2, 0, 0x100
	s_delay_alu instid0(VALU_DEP_1)
	v_mov_b32_e32 v3, v1
	s_and_b32 s0, s0, exec_lo
	s_cselect_b32 s0, s1, 0
	s_lshl_b64 s[22:23], s[22:23], 3
	s_ashr_i32 s1, s0, 31
	s_lshl_b64 s[4:5], s[4:5], 3
	s_lshl_b64 s[0:1], s[0:1], 3
	s_delay_alu instid0(SALU_CYCLE_1) | instskip(NEXT) | instid1(SALU_CYCLE_1)
	s_add_nc_u64 s[0:1], s[20:21], s[0:1]
	s_add_nc_u64 s[0:1], s[0:1], s[22:23]
	s_delay_alu instid0(SALU_CYCLE_1)
	s_add_nc_u64 s[0:1], s[0:1], s[4:5]
	s_lshl_b64 s[4:5], s[24:25], 13
	v_lshl_add_u64 v[4:5], v[4:5], 3, s[0:1]
	s_mov_b32 s1, s3
.LBB43_2:                               ; =>This Inner Loop Header: Depth=1
	global_load_b64 v[8:9], v[4:5], off
	v_add_nc_u32_e32 v6, 0x400, v6
	s_wait_xcnt 0x0
	v_add_nc_u64_e32 v[4:5], s[4:5], v[4:5]
	s_delay_alu instid0(VALU_DEP_2)
	v_cmp_le_i32_e64 s0, s18, v6
	s_or_b32 s1, s0, s1
	s_wait_loadcnt 0x0
	ds_store_b64 v3, v[8:9]
	v_add_nc_u32_e32 v3, 0x2000, v3
	s_and_not1_b32 exec_lo, exec_lo, s1
	s_cbranch_execnz .LBB43_2
; %bb.3:
	s_or_b32 exec_lo, exec_lo, s1
	s_lshl_b64 s[0:1], s[14:15], 3
	s_lshl_b64 s[4:5], s[16:17], 3
	v_dual_mov_b32 v5, 0 :: v_dual_lshlrev_b32 v4, 3, v0
	s_add_nc_u64 s[0:1], s[0:1], s[4:5]
	s_lshl_b64 s[4:5], s[12:13], 3
	v_mov_b32_e32 v3, v0
	s_add_nc_u64 s[0:1], s[0:1], s[4:5]
	s_delay_alu instid0(SALU_CYCLE_1) | instskip(NEXT) | instid1(SALU_CYCLE_1)
	s_add_nc_u64 s[0:1], s[10:11], s[0:1]
	v_add_nc_u64_e32 v[6:7], s[0:1], v[4:5]
	v_mov_b64_e32 v[4:5], 0
	s_mov_b32 s1, 0
.LBB43_4:                               ; =>This Inner Loop Header: Depth=1
	global_load_b64 v[8:9], v[6:7], off
	ds_load_b64 v[10:11], v1
	v_add_nc_u32_e32 v3, 0x400, v3
	s_wait_xcnt 0x0
	v_add_nc_u64_e32 v[6:7], 0x2000, v[6:7]
	v_add_nc_u32_e32 v1, 0x2000, v1
	s_delay_alu instid0(VALU_DEP_3)
	v_cmp_le_i32_e64 s0, s18, v3
	s_or_b32 s1, s0, s1
	s_wait_loadcnt_dscnt 0x0
	v_fmac_f64_e32 v[4:5], v[8:9], v[10:11]
	s_and_not1_b32 exec_lo, exec_lo, s1
	s_cbranch_execnz .LBB43_4
; %bb.5:
	s_or_b32 exec_lo, exec_lo, s1
.LBB43_6:
	s_delay_alu instid0(SALU_CYCLE_1) | instskip(SKIP_2) | instid1(VALU_DEP_1)
	s_or_b32 exec_lo, exec_lo, s19
	v_mbcnt_lo_u32_b32 v1, -1, 0
	s_mov_b32 s1, exec_lo
	v_cmp_ne_u32_e64 s0, 31, v1
	s_delay_alu instid0(VALU_DEP_1) | instskip(SKIP_1) | instid1(VALU_DEP_2)
	v_add_co_ci_u32_e64 v3, null, 0, v1, s0
	v_cmp_gt_u32_e64 s0, 30, v1
	v_lshlrev_b32_e32 v3, 2, v3
	ds_bpermute_b32 v6, v3, v4
	ds_bpermute_b32 v7, v3, v5
	v_cndmask_b32_e64 v3, 0, 2, s0
	v_cmp_gt_u32_e64 s0, 28, v1
	s_delay_alu instid0(VALU_DEP_2)
	v_add_lshl_u32 v3, v3, v1, 2
	s_wait_dscnt 0x0
	v_add_f64_e32 v[4:5], v[4:5], v[6:7]
	ds_bpermute_b32 v6, v3, v4
	ds_bpermute_b32 v7, v3, v5
	v_cndmask_b32_e64 v3, 0, 4, s0
	v_cmp_gt_u32_e64 s0, 24, v1
	s_delay_alu instid0(VALU_DEP_2)
	v_add_lshl_u32 v3, v3, v1, 2
	s_wait_dscnt 0x0
	v_add_f64_e32 v[4:5], v[4:5], v[6:7]
	ds_bpermute_b32 v6, v3, v4
	ds_bpermute_b32 v7, v3, v5
	v_cndmask_b32_e64 v3, 0, 8, s0
	s_delay_alu instid0(VALU_DEP_1)
	v_add_lshl_u32 v3, v3, v1, 2
	v_lshl_or_b32 v1, v1, 2, 64
	s_wait_dscnt 0x0
	v_add_f64_e32 v[4:5], v[4:5], v[6:7]
	ds_bpermute_b32 v6, v3, v4
	ds_bpermute_b32 v7, v3, v5
	s_wait_dscnt 0x0
	v_add_f64_e32 v[4:5], v[4:5], v[6:7]
	ds_bpermute_b32 v6, v1, v4
	ds_bpermute_b32 v7, v1, v5
	s_wait_dscnt 0x0
	v_dual_add_f64 v[4:5], v[4:5], v[6:7] :: v_dual_bitop2_b32 v1, 31, v0 bitop3:0x40
	s_delay_alu instid0(VALU_DEP_1)
	v_cmpx_eq_u32_e32 0, v1
; %bb.7:
	v_lshrrev_b32_e32 v1, 2, v0
	s_delay_alu instid0(VALU_DEP_1)
	v_add_nc_u32_e32 v1, 0, v1
	ds_store_b64 v1, v[4:5]
; %bb.8:
	s_or_b32 exec_lo, exec_lo, s1
	s_delay_alu instid0(SALU_CYCLE_1)
	s_mov_b32 s1, exec_lo
	s_wait_dscnt 0x0
	s_barrier_signal -1
	s_barrier_wait -1
	v_cmpx_eq_u32_e32 0, v0
	s_cbranch_execz .LBB43_10
; %bb.9:
	v_mov_b32_e32 v1, 0
	ds_load_2addr_b64 v[6:9], v1 offset0:1 offset1:2
	ds_load_2addr_b64 v[10:13], v1 offset0:3 offset1:4
	s_wait_dscnt 0x1
	v_add_f64_e32 v[4:5], v[4:5], v[6:7]
	s_delay_alu instid0(VALU_DEP_1) | instskip(SKIP_1) | instid1(VALU_DEP_1)
	v_add_f64_e32 v[4:5], v[4:5], v[8:9]
	s_wait_dscnt 0x0
	v_add_f64_e32 v[4:5], v[4:5], v[10:11]
	s_delay_alu instid0(VALU_DEP_1) | instskip(SKIP_4) | instid1(VALU_DEP_1)
	v_add_f64_e32 v[12:13], v[4:5], v[12:13]
	ds_load_2addr_b64 v[4:7], v1 offset0:5 offset1:6
	ds_load_2addr_b64 v[8:11], v1 offset0:7 offset1:8
	s_wait_dscnt 0x1
	v_add_f64_e32 v[4:5], v[12:13], v[4:5]
	v_add_f64_e32 v[4:5], v[4:5], v[6:7]
	s_wait_dscnt 0x0
	s_delay_alu instid0(VALU_DEP_1) | instskip(NEXT) | instid1(VALU_DEP_1)
	v_add_f64_e32 v[4:5], v[4:5], v[8:9]
	v_add_f64_e32 v[12:13], v[4:5], v[10:11]
	ds_load_2addr_b64 v[4:7], v1 offset0:9 offset1:10
	ds_load_2addr_b64 v[8:11], v1 offset0:11 offset1:12
	s_wait_dscnt 0x1
	v_add_f64_e32 v[4:5], v[12:13], v[4:5]
	s_delay_alu instid0(VALU_DEP_1) | instskip(SKIP_1) | instid1(VALU_DEP_1)
	v_add_f64_e32 v[4:5], v[4:5], v[6:7]
	s_wait_dscnt 0x0
	v_add_f64_e32 v[4:5], v[4:5], v[8:9]
	s_delay_alu instid0(VALU_DEP_1) | instskip(SKIP_4) | instid1(VALU_DEP_1)
	v_add_f64_e32 v[12:13], v[4:5], v[10:11]
	ds_load_2addr_b64 v[4:7], v1 offset0:13 offset1:14
	ds_load_2addr_b64 v[8:11], v1 offset0:15 offset1:16
	s_wait_dscnt 0x1
	v_add_f64_e32 v[4:5], v[12:13], v[4:5]
	v_add_f64_e32 v[4:5], v[4:5], v[6:7]
	s_wait_dscnt 0x0
	s_delay_alu instid0(VALU_DEP_1) | instskip(NEXT) | instid1(VALU_DEP_1)
	v_add_f64_e32 v[4:5], v[4:5], v[8:9]
	v_add_f64_e32 v[12:13], v[4:5], v[10:11]
	;; [unrolled: 19-line block ×3, first 2 shown]
	ds_load_2addr_b64 v[4:7], v1 offset0:25 offset1:26
	ds_load_2addr_b64 v[8:11], v1 offset0:27 offset1:28
	s_wait_dscnt 0x1
	v_add_f64_e32 v[4:5], v[12:13], v[4:5]
	s_delay_alu instid0(VALU_DEP_1) | instskip(SKIP_1) | instid1(VALU_DEP_1)
	v_add_f64_e32 v[4:5], v[4:5], v[6:7]
	s_wait_dscnt 0x0
	v_add_f64_e32 v[4:5], v[4:5], v[8:9]
	s_delay_alu instid0(VALU_DEP_1) | instskip(SKIP_4) | instid1(VALU_DEP_1)
	v_add_f64_e32 v[8:9], v[4:5], v[10:11]
	ds_load_2addr_b64 v[4:7], v1 offset0:29 offset1:30
	ds_load_b64 v[10:11], v1 offset:248
	s_wait_dscnt 0x1
	v_add_f64_e32 v[4:5], v[8:9], v[4:5]
	v_add_f64_e32 v[4:5], v[4:5], v[6:7]
	s_wait_dscnt 0x0
	s_delay_alu instid0(VALU_DEP_1)
	v_add_f64_e32 v[4:5], v[4:5], v[10:11]
	ds_store_b64 v1, v[4:5]
.LBB43_10:
	s_or_b32 exec_lo, exec_lo, s1
	s_wait_dscnt 0x0
	s_barrier_signal -1
	s_barrier_wait -1
	s_and_saveexec_b32 s0, vcc_lo
	s_cbranch_execz .LBB43_13
; %bb.11:
	s_mul_u64 s[0:1], s[8:9], s[2:3]
	v_mov_b32_e32 v3, 0
	s_lshl_b64 s[0:1], s[0:1], 3
	s_lshl_b64 s[2:3], s[16:17], 3
	s_add_nc_u64 s[0:1], s[6:7], s[0:1]
	v_add3_u32 v1, v2, 0, 0x100
	s_load_b64 s[0:1], s[0:1], 0x0
	ds_load_b64 v[4:5], v3
	s_wait_dscnt 0x0
	s_wait_kmcnt 0x0
	v_mul_f64_e64 v[4:5], v[4:5], -s[0:1]
	s_lshl_b64 s[0:1], s[14:15], 3
	s_delay_alu instid0(SALU_CYCLE_1) | instskip(SKIP_1) | instid1(SALU_CYCLE_1)
	s_add_nc_u64 s[0:1], s[0:1], s[2:3]
	s_lshl_b64 s[2:3], s[12:13], 3
	s_add_nc_u64 s[0:1], s[0:1], s[2:3]
	s_delay_alu instid0(SALU_CYCLE_1) | instskip(NEXT) | instid1(SALU_CYCLE_1)
	s_add_nc_u64 s[0:1], s[10:11], s[0:1]
	v_add_nc_u64_e32 v[6:7], s[0:1], v[2:3]
	s_mov_b32 s0, 0
.LBB43_12:                              ; =>This Inner Loop Header: Depth=1
	global_load_b64 v[2:3], v[6:7], off
	ds_load_b64 v[8:9], v1
	v_add_nc_u32_e32 v0, 0x400, v0
	v_add_nc_u32_e32 v1, 0x2000, v1
	s_delay_alu instid0(VALU_DEP_2)
	v_cmp_le_i32_e32 vcc_lo, s18, v0
	s_or_b32 s0, vcc_lo, s0
	s_wait_loadcnt_dscnt 0x0
	v_fmac_f64_e32 v[2:3], v[4:5], v[8:9]
	global_store_b64 v[6:7], v[2:3], off
	s_wait_xcnt 0x0
	v_add_nc_u64_e32 v[6:7], 0x2000, v[6:7]
	s_and_not1_b32 exec_lo, exec_lo, s0
	s_cbranch_execnz .LBB43_12
.LBB43_13:
	s_endpgm
	.section	.rodata,"a",@progbits
	.p2align	6, 0x0
	.amdhsa_kernel _ZN9rocsolver6v33100L16larf_left_kernelILi1024EdiPdEEvT1_S3_T2_lS3_lPKT0_lS4_lS3_l
		.amdhsa_group_segment_fixed_size 0
		.amdhsa_private_segment_fixed_size 0
		.amdhsa_kernarg_size 88
		.amdhsa_user_sgpr_count 2
		.amdhsa_user_sgpr_dispatch_ptr 0
		.amdhsa_user_sgpr_queue_ptr 0
		.amdhsa_user_sgpr_kernarg_segment_ptr 1
		.amdhsa_user_sgpr_dispatch_id 0
		.amdhsa_user_sgpr_kernarg_preload_length 0
		.amdhsa_user_sgpr_kernarg_preload_offset 0
		.amdhsa_user_sgpr_private_segment_size 0
		.amdhsa_wavefront_size32 1
		.amdhsa_uses_dynamic_stack 0
		.amdhsa_enable_private_segment 0
		.amdhsa_system_sgpr_workgroup_id_x 1
		.amdhsa_system_sgpr_workgroup_id_y 1
		.amdhsa_system_sgpr_workgroup_id_z 1
		.amdhsa_system_sgpr_workgroup_info 0
		.amdhsa_system_vgpr_workitem_id 0
		.amdhsa_next_free_vgpr 14
		.amdhsa_next_free_sgpr 26
		.amdhsa_named_barrier_count 0
		.amdhsa_reserve_vcc 1
		.amdhsa_float_round_mode_32 0
		.amdhsa_float_round_mode_16_64 0
		.amdhsa_float_denorm_mode_32 3
		.amdhsa_float_denorm_mode_16_64 3
		.amdhsa_fp16_overflow 0
		.amdhsa_memory_ordered 1
		.amdhsa_forward_progress 1
		.amdhsa_inst_pref_size 12
		.amdhsa_round_robin_scheduling 0
		.amdhsa_exception_fp_ieee_invalid_op 0
		.amdhsa_exception_fp_denorm_src 0
		.amdhsa_exception_fp_ieee_div_zero 0
		.amdhsa_exception_fp_ieee_overflow 0
		.amdhsa_exception_fp_ieee_underflow 0
		.amdhsa_exception_fp_ieee_inexact 0
		.amdhsa_exception_int_div_zero 0
	.end_amdhsa_kernel
	.section	.text._ZN9rocsolver6v33100L16larf_left_kernelILi1024EdiPdEEvT1_S3_T2_lS3_lPKT0_lS4_lS3_l,"axG",@progbits,_ZN9rocsolver6v33100L16larf_left_kernelILi1024EdiPdEEvT1_S3_T2_lS3_lPKT0_lS4_lS3_l,comdat
.Lfunc_end43:
	.size	_ZN9rocsolver6v33100L16larf_left_kernelILi1024EdiPdEEvT1_S3_T2_lS3_lPKT0_lS4_lS3_l, .Lfunc_end43-_ZN9rocsolver6v33100L16larf_left_kernelILi1024EdiPdEEvT1_S3_T2_lS3_lPKT0_lS4_lS3_l
                                        ; -- End function
	.set _ZN9rocsolver6v33100L16larf_left_kernelILi1024EdiPdEEvT1_S3_T2_lS3_lPKT0_lS4_lS3_l.num_vgpr, 14
	.set _ZN9rocsolver6v33100L16larf_left_kernelILi1024EdiPdEEvT1_S3_T2_lS3_lPKT0_lS4_lS3_l.num_agpr, 0
	.set _ZN9rocsolver6v33100L16larf_left_kernelILi1024EdiPdEEvT1_S3_T2_lS3_lPKT0_lS4_lS3_l.numbered_sgpr, 26
	.set _ZN9rocsolver6v33100L16larf_left_kernelILi1024EdiPdEEvT1_S3_T2_lS3_lPKT0_lS4_lS3_l.num_named_barrier, 0
	.set _ZN9rocsolver6v33100L16larf_left_kernelILi1024EdiPdEEvT1_S3_T2_lS3_lPKT0_lS4_lS3_l.private_seg_size, 0
	.set _ZN9rocsolver6v33100L16larf_left_kernelILi1024EdiPdEEvT1_S3_T2_lS3_lPKT0_lS4_lS3_l.uses_vcc, 1
	.set _ZN9rocsolver6v33100L16larf_left_kernelILi1024EdiPdEEvT1_S3_T2_lS3_lPKT0_lS4_lS3_l.uses_flat_scratch, 0
	.set _ZN9rocsolver6v33100L16larf_left_kernelILi1024EdiPdEEvT1_S3_T2_lS3_lPKT0_lS4_lS3_l.has_dyn_sized_stack, 0
	.set _ZN9rocsolver6v33100L16larf_left_kernelILi1024EdiPdEEvT1_S3_T2_lS3_lPKT0_lS4_lS3_l.has_recursion, 0
	.set _ZN9rocsolver6v33100L16larf_left_kernelILi1024EdiPdEEvT1_S3_T2_lS3_lPKT0_lS4_lS3_l.has_indirect_call, 0
	.section	.AMDGPU.csdata,"",@progbits
; Kernel info:
; codeLenInByte = 1440
; TotalNumSgprs: 28
; NumVgprs: 14
; ScratchSize: 0
; MemoryBound: 0
; FloatMode: 240
; IeeeMode: 1
; LDSByteSize: 0 bytes/workgroup (compile time only)
; SGPRBlocks: 0
; VGPRBlocks: 0
; NumSGPRsForWavesPerEU: 28
; NumVGPRsForWavesPerEU: 14
; NamedBarCnt: 0
; Occupancy: 16
; WaveLimiterHint : 0
; COMPUTE_PGM_RSRC2:SCRATCH_EN: 0
; COMPUTE_PGM_RSRC2:USER_SGPR: 2
; COMPUTE_PGM_RSRC2:TRAP_HANDLER: 0
; COMPUTE_PGM_RSRC2:TGID_X_EN: 1
; COMPUTE_PGM_RSRC2:TGID_Y_EN: 1
; COMPUTE_PGM_RSRC2:TGID_Z_EN: 1
; COMPUTE_PGM_RSRC2:TIDIG_COMP_CNT: 0
	.section	.text._ZN9rocsolver6v33100L17larf_right_kernelILi1024EdiPdEEvT1_S3_T2_lS3_lPKT0_lS4_lS3_l,"axG",@progbits,_ZN9rocsolver6v33100L17larf_right_kernelILi1024EdiPdEEvT1_S3_T2_lS3_lPKT0_lS4_lS3_l,comdat
	.globl	_ZN9rocsolver6v33100L17larf_right_kernelILi1024EdiPdEEvT1_S3_T2_lS3_lPKT0_lS4_lS3_l ; -- Begin function _ZN9rocsolver6v33100L17larf_right_kernelILi1024EdiPdEEvT1_S3_T2_lS3_lPKT0_lS4_lS3_l
	.p2align	8
	.type	_ZN9rocsolver6v33100L17larf_right_kernelILi1024EdiPdEEvT1_S3_T2_lS3_lPKT0_lS4_lS3_l,@function
_ZN9rocsolver6v33100L17larf_right_kernelILi1024EdiPdEEvT1_S3_T2_lS3_lPKT0_lS4_lS3_l: ; @_ZN9rocsolver6v33100L17larf_right_kernelILi1024EdiPdEEvT1_S3_T2_lS3_lPKT0_lS4_lS3_l
; %bb.0:
	s_clause 0x3
	s_load_b32 s15, s[0:1], 0x4
	s_load_b96 s[12:14], s[0:1], 0x40
	s_load_b64 s[16:17], s[0:1], 0x50
	s_load_b256 s[4:11], s[0:1], 0x20
	s_bfe_u32 s2, ttmp6, 0x40010
	s_bfe_u32 s21, ttmp6, 0x40014
	s_and_b32 s18, ttmp7, 0xffff
	s_lshr_b32 s20, ttmp7, 16
	s_add_co_i32 s2, s2, 1
	s_add_co_i32 s21, s21, 1
	s_bfe_u32 s19, ttmp6, 0x40004
	s_bfe_u32 s22, ttmp6, 0x40008
	s_mul_i32 s2, s18, s2
	s_mul_i32 s21, s20, s21
	s_getreg_b32 s23, hwreg(HW_REG_IB_STS2, 6, 4)
	v_mov_b64_e32 v[2:3], 0
	s_add_co_i32 s19, s19, s2
	s_add_co_i32 s22, s22, s21
	s_cmp_eq_u32 s23, 0
	v_lshlrev_b32_e32 v6, 3, v0
	s_mov_b32 s3, 0
	s_wait_kmcnt 0x0
	v_cmp_gt_i32_e32 vcc_lo, s15, v0
	s_cselect_b32 s2, s20, s22
	s_cselect_b32 s18, s18, s19
	s_mul_u64 s[16:17], s[16:17], s[2:3]
	s_and_saveexec_b32 s19, vcc_lo
	s_cbranch_execz .LBB44_6
; %bb.1:
	s_clause 0x1
	s_load_b32 s24, s[0:1], 0x18
	s_load_b128 s[20:23], s[0:1], 0x8
	v_add3_u32 v7, v6, 0, 0x100
	v_mov_b32_e32 v1, 0
	s_wait_xcnt 0x0
	s_sub_co_i32 s1, 1, s15
	s_mul_u64 s[4:5], s[4:5], s[2:3]
	v_dual_mov_b32 v5, v0 :: v_dual_mov_b32 v4, v7
	s_wait_kmcnt 0x0
	s_ashr_i32 s25, s24, 31
	s_mul_i32 s1, s24, s1
	v_mul_u64_e32 v[2:3], s[24:25], v[0:1]
	v_cmp_lt_i64_e64 s0, s[24:25], 1
	s_and_b32 s0, s0, exec_lo
	s_cselect_b32 s0, s1, 0
	s_lshl_b64 s[22:23], s[22:23], 3
	s_ashr_i32 s1, s0, 31
	s_lshl_b64 s[4:5], s[4:5], 3
	s_lshl_b64 s[0:1], s[0:1], 3
	s_delay_alu instid0(SALU_CYCLE_1) | instskip(NEXT) | instid1(SALU_CYCLE_1)
	s_add_nc_u64 s[0:1], s[20:21], s[0:1]
	s_add_nc_u64 s[0:1], s[0:1], s[22:23]
	s_delay_alu instid0(SALU_CYCLE_1)
	s_add_nc_u64 s[0:1], s[0:1], s[4:5]
	s_lshl_b64 s[4:5], s[24:25], 13
	v_lshl_add_u64 v[2:3], v[2:3], 3, s[0:1]
	s_mov_b32 s1, s3
.LBB44_2:                               ; =>This Inner Loop Header: Depth=1
	global_load_b64 v[8:9], v[2:3], off
	v_add_nc_u32_e32 v5, 0x400, v5
	s_wait_xcnt 0x0
	v_add_nc_u64_e32 v[2:3], s[4:5], v[2:3]
	s_delay_alu instid0(VALU_DEP_2)
	v_cmp_le_i32_e64 s0, s15, v5
	s_or_b32 s1, s0, s1
	s_wait_loadcnt 0x0
	ds_store_b64 v4, v[8:9]
	v_add_nc_u32_e32 v4, 0x2000, v4
	s_and_not1_b32 exec_lo, exec_lo, s1
	s_cbranch_execnz .LBB44_2
; %bb.3:
	s_or_b32 exec_lo, exec_lo, s1
	s_ashr_i32 s5, s14, 31
	s_mov_b32 s4, s14
	s_lshl_b32 s0, s18, 3
	v_mul_u64_e32 v[4:5], s[4:5], v[0:1]
	s_mov_b32 s1, 0
	s_lshl_b64 s[20:21], s[12:13], 3
	s_add_nc_u64 s[22:23], s[10:11], s[0:1]
	s_lshl_b64 s[24:25], s[16:17], 3
	s_add_nc_u64 s[20:21], s[22:23], s[20:21]
	v_mov_b64_e32 v[2:3], 0
	s_add_nc_u64 s[20:21], s[20:21], s[24:25]
	v_mov_b32_e32 v1, v0
	s_lshl_b64 s[4:5], s[4:5], 13
	s_delay_alu instid0(VALU_DEP_3)
	v_lshl_add_u64 v[4:5], v[4:5], 3, s[20:21]
.LBB44_4:                               ; =>This Inner Loop Header: Depth=1
	global_load_b64 v[8:9], v[4:5], off
	ds_load_b64 v[10:11], v7
	v_add_nc_u32_e32 v1, 0x400, v1
	s_wait_xcnt 0x0
	v_add_nc_u64_e32 v[4:5], s[4:5], v[4:5]
	v_add_nc_u32_e32 v7, 0x2000, v7
	s_delay_alu instid0(VALU_DEP_3)
	v_cmp_le_i32_e64 s0, s15, v1
	s_or_b32 s1, s0, s1
	s_wait_loadcnt_dscnt 0x0
	v_fmac_f64_e32 v[2:3], v[8:9], v[10:11]
	s_and_not1_b32 exec_lo, exec_lo, s1
	s_cbranch_execnz .LBB44_4
; %bb.5:
	s_or_b32 exec_lo, exec_lo, s1
.LBB44_6:
	s_delay_alu instid0(SALU_CYCLE_1) | instskip(SKIP_2) | instid1(VALU_DEP_1)
	s_or_b32 exec_lo, exec_lo, s19
	v_mbcnt_lo_u32_b32 v1, -1, 0
	s_mov_b32 s1, exec_lo
	v_cmp_ne_u32_e64 s0, 31, v1
	s_delay_alu instid0(VALU_DEP_1) | instskip(SKIP_1) | instid1(VALU_DEP_2)
	v_add_co_ci_u32_e64 v4, null, 0, v1, s0
	v_cmp_gt_u32_e64 s0, 30, v1
	v_lshlrev_b32_e32 v5, 2, v4
	ds_bpermute_b32 v4, v5, v2
	ds_bpermute_b32 v5, v5, v3
	s_wait_dscnt 0x0
	v_add_f64_e32 v[2:3], v[2:3], v[4:5]
	v_cndmask_b32_e64 v4, 0, 2, s0
	v_cmp_gt_u32_e64 s0, 28, v1
	s_delay_alu instid0(VALU_DEP_2)
	v_add_lshl_u32 v5, v4, v1, 2
	ds_bpermute_b32 v4, v5, v2
	ds_bpermute_b32 v5, v5, v3
	s_wait_dscnt 0x0
	v_add_f64_e32 v[2:3], v[2:3], v[4:5]
	v_cndmask_b32_e64 v4, 0, 4, s0
	v_cmp_gt_u32_e64 s0, 24, v1
	s_delay_alu instid0(VALU_DEP_2)
	v_add_lshl_u32 v5, v4, v1, 2
	ds_bpermute_b32 v4, v5, v2
	ds_bpermute_b32 v5, v5, v3
	s_wait_dscnt 0x0
	v_add_f64_e32 v[2:3], v[2:3], v[4:5]
	v_cndmask_b32_e64 v4, 0, 8, s0
	s_delay_alu instid0(VALU_DEP_1)
	v_add_lshl_u32 v5, v4, v1, 2
	v_lshl_or_b32 v1, v1, 2, 64
	ds_bpermute_b32 v4, v5, v2
	ds_bpermute_b32 v5, v5, v3
	s_wait_dscnt 0x0
	v_add_f64_e32 v[2:3], v[2:3], v[4:5]
	ds_bpermute_b32 v4, v1, v2
	ds_bpermute_b32 v5, v1, v3
	v_and_b32_e32 v1, 31, v0
	s_wait_dscnt 0x0
	v_add_f64_e32 v[2:3], v[2:3], v[4:5]
	s_delay_alu instid0(VALU_DEP_2)
	v_cmpx_eq_u32_e32 0, v1
; %bb.7:
	v_lshrrev_b32_e32 v1, 2, v0
	s_delay_alu instid0(VALU_DEP_1)
	v_add_nc_u32_e32 v1, 0, v1
	ds_store_b64 v1, v[2:3]
; %bb.8:
	s_or_b32 exec_lo, exec_lo, s1
	s_delay_alu instid0(SALU_CYCLE_1)
	s_mov_b32 s1, exec_lo
	s_wait_dscnt 0x0
	s_barrier_signal -1
	s_barrier_wait -1
	v_cmpx_eq_u32_e32 0, v0
	s_cbranch_execz .LBB44_10
; %bb.9:
	v_mov_b32_e32 v1, 0
	ds_load_2addr_b64 v[8:11], v1 offset0:1 offset1:2
	ds_load_2addr_b64 v[12:15], v1 offset0:3 offset1:4
	s_wait_dscnt 0x1
	v_add_f64_e32 v[2:3], v[2:3], v[8:9]
	s_delay_alu instid0(VALU_DEP_1) | instskip(SKIP_1) | instid1(VALU_DEP_1)
	v_add_f64_e32 v[2:3], v[2:3], v[10:11]
	s_wait_dscnt 0x0
	v_add_f64_e32 v[2:3], v[2:3], v[12:13]
	s_delay_alu instid0(VALU_DEP_1) | instskip(SKIP_4) | instid1(VALU_DEP_1)
	v_add_f64_e32 v[12:13], v[2:3], v[14:15]
	ds_load_2addr_b64 v[2:5], v1 offset0:5 offset1:6
	ds_load_2addr_b64 v[8:11], v1 offset0:7 offset1:8
	s_wait_dscnt 0x1
	v_add_f64_e32 v[2:3], v[12:13], v[2:3]
	v_add_f64_e32 v[2:3], v[2:3], v[4:5]
	s_wait_dscnt 0x0
	s_delay_alu instid0(VALU_DEP_1) | instskip(NEXT) | instid1(VALU_DEP_1)
	v_add_f64_e32 v[2:3], v[2:3], v[8:9]
	v_add_f64_e32 v[12:13], v[2:3], v[10:11]
	ds_load_2addr_b64 v[2:5], v1 offset0:9 offset1:10
	ds_load_2addr_b64 v[8:11], v1 offset0:11 offset1:12
	s_wait_dscnt 0x1
	v_add_f64_e32 v[2:3], v[12:13], v[2:3]
	s_delay_alu instid0(VALU_DEP_1) | instskip(SKIP_1) | instid1(VALU_DEP_1)
	v_add_f64_e32 v[2:3], v[2:3], v[4:5]
	s_wait_dscnt 0x0
	v_add_f64_e32 v[2:3], v[2:3], v[8:9]
	s_delay_alu instid0(VALU_DEP_1) | instskip(SKIP_4) | instid1(VALU_DEP_1)
	v_add_f64_e32 v[12:13], v[2:3], v[10:11]
	ds_load_2addr_b64 v[2:5], v1 offset0:13 offset1:14
	ds_load_2addr_b64 v[8:11], v1 offset0:15 offset1:16
	s_wait_dscnt 0x1
	v_add_f64_e32 v[2:3], v[12:13], v[2:3]
	v_add_f64_e32 v[2:3], v[2:3], v[4:5]
	s_wait_dscnt 0x0
	s_delay_alu instid0(VALU_DEP_1) | instskip(NEXT) | instid1(VALU_DEP_1)
	v_add_f64_e32 v[2:3], v[2:3], v[8:9]
	v_add_f64_e32 v[12:13], v[2:3], v[10:11]
	;; [unrolled: 19-line block ×3, first 2 shown]
	ds_load_2addr_b64 v[2:5], v1 offset0:25 offset1:26
	ds_load_2addr_b64 v[8:11], v1 offset0:27 offset1:28
	s_wait_dscnt 0x1
	v_add_f64_e32 v[2:3], v[12:13], v[2:3]
	s_delay_alu instid0(VALU_DEP_1) | instskip(SKIP_1) | instid1(VALU_DEP_1)
	v_add_f64_e32 v[2:3], v[2:3], v[4:5]
	s_wait_dscnt 0x0
	v_add_f64_e32 v[2:3], v[2:3], v[8:9]
	s_delay_alu instid0(VALU_DEP_1) | instskip(SKIP_4) | instid1(VALU_DEP_1)
	v_add_f64_e32 v[8:9], v[2:3], v[10:11]
	ds_load_2addr_b64 v[2:5], v1 offset0:29 offset1:30
	ds_load_b64 v[10:11], v1 offset:248
	s_wait_dscnt 0x1
	v_add_f64_e32 v[2:3], v[8:9], v[2:3]
	v_add_f64_e32 v[2:3], v[2:3], v[4:5]
	s_wait_dscnt 0x0
	s_delay_alu instid0(VALU_DEP_1)
	v_add_f64_e32 v[2:3], v[2:3], v[10:11]
	ds_store_b64 v1, v[2:3]
.LBB44_10:
	s_or_b32 exec_lo, exec_lo, s1
	s_wait_dscnt 0x0
	s_barrier_signal -1
	s_barrier_wait -1
	s_and_saveexec_b32 s0, vcc_lo
	s_cbranch_execz .LBB44_13
; %bb.11:
	s_mul_u64 s[0:1], s[8:9], s[2:3]
	v_mov_b32_e32 v1, 0
	s_lshl_b64 s[0:1], s[0:1], 3
	s_ashr_i32 s3, s14, 31
	s_add_nc_u64 s[0:1], s[6:7], s[0:1]
	s_mov_b32 s2, s14
	s_load_b64 s[0:1], s[0:1], 0x0
	ds_load_b64 v[2:3], v1
	v_mul_u64_e32 v[4:5], s[2:3], v[0:1]
	s_lshl_b64 s[4:5], s[12:13], 3
	s_lshl_b64 s[8:9], s[16:17], 3
	v_add3_u32 v1, v6, 0, 0x100
	s_lshl_b64 s[2:3], s[2:3], 13
	s_wait_dscnt 0x0
	s_wait_kmcnt 0x0
	v_mul_f64_e64 v[2:3], v[2:3], -s[0:1]
	s_mov_b32 s1, 0
	s_lshl_b32 s0, s18, 3
	s_delay_alu instid0(SALU_CYCLE_1) | instskip(NEXT) | instid1(SALU_CYCLE_1)
	s_add_nc_u64 s[6:7], s[10:11], s[0:1]
	s_add_nc_u64 s[4:5], s[6:7], s[4:5]
	s_delay_alu instid0(SALU_CYCLE_1)
	s_add_nc_u64 s[4:5], s[4:5], s[8:9]
	s_delay_alu instid0(VALU_DEP_3) | instid1(SALU_CYCLE_1)
	v_lshl_add_u64 v[4:5], v[4:5], 3, s[4:5]
.LBB44_12:                              ; =>This Inner Loop Header: Depth=1
	global_load_b64 v[6:7], v[4:5], off
	ds_load_b64 v[8:9], v1
	v_add_nc_u32_e32 v0, 0x400, v0
	v_add_nc_u32_e32 v1, 0x2000, v1
	s_delay_alu instid0(VALU_DEP_2)
	v_cmp_le_i32_e32 vcc_lo, s15, v0
	s_or_b32 s1, vcc_lo, s1
	s_wait_loadcnt_dscnt 0x0
	v_fmac_f64_e32 v[6:7], v[2:3], v[8:9]
	global_store_b64 v[4:5], v[6:7], off
	s_wait_xcnt 0x0
	v_add_nc_u64_e32 v[4:5], s[2:3], v[4:5]
	s_and_not1_b32 exec_lo, exec_lo, s1
	s_cbranch_execnz .LBB44_12
.LBB44_13:
	s_endpgm
	.section	.rodata,"a",@progbits
	.p2align	6, 0x0
	.amdhsa_kernel _ZN9rocsolver6v33100L17larf_right_kernelILi1024EdiPdEEvT1_S3_T2_lS3_lPKT0_lS4_lS3_l
		.amdhsa_group_segment_fixed_size 0
		.amdhsa_private_segment_fixed_size 0
		.amdhsa_kernarg_size 88
		.amdhsa_user_sgpr_count 2
		.amdhsa_user_sgpr_dispatch_ptr 0
		.amdhsa_user_sgpr_queue_ptr 0
		.amdhsa_user_sgpr_kernarg_segment_ptr 1
		.amdhsa_user_sgpr_dispatch_id 0
		.amdhsa_user_sgpr_kernarg_preload_length 0
		.amdhsa_user_sgpr_kernarg_preload_offset 0
		.amdhsa_user_sgpr_private_segment_size 0
		.amdhsa_wavefront_size32 1
		.amdhsa_uses_dynamic_stack 0
		.amdhsa_enable_private_segment 0
		.amdhsa_system_sgpr_workgroup_id_x 1
		.amdhsa_system_sgpr_workgroup_id_y 1
		.amdhsa_system_sgpr_workgroup_id_z 1
		.amdhsa_system_sgpr_workgroup_info 0
		.amdhsa_system_vgpr_workitem_id 0
		.amdhsa_next_free_vgpr 16
		.amdhsa_next_free_sgpr 26
		.amdhsa_named_barrier_count 0
		.amdhsa_reserve_vcc 1
		.amdhsa_float_round_mode_32 0
		.amdhsa_float_round_mode_16_64 0
		.amdhsa_float_denorm_mode_32 3
		.amdhsa_float_denorm_mode_16_64 3
		.amdhsa_fp16_overflow 0
		.amdhsa_memory_ordered 1
		.amdhsa_forward_progress 1
		.amdhsa_inst_pref_size 12
		.amdhsa_round_robin_scheduling 0
		.amdhsa_exception_fp_ieee_invalid_op 0
		.amdhsa_exception_fp_denorm_src 0
		.amdhsa_exception_fp_ieee_div_zero 0
		.amdhsa_exception_fp_ieee_overflow 0
		.amdhsa_exception_fp_ieee_underflow 0
		.amdhsa_exception_fp_ieee_inexact 0
		.amdhsa_exception_int_div_zero 0
	.end_amdhsa_kernel
	.section	.text._ZN9rocsolver6v33100L17larf_right_kernelILi1024EdiPdEEvT1_S3_T2_lS3_lPKT0_lS4_lS3_l,"axG",@progbits,_ZN9rocsolver6v33100L17larf_right_kernelILi1024EdiPdEEvT1_S3_T2_lS3_lPKT0_lS4_lS3_l,comdat
.Lfunc_end44:
	.size	_ZN9rocsolver6v33100L17larf_right_kernelILi1024EdiPdEEvT1_S3_T2_lS3_lPKT0_lS4_lS3_l, .Lfunc_end44-_ZN9rocsolver6v33100L17larf_right_kernelILi1024EdiPdEEvT1_S3_T2_lS3_lPKT0_lS4_lS3_l
                                        ; -- End function
	.set _ZN9rocsolver6v33100L17larf_right_kernelILi1024EdiPdEEvT1_S3_T2_lS3_lPKT0_lS4_lS3_l.num_vgpr, 16
	.set _ZN9rocsolver6v33100L17larf_right_kernelILi1024EdiPdEEvT1_S3_T2_lS3_lPKT0_lS4_lS3_l.num_agpr, 0
	.set _ZN9rocsolver6v33100L17larf_right_kernelILi1024EdiPdEEvT1_S3_T2_lS3_lPKT0_lS4_lS3_l.numbered_sgpr, 26
	.set _ZN9rocsolver6v33100L17larf_right_kernelILi1024EdiPdEEvT1_S3_T2_lS3_lPKT0_lS4_lS3_l.num_named_barrier, 0
	.set _ZN9rocsolver6v33100L17larf_right_kernelILi1024EdiPdEEvT1_S3_T2_lS3_lPKT0_lS4_lS3_l.private_seg_size, 0
	.set _ZN9rocsolver6v33100L17larf_right_kernelILi1024EdiPdEEvT1_S3_T2_lS3_lPKT0_lS4_lS3_l.uses_vcc, 1
	.set _ZN9rocsolver6v33100L17larf_right_kernelILi1024EdiPdEEvT1_S3_T2_lS3_lPKT0_lS4_lS3_l.uses_flat_scratch, 0
	.set _ZN9rocsolver6v33100L17larf_right_kernelILi1024EdiPdEEvT1_S3_T2_lS3_lPKT0_lS4_lS3_l.has_dyn_sized_stack, 0
	.set _ZN9rocsolver6v33100L17larf_right_kernelILi1024EdiPdEEvT1_S3_T2_lS3_lPKT0_lS4_lS3_l.has_recursion, 0
	.set _ZN9rocsolver6v33100L17larf_right_kernelILi1024EdiPdEEvT1_S3_T2_lS3_lPKT0_lS4_lS3_l.has_indirect_call, 0
	.section	.AMDGPU.csdata,"",@progbits
; Kernel info:
; codeLenInByte = 1444
; TotalNumSgprs: 28
; NumVgprs: 16
; ScratchSize: 0
; MemoryBound: 0
; FloatMode: 240
; IeeeMode: 1
; LDSByteSize: 0 bytes/workgroup (compile time only)
; SGPRBlocks: 0
; VGPRBlocks: 0
; NumSGPRsForWavesPerEU: 28
; NumVGPRsForWavesPerEU: 16
; NamedBarCnt: 0
; Occupancy: 16
; WaveLimiterHint : 0
; COMPUTE_PGM_RSRC2:SCRATCH_EN: 0
; COMPUTE_PGM_RSRC2:USER_SGPR: 2
; COMPUTE_PGM_RSRC2:TRAP_HANDLER: 0
; COMPUTE_PGM_RSRC2:TGID_X_EN: 1
; COMPUTE_PGM_RSRC2:TGID_Y_EN: 1
; COMPUTE_PGM_RSRC2:TGID_Z_EN: 1
; COMPUTE_PGM_RSRC2:TIDIG_COMP_CNT: 0
	.section	.text._ZN9rocsolver6v33100L12restore_diagIdidPdEEvPT1_llT2_lT0_lS6_,"axG",@progbits,_ZN9rocsolver6v33100L12restore_diagIdidPdEEvPT1_llT2_lT0_lS6_,comdat
	.globl	_ZN9rocsolver6v33100L12restore_diagIdidPdEEvPT1_llT2_lT0_lS6_ ; -- Begin function _ZN9rocsolver6v33100L12restore_diagIdidPdEEvPT1_llT2_lT0_lS6_
	.p2align	8
	.type	_ZN9rocsolver6v33100L12restore_diagIdidPdEEvPT1_llT2_lT0_lS6_,@function
_ZN9rocsolver6v33100L12restore_diagIdidPdEEvPT1_llT2_lT0_lS6_: ; @_ZN9rocsolver6v33100L12restore_diagIdidPdEEvPT1_llT2_lT0_lS6_
; %bb.0:
	s_clause 0x1
	s_load_u16 s3, s[0:1], 0x4e
	s_load_b32 s4, s[0:1], 0x38
	s_bfe_u32 s2, ttmp6, 0x40010
	s_bfe_u32 s5, ttmp6, 0x40004
	s_add_co_i32 s2, s2, 1
	v_bfe_u32 v0, v0, 10, 10
	s_mul_i32 s2, ttmp7, s2
	s_delay_alu instid0(SALU_CYCLE_1) | instskip(SKIP_1) | instid1(SALU_CYCLE_1)
	s_add_co_i32 s5, s5, s2
	s_getreg_b32 s2, hwreg(HW_REG_IB_STS2, 6, 4)
	s_cmp_eq_u32 s2, 0
	s_cselect_b32 s5, ttmp7, s5
	s_wait_kmcnt 0x0
	v_mad_u32 v0, s5, s3, v0
	s_mov_b32 s3, exec_lo
	s_delay_alu instid0(VALU_DEP_1)
	v_cmpx_gt_i32_e64 s4, v0
	s_cbranch_execz .LBB45_2
; %bb.1:
	s_load_b256 s[4:11], s[0:1], 0x0
	s_bfe_u32 s3, ttmp6, 0x4000c
	s_and_b32 s12, ttmp6, 15
	s_add_co_i32 s3, s3, 1
	s_delay_alu instid0(SALU_CYCLE_1) | instskip(NEXT) | instid1(SALU_CYCLE_1)
	s_mul_i32 s3, ttmp9, s3
	s_add_co_i32 s12, s12, s3
	s_cmp_eq_u32 s2, 0
	s_cselect_b32 s2, ttmp9, s12
	s_delay_alu instid0(SALU_CYCLE_1) | instskip(SKIP_4) | instid1(SALU_CYCLE_1)
	s_ashr_i32 s3, s2, 31
	s_wait_kmcnt 0x0
	s_mul_u64 s[8:9], s[8:9], s[2:3]
	s_lshl_b64 s[6:7], s[6:7], 3
	s_lshl_b64 s[8:9], s[8:9], 3
	s_add_nc_u64 s[4:5], s[4:5], s[8:9]
	s_delay_alu instid0(SALU_CYCLE_1)
	s_add_nc_u64 s[4:5], s[4:5], s[6:7]
	global_load_b64 v[2:3], v0, s[4:5] scale_offset
	s_wait_xcnt 0x0
	s_clause 0x1
	s_load_b96 s[4:6], s[0:1], 0x20
	s_load_b64 s[8:9], s[0:1], 0x30
	s_wait_kmcnt 0x0
	v_mad_u32 v0, v0, s6, v0
	s_mul_u64 s[0:1], s[8:9], s[2:3]
	s_lshl_b64 s[2:3], s[4:5], 3
	s_lshl_b64 s[0:1], s[0:1], 3
	s_delay_alu instid0(SALU_CYCLE_1) | instskip(NEXT) | instid1(SALU_CYCLE_1)
	s_add_nc_u64 s[0:1], s[10:11], s[0:1]
	s_add_nc_u64 s[0:1], s[0:1], s[2:3]
	s_wait_loadcnt 0x0
	global_store_b64 v0, v[2:3], s[0:1] scale_offset
.LBB45_2:
	s_endpgm
	.section	.rodata,"a",@progbits
	.p2align	6, 0x0
	.amdhsa_kernel _ZN9rocsolver6v33100L12restore_diagIdidPdEEvPT1_llT2_lT0_lS6_
		.amdhsa_group_segment_fixed_size 0
		.amdhsa_private_segment_fixed_size 0
		.amdhsa_kernarg_size 320
		.amdhsa_user_sgpr_count 2
		.amdhsa_user_sgpr_dispatch_ptr 0
		.amdhsa_user_sgpr_queue_ptr 0
		.amdhsa_user_sgpr_kernarg_segment_ptr 1
		.amdhsa_user_sgpr_dispatch_id 0
		.amdhsa_user_sgpr_kernarg_preload_length 0
		.amdhsa_user_sgpr_kernarg_preload_offset 0
		.amdhsa_user_sgpr_private_segment_size 0
		.amdhsa_wavefront_size32 1
		.amdhsa_uses_dynamic_stack 0
		.amdhsa_enable_private_segment 0
		.amdhsa_system_sgpr_workgroup_id_x 1
		.amdhsa_system_sgpr_workgroup_id_y 1
		.amdhsa_system_sgpr_workgroup_id_z 0
		.amdhsa_system_sgpr_workgroup_info 0
		.amdhsa_system_vgpr_workitem_id 1
		.amdhsa_next_free_vgpr 4
		.amdhsa_next_free_sgpr 13
		.amdhsa_named_barrier_count 0
		.amdhsa_reserve_vcc 0
		.amdhsa_float_round_mode_32 0
		.amdhsa_float_round_mode_16_64 0
		.amdhsa_float_denorm_mode_32 3
		.amdhsa_float_denorm_mode_16_64 3
		.amdhsa_fp16_overflow 0
		.amdhsa_memory_ordered 1
		.amdhsa_forward_progress 1
		.amdhsa_inst_pref_size 3
		.amdhsa_round_robin_scheduling 0
		.amdhsa_exception_fp_ieee_invalid_op 0
		.amdhsa_exception_fp_denorm_src 0
		.amdhsa_exception_fp_ieee_div_zero 0
		.amdhsa_exception_fp_ieee_overflow 0
		.amdhsa_exception_fp_ieee_underflow 0
		.amdhsa_exception_fp_ieee_inexact 0
		.amdhsa_exception_int_div_zero 0
	.end_amdhsa_kernel
	.section	.text._ZN9rocsolver6v33100L12restore_diagIdidPdEEvPT1_llT2_lT0_lS6_,"axG",@progbits,_ZN9rocsolver6v33100L12restore_diagIdidPdEEvPT1_llT2_lT0_lS6_,comdat
.Lfunc_end45:
	.size	_ZN9rocsolver6v33100L12restore_diagIdidPdEEvPT1_llT2_lT0_lS6_, .Lfunc_end45-_ZN9rocsolver6v33100L12restore_diagIdidPdEEvPT1_llT2_lT0_lS6_
                                        ; -- End function
	.set _ZN9rocsolver6v33100L12restore_diagIdidPdEEvPT1_llT2_lT0_lS6_.num_vgpr, 4
	.set _ZN9rocsolver6v33100L12restore_diagIdidPdEEvPT1_llT2_lT0_lS6_.num_agpr, 0
	.set _ZN9rocsolver6v33100L12restore_diagIdidPdEEvPT1_llT2_lT0_lS6_.numbered_sgpr, 13
	.set _ZN9rocsolver6v33100L12restore_diagIdidPdEEvPT1_llT2_lT0_lS6_.num_named_barrier, 0
	.set _ZN9rocsolver6v33100L12restore_diagIdidPdEEvPT1_llT2_lT0_lS6_.private_seg_size, 0
	.set _ZN9rocsolver6v33100L12restore_diagIdidPdEEvPT1_llT2_lT0_lS6_.uses_vcc, 0
	.set _ZN9rocsolver6v33100L12restore_diagIdidPdEEvPT1_llT2_lT0_lS6_.uses_flat_scratch, 0
	.set _ZN9rocsolver6v33100L12restore_diagIdidPdEEvPT1_llT2_lT0_lS6_.has_dyn_sized_stack, 0
	.set _ZN9rocsolver6v33100L12restore_diagIdidPdEEvPT1_llT2_lT0_lS6_.has_recursion, 0
	.set _ZN9rocsolver6v33100L12restore_diagIdidPdEEvPT1_llT2_lT0_lS6_.has_indirect_call, 0
	.section	.AMDGPU.csdata,"",@progbits
; Kernel info:
; codeLenInByte = 276
; TotalNumSgprs: 13
; NumVgprs: 4
; ScratchSize: 0
; MemoryBound: 0
; FloatMode: 240
; IeeeMode: 1
; LDSByteSize: 0 bytes/workgroup (compile time only)
; SGPRBlocks: 0
; VGPRBlocks: 0
; NumSGPRsForWavesPerEU: 13
; NumVGPRsForWavesPerEU: 4
; NamedBarCnt: 0
; Occupancy: 16
; WaveLimiterHint : 0
; COMPUTE_PGM_RSRC2:SCRATCH_EN: 0
; COMPUTE_PGM_RSRC2:USER_SGPR: 2
; COMPUTE_PGM_RSRC2:TRAP_HANDLER: 0
; COMPUTE_PGM_RSRC2:TGID_X_EN: 1
; COMPUTE_PGM_RSRC2:TGID_Y_EN: 1
; COMPUTE_PGM_RSRC2:TGID_Z_EN: 0
; COMPUTE_PGM_RSRC2:TIDIG_COMP_CNT: 1
	.section	.text._ZN9rocsolver6v33100L14set_triangularIdPdTnNSt9enable_ifIXnt18rocblas_is_complexIT_EEiE4typeELi0EEEviiT0_iilPS4_lS8_il15rocblas_direct_15rocblas_storev_b,"axG",@progbits,_ZN9rocsolver6v33100L14set_triangularIdPdTnNSt9enable_ifIXnt18rocblas_is_complexIT_EEiE4typeELi0EEEviiT0_iilPS4_lS8_il15rocblas_direct_15rocblas_storev_b,comdat
	.globl	_ZN9rocsolver6v33100L14set_triangularIdPdTnNSt9enable_ifIXnt18rocblas_is_complexIT_EEiE4typeELi0EEEviiT0_iilPS4_lS8_il15rocblas_direct_15rocblas_storev_b ; -- Begin function _ZN9rocsolver6v33100L14set_triangularIdPdTnNSt9enable_ifIXnt18rocblas_is_complexIT_EEiE4typeELi0EEEviiT0_iilPS4_lS8_il15rocblas_direct_15rocblas_storev_b
	.p2align	8
	.type	_ZN9rocsolver6v33100L14set_triangularIdPdTnNSt9enable_ifIXnt18rocblas_is_complexIT_EEiE4typeELi0EEEviiT0_iilPS4_lS8_il15rocblas_direct_15rocblas_storev_b,@function
_ZN9rocsolver6v33100L14set_triangularIdPdTnNSt9enable_ifIXnt18rocblas_is_complexIT_EEiE4typeELi0EEEviiT0_iilPS4_lS8_il15rocblas_direct_15rocblas_storev_b: ; @_ZN9rocsolver6v33100L14set_triangularIdPdTnNSt9enable_ifIXnt18rocblas_is_complexIT_EEiE4typeELi0EEEviiT0_iilPS4_lS8_il15rocblas_direct_15rocblas_storev_b
; %bb.0:
	s_clause 0x1
	s_load_b32 s2, s[0:1], 0x64
	s_load_b64 s[18:19], s[0:1], 0x0
	s_bfe_u32 s5, ttmp6, 0x40010
	s_bfe_u32 s8, ttmp6, 0x4000c
	s_and_b32 s4, ttmp7, 0xffff
	s_add_co_i32 s5, s5, 1
	s_add_co_i32 s8, s8, 1
	s_bfe_u32 s6, ttmp6, 0x40004
	s_and_b32 s7, ttmp6, 15
	s_mul_i32 s5, s4, s5
	s_mul_i32 s8, ttmp9, s8
	s_getreg_b32 s3, hwreg(HW_REG_IB_STS2, 6, 4)
	v_and_b32_e32 v1, 0x3ff, v0
	v_bfe_u32 v2, v0, 10, 10
	s_add_co_i32 s6, s6, s5
	s_add_co_i32 s7, s7, s8
	s_mov_b32 s21, 0
	s_wait_kmcnt 0x0
	s_lshr_b32 s5, s2, 16
	s_and_b32 s2, s2, 0xffff
	s_cmp_eq_u32 s3, 0
	s_cselect_b32 s7, ttmp9, s7
	s_cselect_b32 s4, s4, s6
	v_mad_u32 v0, s7, s2, v1
	v_mad_u32 v2, s4, s5, v2
	s_mov_b32 s2, exec_lo
	s_delay_alu instid0(VALU_DEP_1) | instskip(NEXT) | instid1(VALU_DEP_1)
	v_max_u32_e32 v1, v0, v2
	v_cmpx_gt_u32_e64 s19, v1
	s_cbranch_execz .LBB46_36
; %bb.1:
	s_clause 0x2
	s_load_b256 s[4:11], s[0:1], 0x18
	s_load_b64 s[12:13], s[0:1], 0x40
	s_load_b32 s2, s[0:1], 0x38
	s_bfe_u32 s14, ttmp6, 0x40014
	s_lshr_b32 s15, ttmp7, 16
	s_add_co_i32 s14, s14, 1
	s_bfe_u32 s16, ttmp6, 0x40008
	s_mul_i32 s14, s15, s14
	s_delay_alu instid0(SALU_CYCLE_1)
	s_add_co_i32 s16, s16, s14
	s_cmp_eq_u32 s3, 0
	s_mov_b32 s3, exec_lo
	s_cselect_b32 s20, s15, s16
	s_wait_kmcnt 0x0
	s_mul_u64 s[8:9], s[8:9], s[20:21]
	s_mul_u64 s[12:13], s[12:13], s[20:21]
	s_lshl_b64 s[8:9], s[8:9], 3
	s_lshl_b64 s[12:13], s[12:13], 3
	s_add_nc_u64 s[16:17], s[6:7], s[8:9]
	s_add_nc_u64 s[6:7], s[10:11], s[12:13]
	v_cmpx_ne_u32_e64 v2, v0
	s_xor_b32 s15, exec_lo, s3
	s_cbranch_execz .LBB46_34
; %bb.2:
	s_clause 0x1
	s_load_b128 s[8:11], s[0:1], 0x8
	s_load_b96 s[12:14], s[0:1], 0x48
	s_wait_xcnt 0x0
	s_mul_u64 s[0:1], s[4:5], s[20:21]
	v_mov_b32_e32 v1, 0
	s_lshl_b64 s[0:1], s[0:1], 3
	s_wait_kmcnt 0x0
	s_ashr_i32 s5, s10, 31
	s_mov_b32 s4, s10
	s_add_nc_u64 s[0:1], s[8:9], s[0:1]
	s_lshl_b64 s[4:5], s[4:5], 3
	s_bitcmp1_b32 s14, 0
	s_add_nc_u64 s[0:1], s[0:1], s[4:5]
	s_cselect_b32 s3, -1, 0
	s_delay_alu instid0(SALU_CYCLE_1)
	s_xor_b32 s4, s3, -1
	s_cmp_lg_u32 s12, 0xab
	s_mov_b32 s3, -1
	s_cbranch_scc0 .LBB46_18
; %bb.3:
	s_mov_b32 s3, exec_lo
	v_cmpx_le_u32_e64 v2, v0
	s_xor_b32 s5, exec_lo, s3
	s_cbranch_execz .LBB46_5
; %bb.4:
	s_ashr_i32 s3, s2, 31
	v_mov_b32_e32 v3, 0
	v_mul_u64_e32 v[4:5], s[2:3], v[0:1]
	v_mov_b64_e32 v[6:7], 0
	s_delay_alu instid0(VALU_DEP_2) | instskip(NEXT) | instid1(VALU_DEP_1)
	v_lshl_add_u64 v[4:5], v[4:5], 3, s[6:7]
	v_lshl_add_u64 v[4:5], v[2:3], 3, v[4:5]
	global_store_b64 v[4:5], v[6:7], off
.LBB46_5:
	s_wait_xcnt 0x0
	s_and_not1_saveexec_b32 s5, s5
	s_cbranch_execz .LBB46_17
; %bb.6:
	v_lshl_add_u64 v[4:5], v[0:1], 3, s[16:17]
	s_cmp_lg_u32 s13, 0xb5
	s_mov_b32 s3, -1
	global_load_b64 v[4:5], v[4:5], off
	s_cbranch_scc0 .LBB46_12
; %bb.7:
	v_mov_b32_e32 v3, 0
	s_and_not1_b32 vcc_lo, exec_lo, s4
	s_delay_alu instid0(VALU_DEP_1)
	v_lshlrev_b64_e32 v[6:7], 3, v[2:3]
	s_cbranch_vccnz .LBB46_9
; %bb.8:
	s_sub_co_i32 s3, s18, s19
	s_ashr_i32 s9, s11, 31
	v_dual_mov_b32 v9, v3 :: v_dual_add_nc_u32 v8, s3, v0
	s_mov_b32 s8, s11
	s_ashr_i32 s3, s2, 31
	s_delay_alu instid0(SALU_CYCLE_1) | instskip(NEXT) | instid1(VALU_DEP_2)
	v_mul_u64_e32 v[10:11], s[2:3], v[0:1]
	v_mul_u64_e32 v[8:9], s[8:9], v[8:9]
	s_mov_b32 s3, 0
	s_delay_alu instid0(VALU_DEP_2) | instskip(NEXT) | instid1(VALU_DEP_2)
	v_lshl_add_u64 v[10:11], v[10:11], 3, s[6:7]
	v_lshl_add_u64 v[8:9], v[8:9], 3, s[0:1]
	s_delay_alu instid0(VALU_DEP_2) | instskip(NEXT) | instid1(VALU_DEP_2)
	v_add_nc_u64_e32 v[10:11], v[10:11], v[6:7]
	v_add_nc_u64_e32 v[8:9], v[8:9], v[6:7]
	global_load_b64 v[8:9], v[8:9], off
	s_wait_loadcnt 0x0
	v_mul_f64_e64 v[8:9], v[8:9], -v[4:5]
	global_store_b64 v[10:11], v[8:9], off
.LBB46_9:
	s_and_not1_b32 vcc_lo, exec_lo, s3
	s_cbranch_vccnz .LBB46_11
; %bb.10:
	s_sub_co_i32 s3, s18, s19
	s_ashr_i32 s9, s11, 31
	s_wait_xcnt 0x0
	v_dual_mov_b32 v9, 0 :: v_dual_add_nc_u32 v8, s3, v0
	s_ashr_i32 s3, s2, 31
	s_mov_b32 s8, s11
	v_mul_u64_e32 v[10:11], s[2:3], v[0:1]
	s_delay_alu instid0(VALU_DEP_2) | instskip(NEXT) | instid1(VALU_DEP_2)
	v_mul_u64_e32 v[8:9], s[8:9], v[8:9]
	v_lshl_add_u64 v[10:11], v[10:11], 3, s[6:7]
	s_delay_alu instid0(VALU_DEP_2) | instskip(NEXT) | instid1(VALU_DEP_2)
	v_lshl_add_u64 v[8:9], v[8:9], 3, s[0:1]
	v_add_nc_u64_e32 v[10:11], v[10:11], v[6:7]
	s_delay_alu instid0(VALU_DEP_2) | instskip(SKIP_4) | instid1(VALU_DEP_1)
	v_add_nc_u64_e32 v[6:7], v[8:9], v[6:7]
	global_load_b64 v[8:9], v[10:11], off
	global_load_b64 v[12:13], v[6:7], off
	s_wait_loadcnt 0x0
	v_add_f64_e32 v[6:7], v[8:9], v[12:13]
	v_mul_f64_e64 v[6:7], v[6:7], -v[4:5]
	global_store_b64 v[10:11], v[6:7], off
.LBB46_11:
	s_mov_b32 s3, 0
.LBB46_12:
	s_delay_alu instid0(SALU_CYCLE_1)
	s_and_not1_b32 vcc_lo, exec_lo, s3
	s_cbranch_vccnz .LBB46_17
; %bb.13:
	s_and_not1_b32 vcc_lo, exec_lo, s4
	s_mov_b32 s3, -1
	s_cbranch_vccnz .LBB46_15
; %bb.14:
	s_sub_co_i32 s3, s18, s19
	s_wait_xcnt 0x0
	v_dual_mov_b32 v7, 0 :: v_dual_add_nc_u32 v6, s3, v0
	s_ashr_i32 s9, s11, 31
	s_mov_b32 s8, s11
	s_ashr_i32 s3, s2, 31
	s_delay_alu instid0(VALU_DEP_1) | instskip(NEXT) | instid1(VALU_DEP_1)
	v_mov_b32_e32 v3, v7
	v_mul_u64_e32 v[8:9], s[8:9], v[2:3]
	s_delay_alu instid0(VALU_DEP_1) | instskip(NEXT) | instid1(VALU_DEP_1)
	v_lshl_add_u64 v[8:9], v[8:9], 3, s[0:1]
	v_lshl_add_u64 v[6:7], v[6:7], 3, v[8:9]
	v_mul_u64_e32 v[8:9], s[2:3], v[0:1]
	s_mov_b32 s3, 0
	global_load_b64 v[6:7], v[6:7], off
	v_lshl_add_u64 v[8:9], v[8:9], 3, s[6:7]
	s_delay_alu instid0(VALU_DEP_1)
	v_lshl_add_u64 v[8:9], v[2:3], 3, v[8:9]
	s_wait_loadcnt 0x0
	v_mul_f64_e64 v[6:7], v[6:7], -v[4:5]
	global_store_b64 v[8:9], v[6:7], off
.LBB46_15:
	s_and_not1_b32 vcc_lo, exec_lo, s3
	s_cbranch_vccnz .LBB46_17
; %bb.16:
	s_ashr_i32 s3, s2, 31
	s_ashr_i32 s9, s11, 31
	s_wait_xcnt 0x0
	v_mul_u64_e32 v[6:7], s[2:3], v[0:1]
	s_sub_co_i32 s3, s18, s19
	s_delay_alu instid0(SALU_CYCLE_1)
	v_dual_mov_b32 v3, 0 :: v_dual_add_nc_u32 v10, s3, v0
	s_mov_b32 s8, s11
	s_delay_alu instid0(VALU_DEP_1) | instid1(SALU_CYCLE_1)
	v_mul_u64_e32 v[8:9], s[8:9], v[2:3]
	v_mov_b32_e32 v11, v3
	s_delay_alu instid0(VALU_DEP_4) | instskip(NEXT) | instid1(VALU_DEP_1)
	v_lshl_add_u64 v[6:7], v[6:7], 3, s[6:7]
	v_lshl_add_u64 v[6:7], v[2:3], 3, v[6:7]
	s_delay_alu instid0(VALU_DEP_4) | instskip(NEXT) | instid1(VALU_DEP_1)
	v_lshl_add_u64 v[8:9], v[8:9], 3, s[0:1]
	v_lshl_add_u64 v[8:9], v[10:11], 3, v[8:9]
	global_load_b64 v[10:11], v[6:7], off
	global_load_b64 v[12:13], v[8:9], off
	s_wait_loadcnt 0x0
	v_add_f64_e32 v[8:9], v[10:11], v[12:13]
	s_delay_alu instid0(VALU_DEP_1)
	v_mul_f64_e64 v[4:5], v[8:9], -v[4:5]
	global_store_b64 v[6:7], v[4:5], off
.LBB46_17:
	s_wait_xcnt 0x0
	s_or_b32 exec_lo, exec_lo, s5
	s_mov_b32 s3, 0
.LBB46_18:
	s_delay_alu instid0(SALU_CYCLE_1)
	s_and_not1_b32 vcc_lo, exec_lo, s3
	s_cbranch_vccnz .LBB46_34
; %bb.19:
	s_mov_b32 s3, exec_lo
	v_cmpx_ge_u32_e64 v2, v0
	s_xor_b32 s5, exec_lo, s3
	s_cbranch_execz .LBB46_21
; %bb.20:
	s_ashr_i32 s3, s2, 31
	v_mov_b32_e32 v3, 0
	v_mul_u64_e32 v[0:1], s[2:3], v[0:1]
	s_wait_loadcnt 0x0
	v_mov_b64_e32 v[4:5], 0
	s_delay_alu instid0(VALU_DEP_2) | instskip(NEXT) | instid1(VALU_DEP_1)
	v_lshl_add_u64 v[0:1], v[0:1], 3, s[6:7]
	v_lshl_add_u64 v[0:1], v[2:3], 3, v[0:1]
                                        ; implicit-def: $vgpr2
	global_store_b64 v[0:1], v[4:5], off
                                        ; implicit-def: $vgpr0_vgpr1
.LBB46_21:
	s_wait_xcnt 0x0
	s_and_not1_saveexec_b32 s5, s5
	s_cbranch_execz .LBB46_33
; %bb.22:
	s_wait_loadcnt 0x0
	v_lshl_add_u64 v[4:5], v[0:1], 3, s[16:17]
	v_cndmask_b32_e64 v6, 0, 1, s4
	v_mov_b32_e32 v3, 0
	s_cmp_lg_u32 s13, 0xb5
	s_mov_b32 s3, -1
	global_load_b64 v[4:5], v[4:5], off
	v_cmp_ne_u32_e32 vcc_lo, 1, v6
	s_cbranch_scc0 .LBB46_28
; %bb.23:
	v_lshlrev_b64_e32 v[6:7], 3, v[2:3]
	s_and_b32 vcc_lo, exec_lo, vcc_lo
	s_cbranch_vccnz .LBB46_25
; %bb.24:
	s_ashr_i32 s9, s11, 31
	s_mov_b32 s8, s11
	s_ashr_i32 s3, s2, 31
	v_mul_u64_e32 v[8:9], s[8:9], v[0:1]
	v_mul_u64_e32 v[10:11], s[2:3], v[0:1]
	s_mov_b32 s3, 0
	s_delay_alu instid0(VALU_DEP_2) | instskip(NEXT) | instid1(VALU_DEP_2)
	v_lshl_add_u64 v[8:9], v[8:9], 3, s[0:1]
	v_lshl_add_u64 v[10:11], v[10:11], 3, s[6:7]
	s_delay_alu instid0(VALU_DEP_2) | instskip(NEXT) | instid1(VALU_DEP_2)
	v_add_nc_u64_e32 v[8:9], v[8:9], v[6:7]
	v_add_nc_u64_e32 v[10:11], v[10:11], v[6:7]
	global_load_b64 v[8:9], v[8:9], off
	s_wait_loadcnt 0x0
	v_mul_f64_e64 v[8:9], v[8:9], -v[4:5]
	global_store_b64 v[10:11], v[8:9], off
.LBB46_25:
	s_and_not1_b32 vcc_lo, exec_lo, s3
	s_cbranch_vccnz .LBB46_27
; %bb.26:
	s_ashr_i32 s3, s2, 31
	s_ashr_i32 s9, s11, 31
	s_mov_b32 s8, s11
	s_wait_xcnt 0x0
	v_mul_u64_e32 v[8:9], s[2:3], v[0:1]
	v_mul_u64_e32 v[10:11], s[8:9], v[0:1]
	s_delay_alu instid0(VALU_DEP_2) | instskip(NEXT) | instid1(VALU_DEP_2)
	v_lshl_add_u64 v[8:9], v[8:9], 3, s[6:7]
	v_lshl_add_u64 v[10:11], v[10:11], 3, s[0:1]
	s_delay_alu instid0(VALU_DEP_2) | instskip(NEXT) | instid1(VALU_DEP_2)
	v_add_nc_u64_e32 v[8:9], v[8:9], v[6:7]
	v_add_nc_u64_e32 v[6:7], v[10:11], v[6:7]
	global_load_b64 v[10:11], v[8:9], off
	global_load_b64 v[12:13], v[6:7], off
	s_wait_loadcnt 0x0
	v_add_f64_e32 v[6:7], v[10:11], v[12:13]
	s_delay_alu instid0(VALU_DEP_1)
	v_mul_f64_e64 v[6:7], v[6:7], -v[4:5]
	global_store_b64 v[8:9], v[6:7], off
.LBB46_27:
	s_mov_b32 s3, 0
.LBB46_28:
	s_delay_alu instid0(SALU_CYCLE_1)
	s_and_not1_b32 vcc_lo, exec_lo, s3
	s_cbranch_vccnz .LBB46_33
; %bb.29:
	s_and_not1_b32 vcc_lo, exec_lo, s4
	s_mov_b32 s3, -1
	s_cbranch_vccnz .LBB46_31
; %bb.30:
	s_ashr_i32 s9, s11, 31
	s_mov_b32 s8, s11
	s_ashr_i32 s3, s2, 31
	s_wait_xcnt 0x0
	v_mul_u64_e32 v[6:7], s[8:9], v[2:3]
	v_mul_u64_e32 v[8:9], s[2:3], v[0:1]
	s_mov_b32 s3, 0
	s_delay_alu instid0(VALU_DEP_2) | instskip(NEXT) | instid1(VALU_DEP_2)
	v_lshl_add_u64 v[6:7], v[6:7], 3, s[0:1]
	v_lshl_add_u64 v[8:9], v[8:9], 3, s[6:7]
	s_delay_alu instid0(VALU_DEP_2) | instskip(NEXT) | instid1(VALU_DEP_2)
	v_lshl_add_u64 v[6:7], v[0:1], 3, v[6:7]
	v_lshl_add_u64 v[8:9], v[2:3], 3, v[8:9]
	global_load_b64 v[6:7], v[6:7], off
	s_wait_loadcnt 0x0
	v_mul_f64_e64 v[6:7], v[6:7], -v[4:5]
	global_store_b64 v[8:9], v[6:7], off
.LBB46_31:
	s_and_not1_b32 vcc_lo, exec_lo, s3
	s_cbranch_vccnz .LBB46_33
; %bb.32:
	s_ashr_i32 s3, s2, 31
	s_ashr_i32 s9, s11, 31
	s_mov_b32 s8, s11
	s_wait_xcnt 0x0
	v_mul_u64_e32 v[6:7], s[2:3], v[0:1]
	v_mul_u64_e32 v[8:9], s[8:9], v[2:3]
	s_delay_alu instid0(VALU_DEP_2) | instskip(NEXT) | instid1(VALU_DEP_2)
	v_lshl_add_u64 v[6:7], v[6:7], 3, s[6:7]
	v_lshl_add_u64 v[8:9], v[8:9], 3, s[0:1]
	s_delay_alu instid0(VALU_DEP_2) | instskip(NEXT) | instid1(VALU_DEP_2)
	v_lshl_add_u64 v[2:3], v[2:3], 3, v[6:7]
	v_lshl_add_u64 v[0:1], v[0:1], 3, v[8:9]
	global_load_b64 v[6:7], v[2:3], off
	global_load_b64 v[8:9], v[0:1], off
	s_wait_loadcnt 0x0
	v_add_f64_e32 v[0:1], v[6:7], v[8:9]
	s_delay_alu instid0(VALU_DEP_1)
	v_mul_f64_e64 v[0:1], v[0:1], -v[4:5]
	global_store_b64 v[2:3], v[0:1], off
.LBB46_33:
	s_wait_xcnt 0x0
	s_or_b32 exec_lo, exec_lo, s5
                                        ; implicit-def: $vgpr0
.LBB46_34:
	s_and_not1_saveexec_b32 s0, s15
	s_cbranch_execz .LBB46_36
; %bb.35:
	global_load_b64 v[2:3], v0, s[16:17] scale_offset
	v_mov_b32_e32 v1, 0
	s_ashr_i32 s3, s2, 31
	s_wait_loadcnt 0x1
	s_delay_alu instid0(VALU_DEP_1) | instskip(SKIP_2) | instid1(VALU_DEP_2)
	v_mul_u64_e32 v[4:5], s[2:3], v[0:1]
	s_wait_xcnt 0x0
	v_lshlrev_b64_e32 v[0:1], 3, v[0:1]
	v_lshl_add_u64 v[4:5], v[4:5], 3, s[6:7]
	s_delay_alu instid0(VALU_DEP_1)
	v_add_nc_u64_e32 v[0:1], v[4:5], v[0:1]
	s_wait_loadcnt 0x0
	global_store_b64 v[0:1], v[2:3], off
.LBB46_36:
	s_endpgm
	.section	.rodata,"a",@progbits
	.p2align	6, 0x0
	.amdhsa_kernel _ZN9rocsolver6v33100L14set_triangularIdPdTnNSt9enable_ifIXnt18rocblas_is_complexIT_EEiE4typeELi0EEEviiT0_iilPS4_lS8_il15rocblas_direct_15rocblas_storev_b
		.amdhsa_group_segment_fixed_size 0
		.amdhsa_private_segment_fixed_size 0
		.amdhsa_kernarg_size 344
		.amdhsa_user_sgpr_count 2
		.amdhsa_user_sgpr_dispatch_ptr 0
		.amdhsa_user_sgpr_queue_ptr 0
		.amdhsa_user_sgpr_kernarg_segment_ptr 1
		.amdhsa_user_sgpr_dispatch_id 0
		.amdhsa_user_sgpr_kernarg_preload_length 0
		.amdhsa_user_sgpr_kernarg_preload_offset 0
		.amdhsa_user_sgpr_private_segment_size 0
		.amdhsa_wavefront_size32 1
		.amdhsa_uses_dynamic_stack 0
		.amdhsa_enable_private_segment 0
		.amdhsa_system_sgpr_workgroup_id_x 1
		.amdhsa_system_sgpr_workgroup_id_y 1
		.amdhsa_system_sgpr_workgroup_id_z 1
		.amdhsa_system_sgpr_workgroup_info 0
		.amdhsa_system_vgpr_workitem_id 1
		.amdhsa_next_free_vgpr 14
		.amdhsa_next_free_sgpr 22
		.amdhsa_named_barrier_count 0
		.amdhsa_reserve_vcc 1
		.amdhsa_float_round_mode_32 0
		.amdhsa_float_round_mode_16_64 0
		.amdhsa_float_denorm_mode_32 3
		.amdhsa_float_denorm_mode_16_64 3
		.amdhsa_fp16_overflow 0
		.amdhsa_memory_ordered 1
		.amdhsa_forward_progress 1
		.amdhsa_inst_pref_size 15
		.amdhsa_round_robin_scheduling 0
		.amdhsa_exception_fp_ieee_invalid_op 0
		.amdhsa_exception_fp_denorm_src 0
		.amdhsa_exception_fp_ieee_div_zero 0
		.amdhsa_exception_fp_ieee_overflow 0
		.amdhsa_exception_fp_ieee_underflow 0
		.amdhsa_exception_fp_ieee_inexact 0
		.amdhsa_exception_int_div_zero 0
	.end_amdhsa_kernel
	.section	.text._ZN9rocsolver6v33100L14set_triangularIdPdTnNSt9enable_ifIXnt18rocblas_is_complexIT_EEiE4typeELi0EEEviiT0_iilPS4_lS8_il15rocblas_direct_15rocblas_storev_b,"axG",@progbits,_ZN9rocsolver6v33100L14set_triangularIdPdTnNSt9enable_ifIXnt18rocblas_is_complexIT_EEiE4typeELi0EEEviiT0_iilPS4_lS8_il15rocblas_direct_15rocblas_storev_b,comdat
.Lfunc_end46:
	.size	_ZN9rocsolver6v33100L14set_triangularIdPdTnNSt9enable_ifIXnt18rocblas_is_complexIT_EEiE4typeELi0EEEviiT0_iilPS4_lS8_il15rocblas_direct_15rocblas_storev_b, .Lfunc_end46-_ZN9rocsolver6v33100L14set_triangularIdPdTnNSt9enable_ifIXnt18rocblas_is_complexIT_EEiE4typeELi0EEEviiT0_iilPS4_lS8_il15rocblas_direct_15rocblas_storev_b
                                        ; -- End function
	.set _ZN9rocsolver6v33100L14set_triangularIdPdTnNSt9enable_ifIXnt18rocblas_is_complexIT_EEiE4typeELi0EEEviiT0_iilPS4_lS8_il15rocblas_direct_15rocblas_storev_b.num_vgpr, 14
	.set _ZN9rocsolver6v33100L14set_triangularIdPdTnNSt9enable_ifIXnt18rocblas_is_complexIT_EEiE4typeELi0EEEviiT0_iilPS4_lS8_il15rocblas_direct_15rocblas_storev_b.num_agpr, 0
	.set _ZN9rocsolver6v33100L14set_triangularIdPdTnNSt9enable_ifIXnt18rocblas_is_complexIT_EEiE4typeELi0EEEviiT0_iilPS4_lS8_il15rocblas_direct_15rocblas_storev_b.numbered_sgpr, 22
	.set _ZN9rocsolver6v33100L14set_triangularIdPdTnNSt9enable_ifIXnt18rocblas_is_complexIT_EEiE4typeELi0EEEviiT0_iilPS4_lS8_il15rocblas_direct_15rocblas_storev_b.num_named_barrier, 0
	.set _ZN9rocsolver6v33100L14set_triangularIdPdTnNSt9enable_ifIXnt18rocblas_is_complexIT_EEiE4typeELi0EEEviiT0_iilPS4_lS8_il15rocblas_direct_15rocblas_storev_b.private_seg_size, 0
	.set _ZN9rocsolver6v33100L14set_triangularIdPdTnNSt9enable_ifIXnt18rocblas_is_complexIT_EEiE4typeELi0EEEviiT0_iilPS4_lS8_il15rocblas_direct_15rocblas_storev_b.uses_vcc, 1
	.set _ZN9rocsolver6v33100L14set_triangularIdPdTnNSt9enable_ifIXnt18rocblas_is_complexIT_EEiE4typeELi0EEEviiT0_iilPS4_lS8_il15rocblas_direct_15rocblas_storev_b.uses_flat_scratch, 0
	.set _ZN9rocsolver6v33100L14set_triangularIdPdTnNSt9enable_ifIXnt18rocblas_is_complexIT_EEiE4typeELi0EEEviiT0_iilPS4_lS8_il15rocblas_direct_15rocblas_storev_b.has_dyn_sized_stack, 0
	.set _ZN9rocsolver6v33100L14set_triangularIdPdTnNSt9enable_ifIXnt18rocblas_is_complexIT_EEiE4typeELi0EEEviiT0_iilPS4_lS8_il15rocblas_direct_15rocblas_storev_b.has_recursion, 0
	.set _ZN9rocsolver6v33100L14set_triangularIdPdTnNSt9enable_ifIXnt18rocblas_is_complexIT_EEiE4typeELi0EEEviiT0_iilPS4_lS8_il15rocblas_direct_15rocblas_storev_b.has_indirect_call, 0
	.section	.AMDGPU.csdata,"",@progbits
; Kernel info:
; codeLenInByte = 1804
; TotalNumSgprs: 24
; NumVgprs: 14
; ScratchSize: 0
; MemoryBound: 0
; FloatMode: 240
; IeeeMode: 1
; LDSByteSize: 0 bytes/workgroup (compile time only)
; SGPRBlocks: 0
; VGPRBlocks: 0
; NumSGPRsForWavesPerEU: 24
; NumVGPRsForWavesPerEU: 14
; NamedBarCnt: 0
; Occupancy: 16
; WaveLimiterHint : 0
; COMPUTE_PGM_RSRC2:SCRATCH_EN: 0
; COMPUTE_PGM_RSRC2:USER_SGPR: 2
; COMPUTE_PGM_RSRC2:TRAP_HANDLER: 0
; COMPUTE_PGM_RSRC2:TGID_X_EN: 1
; COMPUTE_PGM_RSRC2:TGID_Y_EN: 1
; COMPUTE_PGM_RSRC2:TGID_Z_EN: 1
; COMPUTE_PGM_RSRC2:TIDIG_COMP_CNT: 1
	.section	.text._ZN9rocsolver6v33100L7set_tauIdEEviPT_l,"axG",@progbits,_ZN9rocsolver6v33100L7set_tauIdEEviPT_l,comdat
	.globl	_ZN9rocsolver6v33100L7set_tauIdEEviPT_l ; -- Begin function _ZN9rocsolver6v33100L7set_tauIdEEviPT_l
	.p2align	8
	.type	_ZN9rocsolver6v33100L7set_tauIdEEviPT_l,@function
_ZN9rocsolver6v33100L7set_tauIdEEviPT_l: ; @_ZN9rocsolver6v33100L7set_tauIdEEviPT_l
; %bb.0:
	s_clause 0x1
	s_load_b32 s3, s[0:1], 0x24
	s_load_b32 s4, s[0:1], 0x0
	s_bfe_u32 s2, ttmp6, 0x4000c
	s_and_b32 s5, ttmp6, 15
	s_add_co_i32 s6, s2, 1
	s_getreg_b32 s2, hwreg(HW_REG_IB_STS2, 6, 4)
	s_mul_i32 s6, ttmp9, s6
	s_delay_alu instid0(SALU_CYCLE_1) | instskip(SKIP_4) | instid1(SALU_CYCLE_1)
	s_add_co_i32 s5, s5, s6
	s_wait_kmcnt 0x0
	s_and_b32 s3, s3, 0xffff
	s_cmp_eq_u32 s2, 0
	s_cselect_b32 s5, ttmp9, s5
	v_mad_u32 v0, s5, s3, v0
	s_mov_b32 s3, 0
	s_delay_alu instid0(VALU_DEP_1)
	v_cmp_gt_u32_e32 vcc_lo, s4, v0
	s_and_saveexec_b32 s4, vcc_lo
	s_cbranch_execz .LBB47_2
; %bb.1:
	s_load_b128 s[4:7], s[0:1], 0x8
	s_wait_xcnt 0x0
	s_bfe_u32 s0, ttmp6, 0x40010
	s_bfe_u32 s1, ttmp6, 0x40004
	s_add_co_i32 s0, s0, 1
	s_delay_alu instid0(SALU_CYCLE_1) | instskip(NEXT) | instid1(SALU_CYCLE_1)
	s_mul_i32 s0, ttmp7, s0
	s_add_co_i32 s1, s1, s0
	s_cmp_eq_u32 s2, 0
	s_cselect_b32 s2, ttmp7, s1
	s_wait_kmcnt 0x0
	s_mul_u64 s[0:1], s[6:7], s[2:3]
	s_delay_alu instid0(SALU_CYCLE_1) | instskip(NEXT) | instid1(SALU_CYCLE_1)
	s_lshl_b64 s[0:1], s[0:1], 3
	s_add_nc_u64 s[0:1], s[4:5], s[0:1]
	global_load_b64 v[2:3], v0, s[0:1] scale_offset
	s_wait_loadcnt 0x0
	v_xor_b32_e32 v3, 0x80000000, v3
	global_store_b64 v0, v[2:3], s[0:1] scale_offset
.LBB47_2:
	s_endpgm
	.section	.rodata,"a",@progbits
	.p2align	6, 0x0
	.amdhsa_kernel _ZN9rocsolver6v33100L7set_tauIdEEviPT_l
		.amdhsa_group_segment_fixed_size 0
		.amdhsa_private_segment_fixed_size 0
		.amdhsa_kernarg_size 280
		.amdhsa_user_sgpr_count 2
		.amdhsa_user_sgpr_dispatch_ptr 0
		.amdhsa_user_sgpr_queue_ptr 0
		.amdhsa_user_sgpr_kernarg_segment_ptr 1
		.amdhsa_user_sgpr_dispatch_id 0
		.amdhsa_user_sgpr_kernarg_preload_length 0
		.amdhsa_user_sgpr_kernarg_preload_offset 0
		.amdhsa_user_sgpr_private_segment_size 0
		.amdhsa_wavefront_size32 1
		.amdhsa_uses_dynamic_stack 0
		.amdhsa_enable_private_segment 0
		.amdhsa_system_sgpr_workgroup_id_x 1
		.amdhsa_system_sgpr_workgroup_id_y 1
		.amdhsa_system_sgpr_workgroup_id_z 0
		.amdhsa_system_sgpr_workgroup_info 0
		.amdhsa_system_vgpr_workitem_id 0
		.amdhsa_next_free_vgpr 4
		.amdhsa_next_free_sgpr 8
		.amdhsa_named_barrier_count 0
		.amdhsa_reserve_vcc 1
		.amdhsa_float_round_mode_32 0
		.amdhsa_float_round_mode_16_64 0
		.amdhsa_float_denorm_mode_32 3
		.amdhsa_float_denorm_mode_16_64 3
		.amdhsa_fp16_overflow 0
		.amdhsa_memory_ordered 1
		.amdhsa_forward_progress 1
		.amdhsa_inst_pref_size 2
		.amdhsa_round_robin_scheduling 0
		.amdhsa_exception_fp_ieee_invalid_op 0
		.amdhsa_exception_fp_denorm_src 0
		.amdhsa_exception_fp_ieee_div_zero 0
		.amdhsa_exception_fp_ieee_overflow 0
		.amdhsa_exception_fp_ieee_underflow 0
		.amdhsa_exception_fp_ieee_inexact 0
		.amdhsa_exception_int_div_zero 0
	.end_amdhsa_kernel
	.section	.text._ZN9rocsolver6v33100L7set_tauIdEEviPT_l,"axG",@progbits,_ZN9rocsolver6v33100L7set_tauIdEEviPT_l,comdat
.Lfunc_end47:
	.size	_ZN9rocsolver6v33100L7set_tauIdEEviPT_l, .Lfunc_end47-_ZN9rocsolver6v33100L7set_tauIdEEviPT_l
                                        ; -- End function
	.set _ZN9rocsolver6v33100L7set_tauIdEEviPT_l.num_vgpr, 4
	.set _ZN9rocsolver6v33100L7set_tauIdEEviPT_l.num_agpr, 0
	.set _ZN9rocsolver6v33100L7set_tauIdEEviPT_l.numbered_sgpr, 8
	.set _ZN9rocsolver6v33100L7set_tauIdEEviPT_l.num_named_barrier, 0
	.set _ZN9rocsolver6v33100L7set_tauIdEEviPT_l.private_seg_size, 0
	.set _ZN9rocsolver6v33100L7set_tauIdEEviPT_l.uses_vcc, 1
	.set _ZN9rocsolver6v33100L7set_tauIdEEviPT_l.uses_flat_scratch, 0
	.set _ZN9rocsolver6v33100L7set_tauIdEEviPT_l.has_dyn_sized_stack, 0
	.set _ZN9rocsolver6v33100L7set_tauIdEEviPT_l.has_recursion, 0
	.set _ZN9rocsolver6v33100L7set_tauIdEEviPT_l.has_indirect_call, 0
	.section	.AMDGPU.csdata,"",@progbits
; Kernel info:
; codeLenInByte = 212
; TotalNumSgprs: 10
; NumVgprs: 4
; ScratchSize: 0
; MemoryBound: 0
; FloatMode: 240
; IeeeMode: 1
; LDSByteSize: 0 bytes/workgroup (compile time only)
; SGPRBlocks: 0
; VGPRBlocks: 0
; NumSGPRsForWavesPerEU: 10
; NumVGPRsForWavesPerEU: 4
; NamedBarCnt: 0
; Occupancy: 16
; WaveLimiterHint : 0
; COMPUTE_PGM_RSRC2:SCRATCH_EN: 0
; COMPUTE_PGM_RSRC2:USER_SGPR: 2
; COMPUTE_PGM_RSRC2:TRAP_HANDLER: 0
; COMPUTE_PGM_RSRC2:TGID_X_EN: 1
; COMPUTE_PGM_RSRC2:TGID_Y_EN: 1
; COMPUTE_PGM_RSRC2:TGID_Z_EN: 0
; COMPUTE_PGM_RSRC2:TIDIG_COMP_CNT: 0
	.section	.text._ZN9rocsolver6v33100L20larft_kernel_forwardIdPdEEv15rocblas_storev_iiT0_iilPT_lS6_il,"axG",@progbits,_ZN9rocsolver6v33100L20larft_kernel_forwardIdPdEEv15rocblas_storev_iiT0_iilPT_lS6_il,comdat
	.globl	_ZN9rocsolver6v33100L20larft_kernel_forwardIdPdEEv15rocblas_storev_iiT0_iilPT_lS6_il ; -- Begin function _ZN9rocsolver6v33100L20larft_kernel_forwardIdPdEEv15rocblas_storev_iiT0_iilPT_lS6_il
	.p2align	8
	.type	_ZN9rocsolver6v33100L20larft_kernel_forwardIdPdEEv15rocblas_storev_iiT0_iilPT_lS6_il,@function
_ZN9rocsolver6v33100L20larft_kernel_forwardIdPdEEv15rocblas_storev_iiT0_iilPT_lS6_il: ; @_ZN9rocsolver6v33100L20larft_kernel_forwardIdPdEEv15rocblas_storev_iiT0_iilPT_lS6_il
; %bb.0:
	s_clause 0x4
	s_load_b32 s2, s[0:1], 0x5c
	s_load_b32 s3, s[0:1], 0x40
	s_load_b64 s[12:13], s[0:1], 0x48
	s_load_b96 s[16:18], s[0:1], 0x0
	s_load_b256 s[4:11], s[0:1], 0x20
	s_bfe_u32 s14, ttmp6, 0x40010
	s_bfe_u32 s15, ttmp6, 0x40004
	s_add_co_i32 s14, s14, 1
	s_getreg_b32 s20, hwreg(HW_REG_IB_STS2, 6, 4)
	s_mul_i32 s14, ttmp7, s14
	v_lshlrev_b32_e32 v2, 3, v0
	s_add_co_i32 s15, s15, s14
	s_wait_kmcnt 0x0
	s_and_b32 s19, s2, 0xffff
	s_cmp_eq_u32 s20, 0
	v_mad_u32 v1, v0, s3, v0
	s_cselect_b32 s20, ttmp7, s15
	v_cmp_gt_i32_e64 s2, s18, v0
	s_ashr_i32 s21, s20, 31
	s_delay_alu instid0(SALU_CYCLE_1) | instskip(NEXT) | instid1(SALU_CYCLE_1)
	s_mul_u64 s[12:13], s[12:13], s[20:21]
	s_lshl_b64 s[14:15], s[12:13], 3
	s_mov_b32 s12, 0
	s_add_nc_u64 s[10:11], s[10:11], s[14:15]
	s_and_saveexec_b32 s13, s2
	s_cbranch_execz .LBB48_5
; %bb.1:
	v_dual_add_nc_u32 v3, 8, v2 :: v_dual_mov_b32 v5, v0
	s_lshl_b32 s14, s18, 3
	s_add_co_i32 s22, s3, 1
	s_add_co_i32 s15, s14, 8
	s_delay_alu instid0(VALU_DEP_1) | instskip(SKIP_3) | instid1(VALU_DEP_2)
	v_mul_lo_u32 v4, s18, v3
	v_mad_u32 v3, v0, s3, v0
	s_mul_i32 s15, s15, s19
	s_mul_i32 s22, s22, s19
	v_add3_u32 v4, v4, v2, 0
.LBB48_2:                               ; =>This Loop Header: Depth=1
                                        ;     Child Loop BB48_3 Depth 2
	s_delay_alu instid0(VALU_DEP_1)
	v_dual_mov_b32 v6, v3 :: v_dual_mov_b32 v7, v4
	v_mov_b32_e32 v8, v5
	s_mov_b32 s23, 0
.LBB48_3:                               ;   Parent Loop BB48_2 Depth=1
                                        ; =>  This Inner Loop Header: Depth=2
	global_load_b64 v[10:11], v6, s[10:11] scale_offset
	s_wait_xcnt 0x0
	v_dual_add_nc_u32 v8, 1, v8 :: v_dual_add_nc_u32 v6, s3, v6
	s_delay_alu instid0(VALU_DEP_1)
	v_cmp_le_i32_e32 vcc_lo, s18, v8
	s_or_b32 s23, vcc_lo, s23
	s_wait_loadcnt 0x0
	ds_store_b64 v7, v[10:11]
	v_add_nc_u32_e32 v7, s14, v7
	s_and_not1_b32 exec_lo, exec_lo, s23
	s_cbranch_execnz .LBB48_3
; %bb.4:                                ;   in Loop: Header=BB48_2 Depth=1
	s_or_b32 exec_lo, exec_lo, s23
	v_dual_add_nc_u32 v5, s19, v5 :: v_dual_add_nc_u32 v4, s15, v4
	v_add_nc_u32_e32 v3, s22, v3
	s_delay_alu instid0(VALU_DEP_2) | instskip(SKIP_1) | instid1(SALU_CYCLE_1)
	v_cmp_le_i32_e32 vcc_lo, s18, v5
	s_or_b32 s12, vcc_lo, s12
	s_and_not1_b32 exec_lo, exec_lo, s12
	s_cbranch_execnz .LBB48_2
.LBB48_5:
	s_or_b32 exec_lo, exec_lo, s13
	s_cmp_lt_i32 s18, 2
	s_wait_dscnt 0x0
	s_barrier_signal -1
	s_barrier_wait -1
	s_cbranch_scc1 .LBB48_30
; %bb.6:
	s_load_b128 s[12:15], s[0:1], 0x10
	v_dual_mov_b32 v3, 0 :: v_dual_add_nc_u32 v4, 8, v2
	s_wait_xcnt 0x0
	s_mul_u64 s[0:1], s[8:9], s[20:21]
	s_lshl_b32 s33, s18, 3
	s_lshl_b64 s[0:1], s[0:1], 3
	s_mul_u64 s[20:21], s[4:5], s[20:21]
	s_add_co_i32 s35, s33, 0
	s_add_nc_u64 s[4:5], s[6:7], s[0:1]
	v_mul_lo_u32 v6, s18, v4
	v_add_nc_u32_e32 v13, 0, v2
	s_mov_b32 s9, 0
	s_mov_b32 s34, 1
	s_delay_alu instid0(VALU_DEP_2)
	v_add3_u32 v12, v6, v2, 0
	s_wait_kmcnt 0x0
	s_ashr_i32 s1, s14, 31
	s_cmp_lg_u32 s16, 0xb5
	s_mov_b32 s0, s14
	s_cselect_b32 s14, -1, 0
	s_lshl_b64 s[26:27], s[20:21], 3
	s_lshl_b64 s[0:1], s[0:1], 3
	v_add_nc_u64_e32 v[4:5], s[26:27], v[2:3]
	v_mul_lo_u32 v3, v0, s15
	s_add_nc_u64 s[22:23], s[12:13], s[0:1]
	s_add_nc_u64 s[0:1], s[26:27], s[0:1]
	s_mov_b32 s24, s15
	s_ashr_i32 s25, s15, 31
	s_add_nc_u64 s[0:1], s[12:13], s[0:1]
	s_add_co_i32 s37, s33, 8
	s_add_co_i32 s16, s17, -2
	s_lshl_b32 s6, s15, 1
	s_add_nc_u64 s[20:21], s[26:27], 8
	s_lshl_b64 s[24:25], s[24:25], 3
	s_lshl_b32 s8, s19, 3
	s_add_nc_u64 s[12:13], s[0:1], 16
	s_mul_i32 s36, s15, s19
	s_mul_i32 s37, s37, s19
	s_mov_b32 s26, s15
	s_branch .LBB48_8
.LBB48_7:                               ;   in Loop: Header=BB48_8 Depth=1
	s_or_b32 exec_lo, exec_lo, s0
	s_add_co_i32 s34, s34, 1
	s_add_co_i32 s16, s16, -1
	s_add_co_i32 s6, s6, s15
	s_add_co_i32 s26, s26, s15
	s_add_nc_u64 s[20:21], s[20:21], 8
	s_cmp_eq_u32 s34, s18
	s_add_nc_u64 s[12:13], s[12:13], 8
	s_wait_dscnt 0x0
	s_barrier_signal -1
	s_barrier_wait -1
	s_cbranch_scc1 .LBB48_30
.LBB48_8:                               ; =>This Loop Header: Depth=1
                                        ;     Child Loop BB48_12 Depth 2
                                        ;       Child Loop BB48_14 Depth 3
                                        ;     Child Loop BB48_21 Depth 2
                                        ;       Child Loop BB48_23 Depth 3
	;; [unrolled: 2-line block ×3, first 2 shown]
	s_mul_i32 s0, s34, s18
	s_not_b32 s1, s34
	s_lshl_b32 s0, s0, 3
	s_add_co_i32 s39, s17, s1
	s_add_co_i32 s38, s35, s0
	v_cmp_gt_u32_e64 s0, s34, v0
	s_and_b32 vcc_lo, exec_lo, s14
	s_mov_b32 s1, -1
	s_cbranch_vccz .LBB48_16
; %bb.9:                                ;   in Loop: Header=BB48_8 Depth=1
	s_and_saveexec_b32 s27, s0
	s_cbranch_execz .LBB48_15
; %bb.10:                               ;   in Loop: Header=BB48_8 Depth=1
	s_load_b64 s[0:1], s[4:5], s34 offset:0x0 scale_offset
	s_ashr_i32 s7, s6, 31
	v_mov_b64_e32 v[6:7], v[4:5]
	s_lshl_b64 s[28:29], s[6:7], 3
	v_mov_b32_e32 v10, v0
	s_cmp_gt_i32 s39, 0
	s_add_nc_u64 s[28:29], s[22:23], s[28:29]
	s_cselect_b32 s7, -1, 0
	s_mov_b32 s40, 0
	s_branch .LBB48_12
.LBB48_11:                              ;   in Loop: Header=BB48_12 Depth=2
	v_dual_lshlrev_b32 v11, 3, v10 :: v_dual_add_nc_u32 v10, s19, v10
	v_add_nc_u64_e32 v[6:7], s[8:9], v[6:7]
	s_wait_xcnt 0x0
	s_delay_alu instid0(VALU_DEP_2) | instskip(NEXT) | instid1(VALU_DEP_3)
	v_add_nc_u32_e32 v14, s38, v11
	v_cmp_le_u32_e32 vcc_lo, s34, v10
	ds_load_b64 v[14:15], v14
	s_or_b32 s40, vcc_lo, s40
	s_wait_dscnt 0x0
	s_wait_kmcnt 0x0
	v_fmac_f64_e32 v[14:15], s[0:1], v[8:9]
	v_add_nc_u32_e32 v8, 0, v11
	ds_store_b64 v8, v[14:15]
	s_and_not1_b32 exec_lo, exec_lo, s40
	s_cbranch_execz .LBB48_15
.LBB48_12:                              ;   Parent Loop BB48_8 Depth=1
                                        ; =>  This Loop Header: Depth=2
                                        ;       Child Loop BB48_14 Depth 3
	v_mov_b64_e32 v[8:9], 0
	s_and_not1_b32 vcc_lo, exec_lo, s7
	s_cbranch_vccnz .LBB48_11
; %bb.13:                               ;   in Loop: Header=BB48_12 Depth=2
	s_mov_b32 s41, 0
	s_mov_b64 s[30:31], s[28:29]
.LBB48_14:                              ;   Parent Loop BB48_8 Depth=1
                                        ;     Parent Loop BB48_12 Depth=2
                                        ; =>    This Inner Loop Header: Depth=3
	s_wait_xcnt 0x0
	v_add_nc_u64_e32 v[14:15], s[30:31], v[6:7]
	s_add_nc_u64 s[42:43], s[30:31], s[20:21]
	s_add_co_i32 s41, s41, 1
	s_add_nc_u64 s[30:31], s[30:31], s[24:25]
	s_cmp_eq_u32 s16, s41
	s_load_b64 s[42:43], s[42:43], 0x0
	global_load_b64 v[14:15], v[14:15], off
	s_wait_loadcnt 0x0
	s_wait_kmcnt 0x0
	v_fmac_f64_e32 v[8:9], s[42:43], v[14:15]
	s_cbranch_scc0 .LBB48_14
	s_branch .LBB48_11
.LBB48_15:                              ;   in Loop: Header=BB48_8 Depth=1
	s_or_b32 exec_lo, exec_lo, s27
	s_mov_b32 s1, 0
.LBB48_16:                              ;   in Loop: Header=BB48_8 Depth=1
	s_delay_alu instid0(SALU_CYCLE_1)
	s_and_not1_b32 vcc_lo, exec_lo, s1
	s_cbranch_vccnz .LBB48_25
; %bb.17:                               ;   in Loop: Header=BB48_8 Depth=1
	s_mov_b32 s7, exec_lo
	v_cmpx_gt_u32_e64 s34, v0
	s_cbranch_execz .LBB48_24
; %bb.18:                               ;   in Loop: Header=BB48_8 Depth=1
	s_load_b64 s[0:1], s[4:5], s34 offset:0x0 scale_offset
	s_ashr_i32 s27, s26, 31
	v_dual_mov_b32 v6, v3 :: v_dual_mov_b32 v14, v0
	s_lshl_b64 s[28:29], s[26:27], 3
	s_cmp_gt_i32 s39, 0
	s_add_nc_u64 s[28:29], s[12:13], s[28:29]
	s_cselect_b32 s27, -1, 0
	s_mov_b32 s39, 0
	s_branch .LBB48_21
.LBB48_19:                              ;   in Loop: Header=BB48_21 Depth=2
	v_mov_b64_e32 v[8:9], 0
.LBB48_20:                              ;   in Loop: Header=BB48_21 Depth=2
	v_dual_lshlrev_b32 v7, 3, v14 :: v_dual_add_nc_u32 v14, s19, v14
	s_delay_alu instid0(VALU_DEP_1) | instskip(SKIP_1) | instid1(VALU_DEP_3)
	v_dual_add_nc_u32 v6, s36, v6 :: v_dual_add_nc_u32 v10, s38, v7
	v_add_nc_u32_e32 v7, 0, v7
	v_cmp_le_u32_e32 vcc_lo, s34, v14
	ds_load_b64 v[10:11], v10
	s_or_b32 s39, vcc_lo, s39
	s_wait_dscnt 0x0
	s_wait_kmcnt 0x0
	v_fmac_f64_e32 v[10:11], s[0:1], v[8:9]
	ds_store_b64 v7, v[10:11]
	s_and_not1_b32 exec_lo, exec_lo, s39
	s_cbranch_execz .LBB48_24
.LBB48_21:                              ;   Parent Loop BB48_8 Depth=1
                                        ; =>  This Loop Header: Depth=2
                                        ;       Child Loop BB48_23 Depth 3
	s_and_not1_b32 vcc_lo, exec_lo, s27
	s_cbranch_vccnz .LBB48_19
; %bb.22:                               ;   in Loop: Header=BB48_21 Depth=2
	v_ashrrev_i32_e32 v7, 31, v6
	v_mov_b64_e32 v[8:9], 0
	s_mov_b32 s40, 0
	s_mov_b64 s[30:31], s[28:29]
	s_delay_alu instid0(VALU_DEP_2)
	v_lshl_add_u64 v[10:11], v[6:7], 3, s[12:13]
.LBB48_23:                              ;   Parent Loop BB48_8 Depth=1
                                        ;     Parent Loop BB48_21 Depth=2
                                        ; =>    This Inner Loop Header: Depth=3
	global_load_b64 v[16:17], v[10:11], off
	s_load_b64 s[42:43], s[30:31], 0x0
	v_add_nc_u64_e32 v[10:11], 8, v[10:11]
	s_add_co_i32 s40, s40, 1
	s_wait_xcnt 0x0
	s_add_nc_u64 s[30:31], s[30:31], 8
	s_cmp_eq_u32 s16, s40
	s_wait_loadcnt 0x0
	s_wait_kmcnt 0x0
	v_fmac_f64_e32 v[8:9], s[42:43], v[16:17]
	s_cbranch_scc0 .LBB48_23
	s_branch .LBB48_20
.LBB48_24:                              ;   in Loop: Header=BB48_8 Depth=1
	s_or_b32 exec_lo, exec_lo, s7
.LBB48_25:                              ;   in Loop: Header=BB48_8 Depth=1
	s_delay_alu instid0(SALU_CYCLE_1)
	s_mov_b32 s0, exec_lo
	s_wait_dscnt 0x0
	s_barrier_signal -1
	s_barrier_wait -1
	v_cmpx_gt_u32_e64 s34, v0
	s_cbranch_execz .LBB48_7
; %bb.26:                               ;   in Loop: Header=BB48_8 Depth=1
	v_dual_mov_b32 v8, v13 :: v_dual_mov_b32 v9, v12
	v_mov_b32_e32 v10, v0
	s_mov_b32 s1, 0
.LBB48_27:                              ;   Parent Loop BB48_8 Depth=1
                                        ; =>  This Loop Header: Depth=2
                                        ;       Child Loop BB48_28 Depth 3
	v_mov_b64_e32 v[6:7], 0
	s_delay_alu instid0(VALU_DEP_3) | instskip(NEXT) | instid1(VALU_DEP_3)
	v_dual_mov_b32 v11, v8 :: v_dual_mov_b32 v14, v9
	v_mov_b32_e32 v15, v10
	s_mov_b32 s7, 0
.LBB48_28:                              ;   Parent Loop BB48_8 Depth=1
                                        ;     Parent Loop BB48_27 Depth=2
                                        ; =>    This Inner Loop Header: Depth=3
	ds_load_b64 v[16:17], v14
	ds_load_b64 v[18:19], v11
	v_dual_add_nc_u32 v15, 1, v15 :: v_dual_add_nc_u32 v14, s33, v14
	v_add_nc_u32_e32 v11, 8, v11
	s_delay_alu instid0(VALU_DEP_2)
	v_cmp_le_u32_e32 vcc_lo, s34, v15
	s_or_b32 s7, vcc_lo, s7
	s_wait_dscnt 0x0
	v_fmac_f64_e32 v[6:7], v[16:17], v[18:19]
	s_and_not1_b32 exec_lo, exec_lo, s7
	s_cbranch_execnz .LBB48_28
; %bb.29:                               ;   in Loop: Header=BB48_27 Depth=2
	s_or_b32 exec_lo, exec_lo, s7
	v_lshl_add_u32 v11, v10, 3, s38
	v_dual_add_nc_u32 v10, s19, v10 :: v_dual_add_nc_u32 v9, s37, v9
	v_add_nc_u32_e32 v8, s8, v8
	ds_store_b64 v11, v[6:7]
	v_cmp_le_u32_e32 vcc_lo, s34, v10
	s_or_b32 s1, vcc_lo, s1
	s_delay_alu instid0(SALU_CYCLE_1)
	s_and_not1_b32 exec_lo, exec_lo, s1
	s_cbranch_execnz .LBB48_27
	s_branch .LBB48_7
.LBB48_30:
	s_and_saveexec_b32 s0, s2
	s_cbranch_execz .LBB48_35
; %bb.31:
	v_add_nc_u32_e32 v3, 8, v2
	s_lshl_b32 s1, s18, 3
	s_add_co_i32 s0, s3, 1
	s_add_co_i32 s4, s1, 8
	s_mul_i32 s0, s0, s19
	v_mul_lo_u32 v3, s18, v3
	s_mov_b32 s2, 0
	s_mul_i32 s4, s4, s19
	s_delay_alu instid0(VALU_DEP_1)
	v_add3_u32 v2, v3, v2, 0
.LBB48_32:                              ; =>This Loop Header: Depth=1
                                        ;     Child Loop BB48_33 Depth 2
	s_delay_alu instid0(VALU_DEP_1)
	v_dual_mov_b32 v3, v2 :: v_dual_mov_b32 v4, v1
	v_mov_b32_e32 v5, v0
	s_mov_b32 s5, 0
.LBB48_33:                              ;   Parent Loop BB48_32 Depth=1
                                        ; =>  This Inner Loop Header: Depth=2
	ds_load_b64 v[6:7], v3
	v_dual_add_nc_u32 v5, 1, v5 :: v_dual_add_nc_u32 v3, s1, v3
	s_delay_alu instid0(VALU_DEP_1)
	v_cmp_le_i32_e32 vcc_lo, s18, v5
	s_or_b32 s5, vcc_lo, s5
	s_wait_dscnt 0x0
	global_store_b64 v4, v[6:7], s[10:11] scale_offset
	s_wait_xcnt 0x0
	v_add_nc_u32_e32 v4, s3, v4
	s_and_not1_b32 exec_lo, exec_lo, s5
	s_cbranch_execnz .LBB48_33
; %bb.34:                               ;   in Loop: Header=BB48_32 Depth=1
	s_or_b32 exec_lo, exec_lo, s5
	v_dual_add_nc_u32 v0, s19, v0 :: v_dual_add_nc_u32 v1, s0, v1
	v_add_nc_u32_e32 v2, s4, v2
	s_delay_alu instid0(VALU_DEP_2) | instskip(SKIP_1) | instid1(SALU_CYCLE_1)
	v_cmp_le_i32_e32 vcc_lo, s18, v0
	s_or_b32 s2, vcc_lo, s2
	s_and_not1_b32 exec_lo, exec_lo, s2
	s_cbranch_execnz .LBB48_32
.LBB48_35:
	s_endpgm
	.section	.rodata,"a",@progbits
	.p2align	6, 0x0
	.amdhsa_kernel _ZN9rocsolver6v33100L20larft_kernel_forwardIdPdEEv15rocblas_storev_iiT0_iilPT_lS6_il
		.amdhsa_group_segment_fixed_size 0
		.amdhsa_private_segment_fixed_size 0
		.amdhsa_kernarg_size 336
		.amdhsa_user_sgpr_count 2
		.amdhsa_user_sgpr_dispatch_ptr 0
		.amdhsa_user_sgpr_queue_ptr 0
		.amdhsa_user_sgpr_kernarg_segment_ptr 1
		.amdhsa_user_sgpr_dispatch_id 0
		.amdhsa_user_sgpr_kernarg_preload_length 0
		.amdhsa_user_sgpr_kernarg_preload_offset 0
		.amdhsa_user_sgpr_private_segment_size 0
		.amdhsa_wavefront_size32 1
		.amdhsa_uses_dynamic_stack 0
		.amdhsa_enable_private_segment 0
		.amdhsa_system_sgpr_workgroup_id_x 1
		.amdhsa_system_sgpr_workgroup_id_y 1
		.amdhsa_system_sgpr_workgroup_id_z 0
		.amdhsa_system_sgpr_workgroup_info 0
		.amdhsa_system_vgpr_workitem_id 0
		.amdhsa_next_free_vgpr 20
		.amdhsa_next_free_sgpr 44
		.amdhsa_named_barrier_count 0
		.amdhsa_reserve_vcc 1
		.amdhsa_float_round_mode_32 0
		.amdhsa_float_round_mode_16_64 0
		.amdhsa_float_denorm_mode_32 3
		.amdhsa_float_denorm_mode_16_64 3
		.amdhsa_fp16_overflow 0
		.amdhsa_memory_ordered 1
		.amdhsa_forward_progress 1
		.amdhsa_inst_pref_size 12
		.amdhsa_round_robin_scheduling 0
		.amdhsa_exception_fp_ieee_invalid_op 0
		.amdhsa_exception_fp_denorm_src 0
		.amdhsa_exception_fp_ieee_div_zero 0
		.amdhsa_exception_fp_ieee_overflow 0
		.amdhsa_exception_fp_ieee_underflow 0
		.amdhsa_exception_fp_ieee_inexact 0
		.amdhsa_exception_int_div_zero 0
	.end_amdhsa_kernel
	.section	.text._ZN9rocsolver6v33100L20larft_kernel_forwardIdPdEEv15rocblas_storev_iiT0_iilPT_lS6_il,"axG",@progbits,_ZN9rocsolver6v33100L20larft_kernel_forwardIdPdEEv15rocblas_storev_iiT0_iilPT_lS6_il,comdat
.Lfunc_end48:
	.size	_ZN9rocsolver6v33100L20larft_kernel_forwardIdPdEEv15rocblas_storev_iiT0_iilPT_lS6_il, .Lfunc_end48-_ZN9rocsolver6v33100L20larft_kernel_forwardIdPdEEv15rocblas_storev_iiT0_iilPT_lS6_il
                                        ; -- End function
	.set _ZN9rocsolver6v33100L20larft_kernel_forwardIdPdEEv15rocblas_storev_iiT0_iilPT_lS6_il.num_vgpr, 20
	.set _ZN9rocsolver6v33100L20larft_kernel_forwardIdPdEEv15rocblas_storev_iiT0_iilPT_lS6_il.num_agpr, 0
	.set _ZN9rocsolver6v33100L20larft_kernel_forwardIdPdEEv15rocblas_storev_iiT0_iilPT_lS6_il.numbered_sgpr, 44
	.set _ZN9rocsolver6v33100L20larft_kernel_forwardIdPdEEv15rocblas_storev_iiT0_iilPT_lS6_il.num_named_barrier, 0
	.set _ZN9rocsolver6v33100L20larft_kernel_forwardIdPdEEv15rocblas_storev_iiT0_iilPT_lS6_il.private_seg_size, 0
	.set _ZN9rocsolver6v33100L20larft_kernel_forwardIdPdEEv15rocblas_storev_iiT0_iilPT_lS6_il.uses_vcc, 1
	.set _ZN9rocsolver6v33100L20larft_kernel_forwardIdPdEEv15rocblas_storev_iiT0_iilPT_lS6_il.uses_flat_scratch, 0
	.set _ZN9rocsolver6v33100L20larft_kernel_forwardIdPdEEv15rocblas_storev_iiT0_iilPT_lS6_il.has_dyn_sized_stack, 0
	.set _ZN9rocsolver6v33100L20larft_kernel_forwardIdPdEEv15rocblas_storev_iiT0_iilPT_lS6_il.has_recursion, 0
	.set _ZN9rocsolver6v33100L20larft_kernel_forwardIdPdEEv15rocblas_storev_iiT0_iilPT_lS6_il.has_indirect_call, 0
	.section	.AMDGPU.csdata,"",@progbits
; Kernel info:
; codeLenInByte = 1480
; TotalNumSgprs: 46
; NumVgprs: 20
; ScratchSize: 0
; MemoryBound: 0
; FloatMode: 240
; IeeeMode: 1
; LDSByteSize: 0 bytes/workgroup (compile time only)
; SGPRBlocks: 0
; VGPRBlocks: 1
; NumSGPRsForWavesPerEU: 46
; NumVGPRsForWavesPerEU: 20
; NamedBarCnt: 0
; Occupancy: 16
; WaveLimiterHint : 0
; COMPUTE_PGM_RSRC2:SCRATCH_EN: 0
; COMPUTE_PGM_RSRC2:USER_SGPR: 2
; COMPUTE_PGM_RSRC2:TRAP_HANDLER: 0
; COMPUTE_PGM_RSRC2:TGID_X_EN: 1
; COMPUTE_PGM_RSRC2:TGID_Y_EN: 1
; COMPUTE_PGM_RSRC2:TGID_Z_EN: 0
; COMPUTE_PGM_RSRC2:TIDIG_COMP_CNT: 0
	.section	.text._ZN9rocsolver6v33100L21larft_kernel_backwardIdPdEEv15rocblas_storev_iiT0_iilPT_lS6_il,"axG",@progbits,_ZN9rocsolver6v33100L21larft_kernel_backwardIdPdEEv15rocblas_storev_iiT0_iilPT_lS6_il,comdat
	.globl	_ZN9rocsolver6v33100L21larft_kernel_backwardIdPdEEv15rocblas_storev_iiT0_iilPT_lS6_il ; -- Begin function _ZN9rocsolver6v33100L21larft_kernel_backwardIdPdEEv15rocblas_storev_iiT0_iilPT_lS6_il
	.p2align	8
	.type	_ZN9rocsolver6v33100L21larft_kernel_backwardIdPdEEv15rocblas_storev_iiT0_iilPT_lS6_il,@function
_ZN9rocsolver6v33100L21larft_kernel_backwardIdPdEEv15rocblas_storev_iiT0_iilPT_lS6_il: ; @_ZN9rocsolver6v33100L21larft_kernel_backwardIdPdEEv15rocblas_storev_iiT0_iilPT_lS6_il
; %bb.0:
	s_clause 0x4
	s_load_b32 s2, s[0:1], 0x5c
	s_load_b96 s[16:18], s[0:1], 0x0
	s_load_b64 s[12:13], s[0:1], 0x48
	s_load_b256 s[4:11], s[0:1], 0x20
	s_load_b32 s3, s[0:1], 0x40
	s_bfe_u32 s14, ttmp6, 0x40010
	s_bfe_u32 s15, ttmp6, 0x40004
	s_add_co_i32 s14, s14, 1
	s_getreg_b32 s20, hwreg(HW_REG_IB_STS2, 6, 4)
	s_mul_i32 s14, ttmp7, s14
	v_dual_add_nc_u32 v1, 1, v0 :: v_dual_lshlrev_b32 v2, 3, v0
	s_add_co_i32 s15, s15, s14
	s_wait_kmcnt 0x0
	s_and_b32 s19, s2, 0xffff
	s_cmp_eq_u32 s20, 0
	v_cmp_gt_i32_e64 s2, s18, v0
	s_cselect_b32 s20, ttmp7, s15
	s_delay_alu instid0(SALU_CYCLE_1) | instskip(NEXT) | instid1(SALU_CYCLE_1)
	s_ashr_i32 s21, s20, 31
	s_mul_u64 s[12:13], s[12:13], s[20:21]
	s_delay_alu instid0(SALU_CYCLE_1)
	s_lshl_b64 s[14:15], s[12:13], 3
	s_mov_b32 s12, 0
	s_add_nc_u64 s[10:11], s[10:11], s[14:15]
	s_and_saveexec_b32 s13, s2
	s_cbranch_execz .LBB49_5
; %bb.1:
	s_lshl_b32 s14, s18, 3
	v_dual_add_nc_u32 v3, 1, v0 :: v_dual_mov_b32 v5, v0
	v_add3_u32 v4, 0, s14, v2
	s_lshl_b32 s15, s19, 3
.LBB49_2:                               ; =>This Loop Header: Depth=1
                                        ;     Child Loop BB49_3 Depth 2
	s_delay_alu instid0(VALU_DEP_1)
	v_dual_mov_b32 v6, v5 :: v_dual_mov_b32 v7, v4
	s_mov_b32 s22, 0
	s_mov_b32 s23, 0
.LBB49_3:                               ;   Parent Loop BB49_2 Depth=1
                                        ; =>  This Inner Loop Header: Depth=2
	global_load_b64 v[8:9], v6, s[10:11] scale_offset
	s_add_co_i32 s23, s23, 1
	s_wait_xcnt 0x0
	v_add_nc_u32_e32 v6, s3, v6
	v_cmp_eq_u32_e32 vcc_lo, s23, v3
	s_or_b32 s22, vcc_lo, s22
	s_wait_loadcnt 0x0
	ds_store_b64 v7, v[8:9]
	v_add_nc_u32_e32 v7, s14, v7
	s_and_not1_b32 exec_lo, exec_lo, s22
	s_cbranch_execnz .LBB49_3
; %bb.4:                                ;   in Loop: Header=BB49_2 Depth=1
	s_or_b32 exec_lo, exec_lo, s22
	v_dual_add_nc_u32 v5, s19, v5 :: v_dual_add_nc_u32 v3, s19, v3
	v_add_nc_u32_e32 v4, s15, v4
	s_delay_alu instid0(VALU_DEP_2) | instskip(SKIP_1) | instid1(SALU_CYCLE_1)
	v_cmp_le_i32_e32 vcc_lo, s18, v5
	s_or_b32 s12, vcc_lo, s12
	s_and_not1_b32 exec_lo, exec_lo, s12
	s_cbranch_execnz .LBB49_2
.LBB49_5:
	s_or_b32 exec_lo, exec_lo, s13
	s_cmp_lt_i32 s18, 2
	s_wait_dscnt 0x0
	s_barrier_signal -1
	s_barrier_wait -1
	s_cbranch_scc1 .LBB49_30
; %bb.6:
	s_load_b128 s[12:15], s[0:1], 0x10
	s_wait_xcnt 0x0
	s_mul_u64 s[0:1], s[8:9], s[20:21]
	s_lshl_b32 s33, s18, 3
	s_lshl_b64 s[0:1], s[0:1], 3
	s_add_co_i32 s8, s18, -2
	s_sub_co_i32 s34, s17, s18
	s_add_co_i32 s35, s33, 0
	s_add_nc_u64 s[6:7], s[6:7], s[0:1]
	s_mov_b32 s9, 0
	s_mul_u64 s[20:21], s[4:5], s[20:21]
	v_mov_b32_e32 v3, 0
	s_mov_b32 s5, s9
	s_wait_kmcnt 0x0
	s_ashr_i32 s1, s14, 31
	s_mov_b32 s0, s14
	s_cmp_lg_u32 s16, 0xb5
	v_mul_lo_u32 v12, v0, s15
	s_cselect_b32 s14, -1, 0
	s_add_co_i32 s36, s17, -2
	s_lshl_b64 s[16:17], s[20:21], 3
	s_lshl_b64 s[0:1], s[0:1], 3
	;; [unrolled: 1-line block ×3, first 2 shown]
	s_add_nc_u64 s[0:1], s[16:17], s[0:1]
	s_add_nc_u64 s[16:17], s[12:13], s[20:21]
	s_add_co_i32 s24, s33, 8
	s_add_nc_u64 s[16:17], s[16:17], s[0:1]
	s_mov_b32 s22, s15
	v_add_nc_u64_e32 v[4:5], s[16:17], v[2:3]
	s_ashr_i32 s23, s15, 31
	s_mul_i32 s24, s18, s24
	s_lshl_b64 s[16:17], s[22:23], 3
	s_add_nc_u64 s[22:23], s[0:1], s[20:21]
	s_add_nc_u64 s[20:21], s[12:13], s[0:1]
	s_add_co_i32 s0, s24, 0
	v_add_nc_u64_e32 v[4:5], 8, v[4:5]
	v_add3_u32 v3, s0, v2, -8
	s_add_co_i32 s9, s18, -1
	s_lshl_b32 s4, s19, 3
	s_add_nc_u64 s[12:13], s[12:13], s[22:23]
	s_mul_i32 s22, s15, s9
	s_mul_i32 s9, s15, s19
	s_mul_i32 s24, s15, s8
	s_xor_b32 s37, s33, -8
	s_branch .LBB49_8
.LBB49_7:                               ;   in Loop: Header=BB49_8 Depth=1
	s_or_b32 exec_lo, exec_lo, s0
	v_add_nc_u64_e32 v[4:5], -8, v[4:5]
	v_add_nc_u32_e32 v3, s37, v3
	s_add_co_i32 s0, s8, -1
	s_add_co_i32 s36, s36, -1
	s_sub_co_i32 s22, s22, s15
	s_sub_co_i32 s24, s24, s15
	s_add_nc_u64 s[12:13], s[12:13], -8
	s_cmp_lt_i32 s8, 1
	s_mov_b32 s8, s0
	s_wait_dscnt 0x0
	s_barrier_signal -1
	s_barrier_wait -1
	s_cbranch_scc1 .LBB49_30
.LBB49_8:                               ; =>This Loop Header: Depth=1
                                        ;     Child Loop BB49_12 Depth 2
                                        ;       Child Loop BB49_14 Depth 3
                                        ;     Child Loop BB49_21 Depth 2
                                        ;       Child Loop BB49_23 Depth 3
	;; [unrolled: 2-line block ×3, first 2 shown]
	s_not_b32 s0, s8
	s_lshl_b32 s1, s8, 3
	s_add_co_i32 s38, s18, s0
	s_mul_i32 s0, s8, s18
	s_add_co_i32 s39, s35, s1
	s_lshl_b32 s0, s0, 3
	s_add_co_i32 s28, s8, s34
	s_add_co_i32 s39, s39, s0
	v_cmp_gt_i32_e64 s0, s38, v0
	s_and_b32 vcc_lo, exec_lo, s14
	s_mov_b32 s1, -1
	s_cbranch_vccz .LBB49_16
; %bb.9:                                ;   in Loop: Header=BB49_8 Depth=1
	s_and_saveexec_b32 s23, s0
	s_cbranch_execz .LBB49_15
; %bb.10:                               ;   in Loop: Header=BB49_8 Depth=1
	s_load_b64 s[0:1], s[6:7], s8 offset:0x0 scale_offset
	v_mov_b64_e32 v[6:7], v[4:5]
	v_mov_b32_e32 v10, v0
	s_cmp_gt_i32 s28, 0
	s_mov_b32 s29, 0
	s_cselect_b32 s25, -1, 0
	s_branch .LBB49_12
.LBB49_11:                              ;   in Loop: Header=BB49_12 Depth=2
	v_dual_lshlrev_b32 v11, 3, v10 :: v_dual_add_nc_u32 v10, s19, v10
	v_add_nc_u64_e32 v[6:7], s[4:5], v[6:7]
	s_delay_alu instid0(VALU_DEP_2) | instskip(NEXT) | instid1(VALU_DEP_3)
	v_add_nc_u32_e32 v13, s39, v11
	v_cmp_le_i32_e32 vcc_lo, s38, v10
	s_wait_xcnt 0x0
	ds_load_b64 v[14:15], v13 offset:8
	s_or_b32 s29, vcc_lo, s29
	s_wait_dscnt 0x0
	s_wait_kmcnt 0x0
	v_fmac_f64_e32 v[14:15], s[0:1], v[8:9]
	v_add_nc_u32_e32 v8, 0, v11
	ds_store_b64 v8, v[14:15]
	s_and_not1_b32 exec_lo, exec_lo, s29
	s_cbranch_execz .LBB49_15
.LBB49_12:                              ;   Parent Loop BB49_8 Depth=1
                                        ; =>  This Loop Header: Depth=2
                                        ;       Child Loop BB49_14 Depth 3
	v_mov_b64_e32 v[8:9], 0
	s_and_not1_b32 vcc_lo, exec_lo, s25
	s_cbranch_vccnz .LBB49_11
; %bb.13:                               ;   in Loop: Header=BB49_12 Depth=2
	s_mov_b32 s30, 0
	s_mov_b64 s[26:27], 0
.LBB49_14:                              ;   Parent Loop BB49_8 Depth=1
                                        ;     Parent Loop BB49_12 Depth=2
                                        ; =>    This Inner Loop Header: Depth=3
	s_wait_xcnt 0x0
	v_add_nc_u64_e32 v[14:15], s[26:27], v[6:7]
	s_add_nc_u64 s[40:41], s[12:13], s[26:27]
	s_add_co_i32 s30, s30, 1
	s_load_b64 s[40:41], s[40:41], 0x0
	s_cmp_eq_u32 s36, s30
	s_add_nc_u64 s[26:27], s[26:27], s[16:17]
	global_load_b64 v[14:15], v[14:15], off
	s_wait_loadcnt 0x0
	s_wait_kmcnt 0x0
	v_fmac_f64_e32 v[8:9], s[40:41], v[14:15]
	s_cbranch_scc0 .LBB49_14
	s_branch .LBB49_11
.LBB49_15:                              ;   in Loop: Header=BB49_8 Depth=1
	s_or_b32 exec_lo, exec_lo, s23
	s_mov_b32 s1, 0
.LBB49_16:                              ;   in Loop: Header=BB49_8 Depth=1
	s_delay_alu instid0(SALU_CYCLE_1)
	s_and_not1_b32 vcc_lo, exec_lo, s1
	s_cbranch_vccnz .LBB49_25
; %bb.17:                               ;   in Loop: Header=BB49_8 Depth=1
	s_mov_b32 s40, exec_lo
	v_cmpx_gt_i32_e64 s38, v0
	s_cbranch_execz .LBB49_24
; %bb.18:                               ;   in Loop: Header=BB49_8 Depth=1
	s_load_b64 s[0:1], s[6:7], s8 offset:0x0 scale_offset
	s_ashr_i32 s23, s22, 31
	s_ashr_i32 s25, s24, 31
	s_lshl_b64 s[30:31], s[22:23], 3
	s_lshl_b64 s[26:27], s[24:25], 3
	v_dual_mov_b32 v6, v12 :: v_dual_mov_b32 v13, v0
	s_cmp_gt_i32 s28, 0
	s_add_nc_u64 s[26:27], s[20:21], s[26:27]
	s_cselect_b32 s23, -1, 0
	s_mov_b32 s25, 0
	s_add_nc_u64 s[28:29], s[20:21], s[30:31]
	s_branch .LBB49_21
.LBB49_19:                              ;   in Loop: Header=BB49_21 Depth=2
	v_mov_b64_e32 v[8:9], 0
.LBB49_20:                              ;   in Loop: Header=BB49_21 Depth=2
	v_dual_lshlrev_b32 v7, 3, v13 :: v_dual_add_nc_u32 v13, s19, v13
	s_delay_alu instid0(VALU_DEP_1) | instskip(SKIP_1) | instid1(VALU_DEP_3)
	v_dual_add_nc_u32 v6, s9, v6 :: v_dual_add_nc_u32 v10, s39, v7
	v_add_nc_u32_e32 v7, 0, v7
	v_cmp_le_i32_e32 vcc_lo, s38, v13
	ds_load_b64 v[10:11], v10 offset:8
	s_or_b32 s25, vcc_lo, s25
	s_wait_dscnt 0x0
	s_wait_kmcnt 0x0
	v_fmac_f64_e32 v[10:11], s[0:1], v[8:9]
	ds_store_b64 v7, v[10:11]
	s_and_not1_b32 exec_lo, exec_lo, s25
	s_cbranch_execz .LBB49_24
.LBB49_21:                              ;   Parent Loop BB49_8 Depth=1
                                        ; =>  This Loop Header: Depth=2
                                        ;       Child Loop BB49_23 Depth 3
	s_and_not1_b32 vcc_lo, exec_lo, s23
	s_cbranch_vccnz .LBB49_19
; %bb.22:                               ;   in Loop: Header=BB49_21 Depth=2
	v_ashrrev_i32_e32 v7, 31, v6
	v_mov_b64_e32 v[8:9], 0
	s_mov_b32 s41, 0
	s_mov_b64 s[30:31], s[26:27]
	s_delay_alu instid0(VALU_DEP_2)
	v_lshl_add_u64 v[10:11], v[6:7], 3, s[28:29]
.LBB49_23:                              ;   Parent Loop BB49_8 Depth=1
                                        ;     Parent Loop BB49_21 Depth=2
                                        ; =>    This Inner Loop Header: Depth=3
	global_load_b64 v[14:15], v[10:11], off
	s_load_b64 s[42:43], s[30:31], 0x0
	v_add_nc_u64_e32 v[10:11], 8, v[10:11]
	s_add_co_i32 s41, s41, 1
	s_wait_xcnt 0x0
	s_add_nc_u64 s[30:31], s[30:31], 8
	s_cmp_eq_u32 s36, s41
	s_wait_loadcnt 0x0
	s_wait_kmcnt 0x0
	v_fmac_f64_e32 v[8:9], s[42:43], v[14:15]
	s_cbranch_scc0 .LBB49_23
	s_branch .LBB49_20
.LBB49_24:                              ;   in Loop: Header=BB49_8 Depth=1
	s_or_b32 exec_lo, exec_lo, s40
.LBB49_25:                              ;   in Loop: Header=BB49_8 Depth=1
	s_delay_alu instid0(SALU_CYCLE_1)
	s_mov_b32 s0, exec_lo
	s_wait_dscnt 0x0
	s_barrier_signal -1
	s_barrier_wait -1
	v_cmpx_gt_i32_e64 s38, v0
	s_cbranch_execz .LBB49_7
; %bb.26:                               ;   in Loop: Header=BB49_8 Depth=1
	v_dual_mov_b32 v8, v3 :: v_dual_mov_b32 v9, v0
	s_mov_b32 s1, 0
.LBB49_27:                              ;   Parent Loop BB49_8 Depth=1
                                        ; =>  This Loop Header: Depth=2
                                        ;       Child Loop BB49_28 Depth 3
	v_mov_b64_e32 v[6:7], 0
	s_delay_alu instid0(VALU_DEP_2)
	v_mov_b32_e32 v10, v8
	s_mov_b32 s25, -1
	s_mov_b32 s23, 0
	s_mov_b32 s26, 0
.LBB49_28:                              ;   Parent Loop BB49_8 Depth=1
                                        ;     Parent Loop BB49_27 Depth=2
                                        ; =>    This Inner Loop Header: Depth=3
	s_delay_alu instid0(SALU_CYCLE_1)
	v_mov_b32_e32 v11, s26
	s_add_co_i32 s25, s25, 1
	s_add_co_i32 s26, s26, 8
	v_cmp_eq_u32_e32 vcc_lo, s25, v9
	ds_load_b64 v[14:15], v10
	ds_load_b64 v[16:17], v11
	v_add_nc_u32_e32 v10, s33, v10
	s_or_b32 s23, vcc_lo, s23
	s_wait_dscnt 0x0
	v_fmac_f64_e32 v[6:7], v[14:15], v[16:17]
	s_and_not1_b32 exec_lo, exec_lo, s23
	s_cbranch_execnz .LBB49_28
; %bb.29:                               ;   in Loop: Header=BB49_27 Depth=2
	s_or_b32 exec_lo, exec_lo, s23
	v_lshl_add_u32 v10, v9, 3, s39
	v_dual_add_nc_u32 v9, s19, v9 :: v_dual_add_nc_u32 v8, s4, v8
	ds_store_b64 v10, v[6:7] offset:8
	v_cmp_le_i32_e32 vcc_lo, s38, v9
	s_or_b32 s1, vcc_lo, s1
	s_delay_alu instid0(SALU_CYCLE_1)
	s_and_not1_b32 exec_lo, exec_lo, s1
	s_cbranch_execnz .LBB49_27
	s_branch .LBB49_7
.LBB49_30:
	s_and_saveexec_b32 s0, s2
	s_cbranch_execz .LBB49_35
; %bb.31:
	s_lshl_b32 s0, s18, 3
	s_mov_b32 s1, 0
	v_add3_u32 v2, 0, s0, v2
	s_lshl_b32 s2, s19, 3
.LBB49_32:                              ; =>This Loop Header: Depth=1
                                        ;     Child Loop BB49_33 Depth 2
	s_delay_alu instid0(VALU_DEP_1)
	v_dual_mov_b32 v3, v2 :: v_dual_mov_b32 v4, v0
	s_mov_b32 s4, 0
	s_mov_b32 s5, 0
.LBB49_33:                              ;   Parent Loop BB49_32 Depth=1
                                        ; =>  This Inner Loop Header: Depth=2
	ds_load_b64 v[6:7], v3
	s_add_co_i32 s5, s5, 1
	v_add_nc_u32_e32 v3, s0, v3
	v_cmp_eq_u32_e32 vcc_lo, s5, v1
	s_or_b32 s4, vcc_lo, s4
	s_wait_dscnt 0x0
	global_store_b64 v4, v[6:7], s[10:11] scale_offset
	s_wait_xcnt 0x0
	v_add_nc_u32_e32 v4, s3, v4
	s_and_not1_b32 exec_lo, exec_lo, s4
	s_cbranch_execnz .LBB49_33
; %bb.34:                               ;   in Loop: Header=BB49_32 Depth=1
	s_or_b32 exec_lo, exec_lo, s4
	v_dual_add_nc_u32 v0, s19, v0 :: v_dual_add_nc_u32 v1, s19, v1
	v_add_nc_u32_e32 v2, s2, v2
	s_delay_alu instid0(VALU_DEP_2) | instskip(SKIP_1) | instid1(SALU_CYCLE_1)
	v_cmp_le_i32_e32 vcc_lo, s18, v0
	s_or_b32 s1, vcc_lo, s1
	s_and_not1_b32 exec_lo, exec_lo, s1
	s_cbranch_execnz .LBB49_32
.LBB49_35:
	s_endpgm
	.section	.rodata,"a",@progbits
	.p2align	6, 0x0
	.amdhsa_kernel _ZN9rocsolver6v33100L21larft_kernel_backwardIdPdEEv15rocblas_storev_iiT0_iilPT_lS6_il
		.amdhsa_group_segment_fixed_size 0
		.amdhsa_private_segment_fixed_size 0
		.amdhsa_kernarg_size 336
		.amdhsa_user_sgpr_count 2
		.amdhsa_user_sgpr_dispatch_ptr 0
		.amdhsa_user_sgpr_queue_ptr 0
		.amdhsa_user_sgpr_kernarg_segment_ptr 1
		.amdhsa_user_sgpr_dispatch_id 0
		.amdhsa_user_sgpr_kernarg_preload_length 0
		.amdhsa_user_sgpr_kernarg_preload_offset 0
		.amdhsa_user_sgpr_private_segment_size 0
		.amdhsa_wavefront_size32 1
		.amdhsa_uses_dynamic_stack 0
		.amdhsa_enable_private_segment 0
		.amdhsa_system_sgpr_workgroup_id_x 1
		.amdhsa_system_sgpr_workgroup_id_y 1
		.amdhsa_system_sgpr_workgroup_id_z 0
		.amdhsa_system_sgpr_workgroup_info 0
		.amdhsa_system_vgpr_workitem_id 0
		.amdhsa_next_free_vgpr 18
		.amdhsa_next_free_sgpr 44
		.amdhsa_named_barrier_count 0
		.amdhsa_reserve_vcc 1
		.amdhsa_float_round_mode_32 0
		.amdhsa_float_round_mode_16_64 0
		.amdhsa_float_denorm_mode_32 3
		.amdhsa_float_denorm_mode_16_64 3
		.amdhsa_fp16_overflow 0
		.amdhsa_memory_ordered 1
		.amdhsa_forward_progress 1
		.amdhsa_inst_pref_size 12
		.amdhsa_round_robin_scheduling 0
		.amdhsa_exception_fp_ieee_invalid_op 0
		.amdhsa_exception_fp_denorm_src 0
		.amdhsa_exception_fp_ieee_div_zero 0
		.amdhsa_exception_fp_ieee_overflow 0
		.amdhsa_exception_fp_ieee_underflow 0
		.amdhsa_exception_fp_ieee_inexact 0
		.amdhsa_exception_int_div_zero 0
	.end_amdhsa_kernel
	.section	.text._ZN9rocsolver6v33100L21larft_kernel_backwardIdPdEEv15rocblas_storev_iiT0_iilPT_lS6_il,"axG",@progbits,_ZN9rocsolver6v33100L21larft_kernel_backwardIdPdEEv15rocblas_storev_iiT0_iilPT_lS6_il,comdat
.Lfunc_end49:
	.size	_ZN9rocsolver6v33100L21larft_kernel_backwardIdPdEEv15rocblas_storev_iiT0_iilPT_lS6_il, .Lfunc_end49-_ZN9rocsolver6v33100L21larft_kernel_backwardIdPdEEv15rocblas_storev_iiT0_iilPT_lS6_il
                                        ; -- End function
	.set _ZN9rocsolver6v33100L21larft_kernel_backwardIdPdEEv15rocblas_storev_iiT0_iilPT_lS6_il.num_vgpr, 18
	.set _ZN9rocsolver6v33100L21larft_kernel_backwardIdPdEEv15rocblas_storev_iiT0_iilPT_lS6_il.num_agpr, 0
	.set _ZN9rocsolver6v33100L21larft_kernel_backwardIdPdEEv15rocblas_storev_iiT0_iilPT_lS6_il.numbered_sgpr, 44
	.set _ZN9rocsolver6v33100L21larft_kernel_backwardIdPdEEv15rocblas_storev_iiT0_iilPT_lS6_il.num_named_barrier, 0
	.set _ZN9rocsolver6v33100L21larft_kernel_backwardIdPdEEv15rocblas_storev_iiT0_iilPT_lS6_il.private_seg_size, 0
	.set _ZN9rocsolver6v33100L21larft_kernel_backwardIdPdEEv15rocblas_storev_iiT0_iilPT_lS6_il.uses_vcc, 1
	.set _ZN9rocsolver6v33100L21larft_kernel_backwardIdPdEEv15rocblas_storev_iiT0_iilPT_lS6_il.uses_flat_scratch, 0
	.set _ZN9rocsolver6v33100L21larft_kernel_backwardIdPdEEv15rocblas_storev_iiT0_iilPT_lS6_il.has_dyn_sized_stack, 0
	.set _ZN9rocsolver6v33100L21larft_kernel_backwardIdPdEEv15rocblas_storev_iiT0_iilPT_lS6_il.has_recursion, 0
	.set _ZN9rocsolver6v33100L21larft_kernel_backwardIdPdEEv15rocblas_storev_iiT0_iilPT_lS6_il.has_indirect_call, 0
	.section	.AMDGPU.csdata,"",@progbits
; Kernel info:
; codeLenInByte = 1428
; TotalNumSgprs: 46
; NumVgprs: 18
; ScratchSize: 0
; MemoryBound: 0
; FloatMode: 240
; IeeeMode: 1
; LDSByteSize: 0 bytes/workgroup (compile time only)
; SGPRBlocks: 0
; VGPRBlocks: 1
; NumSGPRsForWavesPerEU: 46
; NumVGPRsForWavesPerEU: 18
; NamedBarCnt: 0
; Occupancy: 16
; WaveLimiterHint : 0
; COMPUTE_PGM_RSRC2:SCRATCH_EN: 0
; COMPUTE_PGM_RSRC2:USER_SGPR: 2
; COMPUTE_PGM_RSRC2:TRAP_HANDLER: 0
; COMPUTE_PGM_RSRC2:TGID_X_EN: 1
; COMPUTE_PGM_RSRC2:TGID_Y_EN: 1
; COMPUTE_PGM_RSRC2:TGID_Z_EN: 0
; COMPUTE_PGM_RSRC2:TIDIG_COMP_CNT: 0
	.section	.text._ZN9rocsolver6v33100L9copymatA1IdPdEEviiT0_iilPT_,"axG",@progbits,_ZN9rocsolver6v33100L9copymatA1IdPdEEviiT0_iilPT_,comdat
	.globl	_ZN9rocsolver6v33100L9copymatA1IdPdEEviiT0_iilPT_ ; -- Begin function _ZN9rocsolver6v33100L9copymatA1IdPdEEviiT0_iilPT_
	.p2align	8
	.type	_ZN9rocsolver6v33100L9copymatA1IdPdEEviiT0_iilPT_,@function
_ZN9rocsolver6v33100L9copymatA1IdPdEEviiT0_iilPT_: ; @_ZN9rocsolver6v33100L9copymatA1IdPdEEviiT0_iilPT_
; %bb.0:
	s_clause 0x1
	s_load_b32 s2, s[0:1], 0x34
	s_load_b64 s[12:13], s[0:1], 0x0
	s_bfe_u32 s4, ttmp6, 0x40010
	s_bfe_u32 s7, ttmp6, 0x4000c
	s_and_b32 s3, ttmp7, 0xffff
	s_add_co_i32 s4, s4, 1
	s_add_co_i32 s7, s7, 1
	s_bfe_u32 s5, ttmp6, 0x40004
	s_and_b32 s6, ttmp6, 15
	s_mul_i32 s4, s3, s4
	s_mul_i32 s7, ttmp9, s7
	s_getreg_b32 s14, hwreg(HW_REG_IB_STS2, 6, 4)
	v_and_b32_e32 v1, 0x3ff, v0
	v_bfe_u32 v0, v0, 10, 10
	s_add_co_i32 s5, s5, s4
	s_add_co_i32 s6, s6, s7
	s_wait_kmcnt 0x0
	s_lshr_b32 s4, s2, 16
	s_and_b32 s2, s2, 0xffff
	s_cmp_eq_u32 s14, 0
	s_cselect_b32 s3, s3, s5
	s_cselect_b32 s5, ttmp9, s6
	v_mad_u32 v0, s3, s4, v0
	v_mad_u32 v1, s5, s2, v1
	s_mov_b32 s3, 0
	s_delay_alu instid0(VALU_DEP_2) | instskip(NEXT) | instid1(VALU_DEP_2)
	v_cmp_gt_u32_e32 vcc_lo, s12, v0
	v_cmp_gt_u32_e64 s2, s13, v1
	s_and_b32 s2, s2, vcc_lo
	s_delay_alu instid0(SALU_CYCLE_1)
	s_and_saveexec_b32 s4, s2
	s_cbranch_execz .LBB50_2
; %bb.1:
	s_load_b256 s[4:11], s[0:1], 0x8
	s_wait_xcnt 0x0
	s_bfe_u32 s0, ttmp6, 0x40014
	s_lshr_b32 s2, ttmp7, 16
	s_add_co_i32 s0, s0, 1
	s_bfe_u32 s16, ttmp6, 0x40008
	s_mul_i32 s0, s2, s0
	s_ashr_i32 s1, s12, 31
	s_ashr_i32 s15, s13, 31
	s_add_co_i32 s16, s16, s0
	s_cmp_eq_u32 s14, 0
	s_mov_b32 s0, s12
	s_cselect_b32 s2, s2, s16
	s_mov_b32 s14, s13
	s_mul_u64 s[0:1], s[0:1], s[2:3]
	s_delay_alu instid0(SALU_CYCLE_1) | instskip(NEXT) | instid1(SALU_CYCLE_1)
	s_mul_u64 s[0:1], s[0:1], s[14:15]
	s_lshl_b64 s[0:1], s[0:1], 3
	s_wait_kmcnt 0x0
	v_mad_u32 v2, v1, s7, v0
	s_mul_u64 s[8:9], s[8:9], s[2:3]
	s_ashr_i32 s7, s6, 31
	s_lshl_b64 s[8:9], s[8:9], 3
	s_lshl_b64 s[6:7], s[6:7], 3
	s_add_nc_u64 s[4:5], s[4:5], s[8:9]
	v_mad_u32 v0, v1, s12, v0
	s_add_nc_u64 s[4:5], s[4:5], s[6:7]
	s_add_nc_u64 s[0:1], s[10:11], s[0:1]
	global_load_b64 v[2:3], v2, s[4:5] scale_offset
	s_wait_loadcnt 0x0
	global_store_b64 v0, v[2:3], s[0:1] scale_offset
.LBB50_2:
	s_endpgm
	.section	.rodata,"a",@progbits
	.p2align	6, 0x0
	.amdhsa_kernel _ZN9rocsolver6v33100L9copymatA1IdPdEEviiT0_iilPT_
		.amdhsa_group_segment_fixed_size 0
		.amdhsa_private_segment_fixed_size 0
		.amdhsa_kernarg_size 296
		.amdhsa_user_sgpr_count 2
		.amdhsa_user_sgpr_dispatch_ptr 0
		.amdhsa_user_sgpr_queue_ptr 0
		.amdhsa_user_sgpr_kernarg_segment_ptr 1
		.amdhsa_user_sgpr_dispatch_id 0
		.amdhsa_user_sgpr_kernarg_preload_length 0
		.amdhsa_user_sgpr_kernarg_preload_offset 0
		.amdhsa_user_sgpr_private_segment_size 0
		.amdhsa_wavefront_size32 1
		.amdhsa_uses_dynamic_stack 0
		.amdhsa_enable_private_segment 0
		.amdhsa_system_sgpr_workgroup_id_x 1
		.amdhsa_system_sgpr_workgroup_id_y 1
		.amdhsa_system_sgpr_workgroup_id_z 1
		.amdhsa_system_sgpr_workgroup_info 0
		.amdhsa_system_vgpr_workitem_id 1
		.amdhsa_next_free_vgpr 4
		.amdhsa_next_free_sgpr 17
		.amdhsa_named_barrier_count 0
		.amdhsa_reserve_vcc 1
		.amdhsa_float_round_mode_32 0
		.amdhsa_float_round_mode_16_64 0
		.amdhsa_float_denorm_mode_32 3
		.amdhsa_float_denorm_mode_16_64 3
		.amdhsa_fp16_overflow 0
		.amdhsa_memory_ordered 1
		.amdhsa_forward_progress 1
		.amdhsa_inst_pref_size 3
		.amdhsa_round_robin_scheduling 0
		.amdhsa_exception_fp_ieee_invalid_op 0
		.amdhsa_exception_fp_denorm_src 0
		.amdhsa_exception_fp_ieee_div_zero 0
		.amdhsa_exception_fp_ieee_overflow 0
		.amdhsa_exception_fp_ieee_underflow 0
		.amdhsa_exception_fp_ieee_inexact 0
		.amdhsa_exception_int_div_zero 0
	.end_amdhsa_kernel
	.section	.text._ZN9rocsolver6v33100L9copymatA1IdPdEEviiT0_iilPT_,"axG",@progbits,_ZN9rocsolver6v33100L9copymatA1IdPdEEviiT0_iilPT_,comdat
.Lfunc_end50:
	.size	_ZN9rocsolver6v33100L9copymatA1IdPdEEviiT0_iilPT_, .Lfunc_end50-_ZN9rocsolver6v33100L9copymatA1IdPdEEviiT0_iilPT_
                                        ; -- End function
	.set _ZN9rocsolver6v33100L9copymatA1IdPdEEviiT0_iilPT_.num_vgpr, 4
	.set _ZN9rocsolver6v33100L9copymatA1IdPdEEviiT0_iilPT_.num_agpr, 0
	.set _ZN9rocsolver6v33100L9copymatA1IdPdEEviiT0_iilPT_.numbered_sgpr, 17
	.set _ZN9rocsolver6v33100L9copymatA1IdPdEEviiT0_iilPT_.num_named_barrier, 0
	.set _ZN9rocsolver6v33100L9copymatA1IdPdEEviiT0_iilPT_.private_seg_size, 0
	.set _ZN9rocsolver6v33100L9copymatA1IdPdEEviiT0_iilPT_.uses_vcc, 1
	.set _ZN9rocsolver6v33100L9copymatA1IdPdEEviiT0_iilPT_.uses_flat_scratch, 0
	.set _ZN9rocsolver6v33100L9copymatA1IdPdEEviiT0_iilPT_.has_dyn_sized_stack, 0
	.set _ZN9rocsolver6v33100L9copymatA1IdPdEEviiT0_iilPT_.has_recursion, 0
	.set _ZN9rocsolver6v33100L9copymatA1IdPdEEviiT0_iilPT_.has_indirect_call, 0
	.section	.AMDGPU.csdata,"",@progbits
; Kernel info:
; codeLenInByte = 344
; TotalNumSgprs: 19
; NumVgprs: 4
; ScratchSize: 0
; MemoryBound: 0
; FloatMode: 240
; IeeeMode: 1
; LDSByteSize: 0 bytes/workgroup (compile time only)
; SGPRBlocks: 0
; VGPRBlocks: 0
; NumSGPRsForWavesPerEU: 19
; NumVGPRsForWavesPerEU: 4
; NamedBarCnt: 0
; Occupancy: 16
; WaveLimiterHint : 0
; COMPUTE_PGM_RSRC2:SCRATCH_EN: 0
; COMPUTE_PGM_RSRC2:USER_SGPR: 2
; COMPUTE_PGM_RSRC2:TRAP_HANDLER: 0
; COMPUTE_PGM_RSRC2:TGID_X_EN: 1
; COMPUTE_PGM_RSRC2:TGID_Y_EN: 1
; COMPUTE_PGM_RSRC2:TGID_Z_EN: 1
; COMPUTE_PGM_RSRC2:TIDIG_COMP_CNT: 1
	.section	.text._ZN9rocsolver6v33100L8addmatA1IdPdEEviiT0_iilPT_,"axG",@progbits,_ZN9rocsolver6v33100L8addmatA1IdPdEEviiT0_iilPT_,comdat
	.globl	_ZN9rocsolver6v33100L8addmatA1IdPdEEviiT0_iilPT_ ; -- Begin function _ZN9rocsolver6v33100L8addmatA1IdPdEEviiT0_iilPT_
	.p2align	8
	.type	_ZN9rocsolver6v33100L8addmatA1IdPdEEviiT0_iilPT_,@function
_ZN9rocsolver6v33100L8addmatA1IdPdEEviiT0_iilPT_: ; @_ZN9rocsolver6v33100L8addmatA1IdPdEEviiT0_iilPT_
; %bb.0:
	s_clause 0x1
	s_load_b32 s2, s[0:1], 0x34
	s_load_b64 s[12:13], s[0:1], 0x0
	s_bfe_u32 s4, ttmp6, 0x40010
	s_bfe_u32 s7, ttmp6, 0x4000c
	s_and_b32 s3, ttmp7, 0xffff
	s_add_co_i32 s4, s4, 1
	s_add_co_i32 s7, s7, 1
	s_bfe_u32 s5, ttmp6, 0x40004
	s_and_b32 s6, ttmp6, 15
	s_mul_i32 s4, s3, s4
	s_mul_i32 s7, ttmp9, s7
	s_getreg_b32 s14, hwreg(HW_REG_IB_STS2, 6, 4)
	v_and_b32_e32 v1, 0x3ff, v0
	v_bfe_u32 v0, v0, 10, 10
	s_add_co_i32 s5, s5, s4
	s_add_co_i32 s6, s6, s7
	s_wait_kmcnt 0x0
	s_lshr_b32 s4, s2, 16
	s_and_b32 s2, s2, 0xffff
	s_cmp_eq_u32 s14, 0
	s_cselect_b32 s3, s3, s5
	s_cselect_b32 s5, ttmp9, s6
	v_mad_u32 v0, s3, s4, v0
	v_mad_u32 v1, s5, s2, v1
	s_mov_b32 s3, 0
	s_delay_alu instid0(VALU_DEP_2) | instskip(NEXT) | instid1(VALU_DEP_2)
	v_cmp_gt_u32_e32 vcc_lo, s12, v0
	v_cmp_gt_u32_e64 s2, s13, v1
	s_and_b32 s2, s2, vcc_lo
	s_delay_alu instid0(SALU_CYCLE_1)
	s_and_saveexec_b32 s4, s2
	s_cbranch_execz .LBB51_2
; %bb.1:
	s_load_b256 s[4:11], s[0:1], 0x8
	s_wait_xcnt 0x0
	s_bfe_u32 s0, ttmp6, 0x40014
	s_lshr_b32 s2, ttmp7, 16
	s_add_co_i32 s0, s0, 1
	s_bfe_u32 s16, ttmp6, 0x40008
	s_mul_i32 s0, s2, s0
	s_ashr_i32 s1, s12, 31
	s_ashr_i32 s15, s13, 31
	s_add_co_i32 s16, s16, s0
	s_cmp_eq_u32 s14, 0
	v_mad_u32 v4, v1, s12, v0
	s_mov_b32 s0, s12
	s_cselect_b32 s2, s2, s16
	s_mov_b32 s14, s13
	s_mul_u64 s[0:1], s[0:1], s[2:3]
	s_delay_alu instid0(SALU_CYCLE_1) | instskip(NEXT) | instid1(SALU_CYCLE_1)
	s_mul_u64 s[0:1], s[0:1], s[14:15]
	s_lshl_b64 s[0:1], s[0:1], 3
	s_wait_kmcnt 0x0
	v_mad_u32 v5, v1, s7, v0
	s_mul_u64 s[2:3], s[8:9], s[2:3]
	s_ashr_i32 s7, s6, 31
	s_lshl_b64 s[2:3], s[2:3], 3
	s_add_nc_u64 s[0:1], s[10:11], s[0:1]
	s_add_nc_u64 s[2:3], s[4:5], s[2:3]
	s_lshl_b64 s[4:5], s[6:7], 3
	s_delay_alu instid0(SALU_CYCLE_1)
	s_add_nc_u64 s[2:3], s[2:3], s[4:5]
	global_load_b64 v[0:1], v4, s[0:1] scale_offset
	global_load_b64 v[2:3], v5, s[2:3] scale_offset
	s_wait_loadcnt 0x0
	v_add_f64_e64 v[0:1], v[2:3], -v[0:1]
	global_store_b64 v5, v[0:1], s[2:3] scale_offset
.LBB51_2:
	s_endpgm
	.section	.rodata,"a",@progbits
	.p2align	6, 0x0
	.amdhsa_kernel _ZN9rocsolver6v33100L8addmatA1IdPdEEviiT0_iilPT_
		.amdhsa_group_segment_fixed_size 0
		.amdhsa_private_segment_fixed_size 0
		.amdhsa_kernarg_size 296
		.amdhsa_user_sgpr_count 2
		.amdhsa_user_sgpr_dispatch_ptr 0
		.amdhsa_user_sgpr_queue_ptr 0
		.amdhsa_user_sgpr_kernarg_segment_ptr 1
		.amdhsa_user_sgpr_dispatch_id 0
		.amdhsa_user_sgpr_kernarg_preload_length 0
		.amdhsa_user_sgpr_kernarg_preload_offset 0
		.amdhsa_user_sgpr_private_segment_size 0
		.amdhsa_wavefront_size32 1
		.amdhsa_uses_dynamic_stack 0
		.amdhsa_enable_private_segment 0
		.amdhsa_system_sgpr_workgroup_id_x 1
		.amdhsa_system_sgpr_workgroup_id_y 1
		.amdhsa_system_sgpr_workgroup_id_z 1
		.amdhsa_system_sgpr_workgroup_info 0
		.amdhsa_system_vgpr_workitem_id 1
		.amdhsa_next_free_vgpr 6
		.amdhsa_next_free_sgpr 17
		.amdhsa_named_barrier_count 0
		.amdhsa_reserve_vcc 1
		.amdhsa_float_round_mode_32 0
		.amdhsa_float_round_mode_16_64 0
		.amdhsa_float_denorm_mode_32 3
		.amdhsa_float_denorm_mode_16_64 3
		.amdhsa_fp16_overflow 0
		.amdhsa_memory_ordered 1
		.amdhsa_forward_progress 1
		.amdhsa_inst_pref_size 3
		.amdhsa_round_robin_scheduling 0
		.amdhsa_exception_fp_ieee_invalid_op 0
		.amdhsa_exception_fp_denorm_src 0
		.amdhsa_exception_fp_ieee_div_zero 0
		.amdhsa_exception_fp_ieee_overflow 0
		.amdhsa_exception_fp_ieee_underflow 0
		.amdhsa_exception_fp_ieee_inexact 0
		.amdhsa_exception_int_div_zero 0
	.end_amdhsa_kernel
	.section	.text._ZN9rocsolver6v33100L8addmatA1IdPdEEviiT0_iilPT_,"axG",@progbits,_ZN9rocsolver6v33100L8addmatA1IdPdEEviiT0_iilPT_,comdat
.Lfunc_end51:
	.size	_ZN9rocsolver6v33100L8addmatA1IdPdEEviiT0_iilPT_, .Lfunc_end51-_ZN9rocsolver6v33100L8addmatA1IdPdEEviiT0_iilPT_
                                        ; -- End function
	.set _ZN9rocsolver6v33100L8addmatA1IdPdEEviiT0_iilPT_.num_vgpr, 6
	.set _ZN9rocsolver6v33100L8addmatA1IdPdEEviiT0_iilPT_.num_agpr, 0
	.set _ZN9rocsolver6v33100L8addmatA1IdPdEEviiT0_iilPT_.numbered_sgpr, 17
	.set _ZN9rocsolver6v33100L8addmatA1IdPdEEviiT0_iilPT_.num_named_barrier, 0
	.set _ZN9rocsolver6v33100L8addmatA1IdPdEEviiT0_iilPT_.private_seg_size, 0
	.set _ZN9rocsolver6v33100L8addmatA1IdPdEEviiT0_iilPT_.uses_vcc, 1
	.set _ZN9rocsolver6v33100L8addmatA1IdPdEEviiT0_iilPT_.uses_flat_scratch, 0
	.set _ZN9rocsolver6v33100L8addmatA1IdPdEEviiT0_iilPT_.has_dyn_sized_stack, 0
	.set _ZN9rocsolver6v33100L8addmatA1IdPdEEviiT0_iilPT_.has_recursion, 0
	.set _ZN9rocsolver6v33100L8addmatA1IdPdEEviiT0_iilPT_.has_indirect_call, 0
	.section	.AMDGPU.csdata,"",@progbits
; Kernel info:
; codeLenInByte = 368
; TotalNumSgprs: 19
; NumVgprs: 6
; ScratchSize: 0
; MemoryBound: 0
; FloatMode: 240
; IeeeMode: 1
; LDSByteSize: 0 bytes/workgroup (compile time only)
; SGPRBlocks: 0
; VGPRBlocks: 0
; NumSGPRsForWavesPerEU: 19
; NumVGPRsForWavesPerEU: 6
; NamedBarCnt: 0
; Occupancy: 16
; WaveLimiterHint : 0
; COMPUTE_PGM_RSRC2:SCRATCH_EN: 0
; COMPUTE_PGM_RSRC2:USER_SGPR: 2
; COMPUTE_PGM_RSRC2:TRAP_HANDLER: 0
; COMPUTE_PGM_RSRC2:TGID_X_EN: 1
; COMPUTE_PGM_RSRC2:TGID_Y_EN: 1
; COMPUTE_PGM_RSRC2:TGID_Z_EN: 1
; COMPUTE_PGM_RSRC2:TIDIG_COMP_CNT: 1
	.section	.text._ZN9rocsolver6v33100L8set_zeroIdPdEEviiT0_iil13rocblas_fill_,"axG",@progbits,_ZN9rocsolver6v33100L8set_zeroIdPdEEviiT0_iil13rocblas_fill_,comdat
	.globl	_ZN9rocsolver6v33100L8set_zeroIdPdEEviiT0_iil13rocblas_fill_ ; -- Begin function _ZN9rocsolver6v33100L8set_zeroIdPdEEviiT0_iil13rocblas_fill_
	.p2align	8
	.type	_ZN9rocsolver6v33100L8set_zeroIdPdEEviiT0_iil13rocblas_fill_,@function
_ZN9rocsolver6v33100L8set_zeroIdPdEEviiT0_iil13rocblas_fill_: ; @_ZN9rocsolver6v33100L8set_zeroIdPdEEviiT0_iil13rocblas_fill_
; %bb.0:
	s_clause 0x1
	s_load_b32 s2, s[0:1], 0x34
	s_load_b64 s[4:5], s[0:1], 0x0
	s_bfe_u32 s7, ttmp6, 0x40010
	s_bfe_u32 s10, ttmp6, 0x4000c
	s_and_b32 s6, ttmp7, 0xffff
	s_add_co_i32 s7, s7, 1
	s_add_co_i32 s10, s10, 1
	s_bfe_u32 s8, ttmp6, 0x40004
	s_and_b32 s9, ttmp6, 15
	s_mul_i32 s7, s6, s7
	s_mul_i32 s10, ttmp9, s10
	s_getreg_b32 s3, hwreg(HW_REG_IB_STS2, 6, 4)
	v_and_b32_e32 v1, 0x3ff, v0
	v_bfe_u32 v2, v0, 10, 10
	s_add_co_i32 s8, s8, s7
	s_add_co_i32 s9, s9, s10
	s_wait_kmcnt 0x0
	s_lshr_b32 s7, s2, 16
	s_and_b32 s2, s2, 0xffff
	s_cmp_eq_u32 s3, 0
	s_cselect_b32 s9, ttmp9, s9
	s_cselect_b32 s6, s6, s8
	v_mad_u32 v0, s9, s2, v1
	v_mad_u32 v1, s6, s7, v2
	s_delay_alu instid0(VALU_DEP_2) | instskip(NEXT) | instid1(VALU_DEP_2)
	v_cmp_gt_u32_e32 vcc_lo, s4, v0
	v_cmp_gt_u32_e64 s2, s5, v1
	s_and_b32 s2, vcc_lo, s2
	s_delay_alu instid0(SALU_CYCLE_1)
	s_and_saveexec_b32 s4, s2
	s_cbranch_execz .LBB52_12
; %bb.1:
	s_load_b32 s4, s[0:1], 0x20
	s_wait_kmcnt 0x0
	s_cmp_lt_i32 s4, 0x7a
	s_cbranch_scc1 .LBB52_4
; %bb.2:
	s_cmp_gt_i32 s4, 0x7a
	s_cbranch_scc0 .LBB52_5
; %bb.3:
	s_cmp_eq_u32 s4, 0x7b
	s_cselect_b32 s2, -1, 0
	s_cbranch_execz .LBB52_6
	s_branch .LBB52_7
.LBB52_4:
	s_mov_b32 s2, 0
	s_cbranch_execnz .LBB52_8
	s_branch .LBB52_10
.LBB52_5:
	s_mov_b32 s2, 0
.LBB52_6:
	v_cmp_gt_u32_e32 vcc_lo, v1, v0
	s_and_not1_b32 s2, s2, exec_lo
	s_and_b32 s5, vcc_lo, exec_lo
	s_delay_alu instid0(SALU_CYCLE_1)
	s_or_b32 s2, s2, s5
.LBB52_7:
	s_branch .LBB52_10
.LBB52_8:
	s_cmp_eq_u32 s4, 0x79
	s_cbranch_scc0 .LBB52_10
; %bb.9:
	v_cmp_gt_u32_e32 vcc_lo, v0, v1
	s_and_not1_b32 s2, s2, exec_lo
	s_and_b32 s4, vcc_lo, exec_lo
	s_delay_alu instid0(SALU_CYCLE_1)
	s_or_b32 s2, s2, s4
.LBB52_10:
	s_delay_alu instid0(SALU_CYCLE_1)
	s_and_b32 exec_lo, exec_lo, s2
	s_cbranch_execz .LBB52_12
; %bb.11:
	s_clause 0x1
	s_load_b128 s[4:7], s[0:1], 0x8
	s_load_b64 s[8:9], s[0:1], 0x18
	s_wait_xcnt 0x0
	s_bfe_u32 s0, ttmp6, 0x40014
	s_lshr_b32 s2, ttmp7, 16
	s_add_co_i32 s0, s0, 1
	s_bfe_u32 s10, ttmp6, 0x40008
	s_mul_i32 s0, s2, s0
	s_mov_b32 s1, 0
	s_add_co_i32 s10, s10, s0
	s_wait_kmcnt 0x0
	s_ashr_i32 s11, s6, 31
	s_cmp_eq_u32 s3, 0
	v_mad_u32 v2, v1, s7, v0
	s_cselect_b32 s0, s2, s10
	v_mov_b64_e32 v[0:1], 0
	s_mul_u64 s[0:1], s[8:9], s[0:1]
	s_mov_b32 s10, s6
	s_lshl_b64 s[0:1], s[0:1], 3
	s_lshl_b64 s[2:3], s[10:11], 3
	s_add_nc_u64 s[0:1], s[4:5], s[0:1]
	s_delay_alu instid0(SALU_CYCLE_1)
	s_add_nc_u64 s[0:1], s[0:1], s[2:3]
	global_store_b64 v2, v[0:1], s[0:1] scale_offset
.LBB52_12:
	s_endpgm
	.section	.rodata,"a",@progbits
	.p2align	6, 0x0
	.amdhsa_kernel _ZN9rocsolver6v33100L8set_zeroIdPdEEviiT0_iil13rocblas_fill_
		.amdhsa_group_segment_fixed_size 0
		.amdhsa_private_segment_fixed_size 0
		.amdhsa_kernarg_size 296
		.amdhsa_user_sgpr_count 2
		.amdhsa_user_sgpr_dispatch_ptr 0
		.amdhsa_user_sgpr_queue_ptr 0
		.amdhsa_user_sgpr_kernarg_segment_ptr 1
		.amdhsa_user_sgpr_dispatch_id 0
		.amdhsa_user_sgpr_kernarg_preload_length 0
		.amdhsa_user_sgpr_kernarg_preload_offset 0
		.amdhsa_user_sgpr_private_segment_size 0
		.amdhsa_wavefront_size32 1
		.amdhsa_uses_dynamic_stack 0
		.amdhsa_enable_private_segment 0
		.amdhsa_system_sgpr_workgroup_id_x 1
		.amdhsa_system_sgpr_workgroup_id_y 1
		.amdhsa_system_sgpr_workgroup_id_z 1
		.amdhsa_system_sgpr_workgroup_info 0
		.amdhsa_system_vgpr_workitem_id 1
		.amdhsa_next_free_vgpr 3
		.amdhsa_next_free_sgpr 12
		.amdhsa_named_barrier_count 0
		.amdhsa_reserve_vcc 1
		.amdhsa_float_round_mode_32 0
		.amdhsa_float_round_mode_16_64 0
		.amdhsa_float_denorm_mode_32 3
		.amdhsa_float_denorm_mode_16_64 3
		.amdhsa_fp16_overflow 0
		.amdhsa_memory_ordered 1
		.amdhsa_forward_progress 1
		.amdhsa_inst_pref_size 4
		.amdhsa_round_robin_scheduling 0
		.amdhsa_exception_fp_ieee_invalid_op 0
		.amdhsa_exception_fp_denorm_src 0
		.amdhsa_exception_fp_ieee_div_zero 0
		.amdhsa_exception_fp_ieee_overflow 0
		.amdhsa_exception_fp_ieee_underflow 0
		.amdhsa_exception_fp_ieee_inexact 0
		.amdhsa_exception_int_div_zero 0
	.end_amdhsa_kernel
	.section	.text._ZN9rocsolver6v33100L8set_zeroIdPdEEviiT0_iil13rocblas_fill_,"axG",@progbits,_ZN9rocsolver6v33100L8set_zeroIdPdEEviiT0_iil13rocblas_fill_,comdat
.Lfunc_end52:
	.size	_ZN9rocsolver6v33100L8set_zeroIdPdEEviiT0_iil13rocblas_fill_, .Lfunc_end52-_ZN9rocsolver6v33100L8set_zeroIdPdEEviiT0_iil13rocblas_fill_
                                        ; -- End function
	.set _ZN9rocsolver6v33100L8set_zeroIdPdEEviiT0_iil13rocblas_fill_.num_vgpr, 3
	.set _ZN9rocsolver6v33100L8set_zeroIdPdEEviiT0_iil13rocblas_fill_.num_agpr, 0
	.set _ZN9rocsolver6v33100L8set_zeroIdPdEEviiT0_iil13rocblas_fill_.numbered_sgpr, 12
	.set _ZN9rocsolver6v33100L8set_zeroIdPdEEviiT0_iil13rocblas_fill_.num_named_barrier, 0
	.set _ZN9rocsolver6v33100L8set_zeroIdPdEEviiT0_iil13rocblas_fill_.private_seg_size, 0
	.set _ZN9rocsolver6v33100L8set_zeroIdPdEEviiT0_iil13rocblas_fill_.uses_vcc, 1
	.set _ZN9rocsolver6v33100L8set_zeroIdPdEEviiT0_iil13rocblas_fill_.uses_flat_scratch, 0
	.set _ZN9rocsolver6v33100L8set_zeroIdPdEEviiT0_iil13rocblas_fill_.has_dyn_sized_stack, 0
	.set _ZN9rocsolver6v33100L8set_zeroIdPdEEviiT0_iil13rocblas_fill_.has_recursion, 0
	.set _ZN9rocsolver6v33100L8set_zeroIdPdEEviiT0_iil13rocblas_fill_.has_indirect_call, 0
	.section	.AMDGPU.csdata,"",@progbits
; Kernel info:
; codeLenInByte = 448
; TotalNumSgprs: 14
; NumVgprs: 3
; ScratchSize: 0
; MemoryBound: 0
; FloatMode: 240
; IeeeMode: 1
; LDSByteSize: 0 bytes/workgroup (compile time only)
; SGPRBlocks: 0
; VGPRBlocks: 0
; NumSGPRsForWavesPerEU: 14
; NumVGPRsForWavesPerEU: 3
; NamedBarCnt: 0
; Occupancy: 16
; WaveLimiterHint : 0
; COMPUTE_PGM_RSRC2:SCRATCH_EN: 0
; COMPUTE_PGM_RSRC2:USER_SGPR: 2
; COMPUTE_PGM_RSRC2:TRAP_HANDLER: 0
; COMPUTE_PGM_RSRC2:TGID_X_EN: 1
; COMPUTE_PGM_RSRC2:TGID_Y_EN: 1
; COMPUTE_PGM_RSRC2:TGID_Z_EN: 1
; COMPUTE_PGM_RSRC2:TIDIG_COMP_CNT: 1
	.section	.text._ZN9rocsolver6v33100L16org2r_init_identIdPdEEviiiT0_iil,"axG",@progbits,_ZN9rocsolver6v33100L16org2r_init_identIdPdEEviiiT0_iil,comdat
	.globl	_ZN9rocsolver6v33100L16org2r_init_identIdPdEEviiiT0_iil ; -- Begin function _ZN9rocsolver6v33100L16org2r_init_identIdPdEEviiiT0_iil
	.p2align	8
	.type	_ZN9rocsolver6v33100L16org2r_init_identIdPdEEviiiT0_iil,@function
_ZN9rocsolver6v33100L16org2r_init_identIdPdEEviiiT0_iil: ; @_ZN9rocsolver6v33100L16org2r_init_identIdPdEEviiiT0_iil
; %bb.0:
	s_clause 0x1
	s_load_b32 s2, s[0:1], 0x34
	s_load_b96 s[4:6], s[0:1], 0x0
	s_bfe_u32 s8, ttmp6, 0x4000c
	s_bfe_u32 s10, ttmp6, 0x40010
	s_and_b32 s9, ttmp7, 0xffff
	s_add_co_i32 s8, s8, 1
	s_add_co_i32 s10, s10, 1
	s_and_b32 s3, ttmp6, 15
	s_bfe_u32 s11, ttmp6, 0x40004
	s_mul_i32 s8, ttmp9, s8
	s_mul_i32 s10, s9, s10
	s_getreg_b32 s7, hwreg(HW_REG_IB_STS2, 6, 4)
	v_bfe_u32 v1, v0, 10, 10
	v_and_b32_e32 v0, 0x3ff, v0
	s_add_co_i32 s3, s3, s8
	s_add_co_i32 s11, s11, s10
	s_wait_kmcnt 0x0
	s_lshr_b32 s8, s2, 16
	s_and_b32 s2, s2, 0xffff
	s_cmp_eq_u32 s7, 0
	s_cselect_b32 s3, ttmp9, s3
	s_cselect_b32 s9, s9, s11
	v_mad_u32 v0, s3, s2, v0
	v_mad_u32 v3, s9, s8, v1
	s_delay_alu instid0(VALU_DEP_2) | instskip(NEXT) | instid1(VALU_DEP_2)
	v_cmp_gt_u32_e32 vcc_lo, s4, v0
	v_cmp_gt_u32_e64 s2, s5, v3
	s_mov_b32 s5, 0
	s_and_b32 s2, vcc_lo, s2
	s_delay_alu instid0(SALU_CYCLE_1)
	s_and_saveexec_b32 s3, s2
	s_cbranch_execz .LBB53_5
; %bb.1:
	s_load_b64 s[2:3], s[0:1], 0x18
	s_mov_b32 s4, exec_lo
                                        ; implicit-def: $vgpr2
	v_cmpx_ne_u32_e64 v0, v3
	s_xor_b32 s4, exec_lo, s4
	s_cbranch_execnz .LBB53_6
; %bb.2:
	s_or_saveexec_b32 s4, s4
	v_mov_b64_e32 v[0:1], 0
	s_xor_b32 exec_lo, exec_lo, s4
	s_cbranch_execnz .LBB53_13
.LBB53_3:
	s_or_b32 exec_lo, exec_lo, s4
	s_delay_alu instid0(SALU_CYCLE_1)
	s_and_b32 exec_lo, exec_lo, s5
	s_cbranch_execz .LBB53_5
.LBB53_4:
	s_clause 0x1
	s_load_b64 s[4:5], s[0:1], 0x20
	s_load_b64 s[8:9], s[0:1], 0x10
	s_wait_xcnt 0x0
	s_bfe_u32 s0, ttmp6, 0x40014
	s_lshr_b32 s6, ttmp7, 16
	s_add_co_i32 s0, s0, 1
	s_bfe_u32 s1, ttmp6, 0x40008
	s_mul_i32 s0, s6, s0
	s_wait_kmcnt 0x0
	s_ashr_i32 s3, s2, 31
	s_add_co_i32 s0, s1, s0
	s_cmp_eq_u32 s7, 0
	s_mov_b32 s1, 0
	s_cselect_b32 s0, s6, s0
	s_lshl_b64 s[2:3], s[2:3], 3
	s_mul_u64 s[0:1], s[4:5], s[0:1]
	s_delay_alu instid0(SALU_CYCLE_1) | instskip(NEXT) | instid1(SALU_CYCLE_1)
	s_lshl_b64 s[0:1], s[0:1], 3
	s_add_nc_u64 s[0:1], s[8:9], s[0:1]
	s_delay_alu instid0(SALU_CYCLE_1)
	s_add_nc_u64 s[0:1], s[0:1], s[2:3]
	global_store_b64 v2, v[0:1], s[0:1] scale_offset
.LBB53_5:
	s_endpgm
.LBB53_6:
	s_mov_b32 s8, exec_lo
                                        ; implicit-def: $vgpr2
	v_cmpx_le_u32_e64 v3, v0
	s_xor_b32 s8, exec_lo, s8
	s_cbranch_execz .LBB53_10
; %bb.7:
	v_cmp_le_u32_e32 vcc_lo, s6, v3
                                        ; implicit-def: $vgpr2
	s_and_saveexec_b32 s6, vcc_lo
	s_delay_alu instid0(SALU_CYCLE_1)
	s_xor_b32 s6, exec_lo, s6
	s_cbranch_execz .LBB53_9
; %bb.8:
	s_wait_kmcnt 0x0
	v_mad_u32 v2, v3, s3, v0
	s_mov_b32 s5, exec_lo
.LBB53_9:
	s_or_b32 exec_lo, exec_lo, s6
	s_delay_alu instid0(SALU_CYCLE_1)
	s_and_b32 s5, s5, exec_lo
                                        ; implicit-def: $vgpr3
                                        ; implicit-def: $vgpr0
.LBB53_10:
	s_and_not1_saveexec_b32 s6, s8
	s_cbranch_execz .LBB53_12
; %bb.11:
	s_wait_kmcnt 0x0
	v_mad_u32 v2, v3, s3, v0
	s_or_b32 s5, s5, exec_lo
.LBB53_12:
	s_or_b32 exec_lo, exec_lo, s6
	s_delay_alu instid0(SALU_CYCLE_1)
	s_and_b32 s5, s5, exec_lo
                                        ; implicit-def: $vgpr3
	s_or_saveexec_b32 s4, s4
	v_mov_b64_e32 v[0:1], 0
	s_xor_b32 exec_lo, exec_lo, s4
	s_cbranch_execz .LBB53_3
.LBB53_13:
	s_wait_kmcnt 0x0
	v_mad_u32 v2, v3, s3, v3
	v_mov_b64_e32 v[0:1], 1.0
	s_or_b32 s5, s5, exec_lo
	s_or_b32 exec_lo, exec_lo, s4
	s_delay_alu instid0(SALU_CYCLE_1)
	s_and_b32 exec_lo, exec_lo, s5
	s_cbranch_execnz .LBB53_4
	s_branch .LBB53_5
	.section	.rodata,"a",@progbits
	.p2align	6, 0x0
	.amdhsa_kernel _ZN9rocsolver6v33100L16org2r_init_identIdPdEEviiiT0_iil
		.amdhsa_group_segment_fixed_size 0
		.amdhsa_private_segment_fixed_size 0
		.amdhsa_kernarg_size 296
		.amdhsa_user_sgpr_count 2
		.amdhsa_user_sgpr_dispatch_ptr 0
		.amdhsa_user_sgpr_queue_ptr 0
		.amdhsa_user_sgpr_kernarg_segment_ptr 1
		.amdhsa_user_sgpr_dispatch_id 0
		.amdhsa_user_sgpr_kernarg_preload_length 0
		.amdhsa_user_sgpr_kernarg_preload_offset 0
		.amdhsa_user_sgpr_private_segment_size 0
		.amdhsa_wavefront_size32 1
		.amdhsa_uses_dynamic_stack 0
		.amdhsa_enable_private_segment 0
		.amdhsa_system_sgpr_workgroup_id_x 1
		.amdhsa_system_sgpr_workgroup_id_y 1
		.amdhsa_system_sgpr_workgroup_id_z 1
		.amdhsa_system_sgpr_workgroup_info 0
		.amdhsa_system_vgpr_workitem_id 1
		.amdhsa_next_free_vgpr 4
		.amdhsa_next_free_sgpr 12
		.amdhsa_named_barrier_count 0
		.amdhsa_reserve_vcc 1
		.amdhsa_float_round_mode_32 0
		.amdhsa_float_round_mode_16_64 0
		.amdhsa_float_denorm_mode_32 3
		.amdhsa_float_denorm_mode_16_64 3
		.amdhsa_fp16_overflow 0
		.amdhsa_memory_ordered 1
		.amdhsa_forward_progress 1
		.amdhsa_inst_pref_size 5
		.amdhsa_round_robin_scheduling 0
		.amdhsa_exception_fp_ieee_invalid_op 0
		.amdhsa_exception_fp_denorm_src 0
		.amdhsa_exception_fp_ieee_div_zero 0
		.amdhsa_exception_fp_ieee_overflow 0
		.amdhsa_exception_fp_ieee_underflow 0
		.amdhsa_exception_fp_ieee_inexact 0
		.amdhsa_exception_int_div_zero 0
	.end_amdhsa_kernel
	.section	.text._ZN9rocsolver6v33100L16org2r_init_identIdPdEEviiiT0_iil,"axG",@progbits,_ZN9rocsolver6v33100L16org2r_init_identIdPdEEviiiT0_iil,comdat
.Lfunc_end53:
	.size	_ZN9rocsolver6v33100L16org2r_init_identIdPdEEviiiT0_iil, .Lfunc_end53-_ZN9rocsolver6v33100L16org2r_init_identIdPdEEviiiT0_iil
                                        ; -- End function
	.set _ZN9rocsolver6v33100L16org2r_init_identIdPdEEviiiT0_iil.num_vgpr, 4
	.set _ZN9rocsolver6v33100L16org2r_init_identIdPdEEviiiT0_iil.num_agpr, 0
	.set _ZN9rocsolver6v33100L16org2r_init_identIdPdEEviiiT0_iil.numbered_sgpr, 12
	.set _ZN9rocsolver6v33100L16org2r_init_identIdPdEEviiiT0_iil.num_named_barrier, 0
	.set _ZN9rocsolver6v33100L16org2r_init_identIdPdEEviiiT0_iil.private_seg_size, 0
	.set _ZN9rocsolver6v33100L16org2r_init_identIdPdEEviiiT0_iil.uses_vcc, 1
	.set _ZN9rocsolver6v33100L16org2r_init_identIdPdEEviiiT0_iil.uses_flat_scratch, 0
	.set _ZN9rocsolver6v33100L16org2r_init_identIdPdEEviiiT0_iil.has_dyn_sized_stack, 0
	.set _ZN9rocsolver6v33100L16org2r_init_identIdPdEEviiiT0_iil.has_recursion, 0
	.set _ZN9rocsolver6v33100L16org2r_init_identIdPdEEviiiT0_iil.has_indirect_call, 0
	.section	.AMDGPU.csdata,"",@progbits
; Kernel info:
; codeLenInByte = 520
; TotalNumSgprs: 14
; NumVgprs: 4
; ScratchSize: 0
; MemoryBound: 0
; FloatMode: 240
; IeeeMode: 1
; LDSByteSize: 0 bytes/workgroup (compile time only)
; SGPRBlocks: 0
; VGPRBlocks: 0
; NumSGPRsForWavesPerEU: 14
; NumVGPRsForWavesPerEU: 4
; NamedBarCnt: 0
; Occupancy: 16
; WaveLimiterHint : 0
; COMPUTE_PGM_RSRC2:SCRATCH_EN: 0
; COMPUTE_PGM_RSRC2:USER_SGPR: 2
; COMPUTE_PGM_RSRC2:TRAP_HANDLER: 0
; COMPUTE_PGM_RSRC2:TGID_X_EN: 1
; COMPUTE_PGM_RSRC2:TGID_Y_EN: 1
; COMPUTE_PGM_RSRC2:TGID_Z_EN: 1
; COMPUTE_PGM_RSRC2:TIDIG_COMP_CNT: 1
	.section	.text._ZN9rocsolver6v33100L12subtract_tauIdPdEEviiT0_iilPT_l,"axG",@progbits,_ZN9rocsolver6v33100L12subtract_tauIdPdEEviiT0_iilPT_l,comdat
	.globl	_ZN9rocsolver6v33100L12subtract_tauIdPdEEviiT0_iilPT_l ; -- Begin function _ZN9rocsolver6v33100L12subtract_tauIdPdEEviiT0_iilPT_l
	.p2align	8
	.type	_ZN9rocsolver6v33100L12subtract_tauIdPdEEviiT0_iilPT_l,@function
_ZN9rocsolver6v33100L12subtract_tauIdPdEEviiT0_iilPT_l: ; @_ZN9rocsolver6v33100L12subtract_tauIdPdEEviiT0_iilPT_l
; %bb.0:
	s_clause 0x2
	s_load_b64 s[2:3], s[0:1], 0x10
	s_load_b64 s[8:9], s[0:1], 0x28
	s_load_b128 s[4:7], s[0:1], 0x18
	s_bfe_u32 s10, ttmp6, 0x4000c
	s_and_b32 s11, ttmp6, 15
	s_add_co_i32 s10, s10, 1
	s_getreg_b32 s12, hwreg(HW_REG_IB_STS2, 6, 4)
	s_mul_i32 s10, ttmp9, s10
	s_mov_b32 s15, 0
	s_add_co_i32 s11, s11, s10
	s_wait_kmcnt 0x0
	s_ashr_i32 s13, s2, 31
	s_cmp_eq_u32 s12, 0
	s_mov_b32 s12, s2
	s_cselect_b32 s14, ttmp9, s11
	s_delay_alu instid0(SALU_CYCLE_1) | instskip(NEXT) | instid1(SALU_CYCLE_1)
	s_mul_u64 s[8:9], s[8:9], s[14:15]
	s_lshl_b64 s[8:9], s[8:9], 3
	s_delay_alu instid0(SALU_CYCLE_1)
	s_add_nc_u64 s[6:7], s[6:7], s[8:9]
	s_load_b64 s[16:17], s[6:7], 0x0
	s_load_b128 s[8:11], s[0:1], 0x0
	s_wait_xcnt 0x0
	s_mul_u64 s[0:1], s[4:5], s[14:15]
	v_mov_b32_e32 v4, 0
	s_lshl_b64 s[0:1], s[0:1], 3
	s_wait_kmcnt 0x0
	v_add_f64_e64 v[0:1], -s[16:17], 1.0
	s_mul_i32 s3, s3, s9
	s_xor_b32 s2, s17, 0x80000000
	s_add_co_i32 s3, s3, s8
	v_dual_mov_b32 v2, s16 :: v_dual_mov_b32 v3, s2
	v_mov_b32_e32 v5, s3
	s_add_nc_u64 s[0:1], s[10:11], s[0:1]
	s_lshl_b64 s[2:3], s[12:13], 3
	s_delay_alu instid0(SALU_CYCLE_1)
	s_add_nc_u64 s[0:1], s[0:1], s[2:3]
	global_store_b64 v4, v[2:3], s[6:7]
	global_store_b64 v5, v[0:1], s[0:1] scale_offset
	s_endpgm
	.section	.rodata,"a",@progbits
	.p2align	6, 0x0
	.amdhsa_kernel _ZN9rocsolver6v33100L12subtract_tauIdPdEEviiT0_iilPT_l
		.amdhsa_group_segment_fixed_size 0
		.amdhsa_private_segment_fixed_size 0
		.amdhsa_kernarg_size 48
		.amdhsa_user_sgpr_count 2
		.amdhsa_user_sgpr_dispatch_ptr 0
		.amdhsa_user_sgpr_queue_ptr 0
		.amdhsa_user_sgpr_kernarg_segment_ptr 1
		.amdhsa_user_sgpr_dispatch_id 0
		.amdhsa_user_sgpr_kernarg_preload_length 0
		.amdhsa_user_sgpr_kernarg_preload_offset 0
		.amdhsa_user_sgpr_private_segment_size 0
		.amdhsa_wavefront_size32 1
		.amdhsa_uses_dynamic_stack 0
		.amdhsa_enable_private_segment 0
		.amdhsa_system_sgpr_workgroup_id_x 1
		.amdhsa_system_sgpr_workgroup_id_y 0
		.amdhsa_system_sgpr_workgroup_id_z 0
		.amdhsa_system_sgpr_workgroup_info 0
		.amdhsa_system_vgpr_workitem_id 0
		.amdhsa_next_free_vgpr 6
		.amdhsa_next_free_sgpr 18
		.amdhsa_named_barrier_count 0
		.amdhsa_reserve_vcc 0
		.amdhsa_float_round_mode_32 0
		.amdhsa_float_round_mode_16_64 0
		.amdhsa_float_denorm_mode_32 3
		.amdhsa_float_denorm_mode_16_64 3
		.amdhsa_fp16_overflow 0
		.amdhsa_memory_ordered 1
		.amdhsa_forward_progress 1
		.amdhsa_inst_pref_size 2
		.amdhsa_round_robin_scheduling 0
		.amdhsa_exception_fp_ieee_invalid_op 0
		.amdhsa_exception_fp_denorm_src 0
		.amdhsa_exception_fp_ieee_div_zero 0
		.amdhsa_exception_fp_ieee_overflow 0
		.amdhsa_exception_fp_ieee_underflow 0
		.amdhsa_exception_fp_ieee_inexact 0
		.amdhsa_exception_int_div_zero 0
	.end_amdhsa_kernel
	.section	.text._ZN9rocsolver6v33100L12subtract_tauIdPdEEviiT0_iilPT_l,"axG",@progbits,_ZN9rocsolver6v33100L12subtract_tauIdPdEEviiT0_iilPT_l,comdat
.Lfunc_end54:
	.size	_ZN9rocsolver6v33100L12subtract_tauIdPdEEviiT0_iilPT_l, .Lfunc_end54-_ZN9rocsolver6v33100L12subtract_tauIdPdEEviiT0_iilPT_l
                                        ; -- End function
	.set _ZN9rocsolver6v33100L12subtract_tauIdPdEEviiT0_iilPT_l.num_vgpr, 6
	.set _ZN9rocsolver6v33100L12subtract_tauIdPdEEviiT0_iilPT_l.num_agpr, 0
	.set _ZN9rocsolver6v33100L12subtract_tauIdPdEEviiT0_iilPT_l.numbered_sgpr, 18
	.set _ZN9rocsolver6v33100L12subtract_tauIdPdEEviiT0_iilPT_l.num_named_barrier, 0
	.set _ZN9rocsolver6v33100L12subtract_tauIdPdEEviiT0_iilPT_l.private_seg_size, 0
	.set _ZN9rocsolver6v33100L12subtract_tauIdPdEEviiT0_iilPT_l.uses_vcc, 0
	.set _ZN9rocsolver6v33100L12subtract_tauIdPdEEviiT0_iilPT_l.uses_flat_scratch, 0
	.set _ZN9rocsolver6v33100L12subtract_tauIdPdEEviiT0_iilPT_l.has_dyn_sized_stack, 0
	.set _ZN9rocsolver6v33100L12subtract_tauIdPdEEviiT0_iilPT_l.has_recursion, 0
	.set _ZN9rocsolver6v33100L12subtract_tauIdPdEEviiT0_iilPT_l.has_indirect_call, 0
	.section	.AMDGPU.csdata,"",@progbits
; Kernel info:
; codeLenInByte = 216
; TotalNumSgprs: 18
; NumVgprs: 6
; ScratchSize: 0
; MemoryBound: 0
; FloatMode: 240
; IeeeMode: 1
; LDSByteSize: 0 bytes/workgroup (compile time only)
; SGPRBlocks: 0
; VGPRBlocks: 0
; NumSGPRsForWavesPerEU: 18
; NumVGPRsForWavesPerEU: 6
; NamedBarCnt: 0
; Occupancy: 16
; WaveLimiterHint : 0
; COMPUTE_PGM_RSRC2:SCRATCH_EN: 0
; COMPUTE_PGM_RSRC2:USER_SGPR: 2
; COMPUTE_PGM_RSRC2:TRAP_HANDLER: 0
; COMPUTE_PGM_RSRC2:TGID_X_EN: 1
; COMPUTE_PGM_RSRC2:TGID_Y_EN: 0
; COMPUTE_PGM_RSRC2:TGID_Z_EN: 0
; COMPUTE_PGM_RSRC2:TIDIG_COMP_CNT: 0
	.section	.text._ZN9rocsolver6v33100L6restauIdEEviPT_l,"axG",@progbits,_ZN9rocsolver6v33100L6restauIdEEviPT_l,comdat
	.globl	_ZN9rocsolver6v33100L6restauIdEEviPT_l ; -- Begin function _ZN9rocsolver6v33100L6restauIdEEviPT_l
	.p2align	8
	.type	_ZN9rocsolver6v33100L6restauIdEEviPT_l,@function
_ZN9rocsolver6v33100L6restauIdEEviPT_l: ; @_ZN9rocsolver6v33100L6restauIdEEviPT_l
; %bb.0:
	s_clause 0x1
	s_load_b32 s3, s[0:1], 0x24
	s_load_b32 s4, s[0:1], 0x0
	s_bfe_u32 s2, ttmp6, 0x4000c
	s_and_b32 s5, ttmp6, 15
	s_add_co_i32 s6, s2, 1
	s_getreg_b32 s2, hwreg(HW_REG_IB_STS2, 6, 4)
	s_mul_i32 s6, ttmp9, s6
	s_delay_alu instid0(SALU_CYCLE_1) | instskip(SKIP_4) | instid1(SALU_CYCLE_1)
	s_add_co_i32 s5, s5, s6
	s_wait_kmcnt 0x0
	s_and_b32 s3, s3, 0xffff
	s_cmp_eq_u32 s2, 0
	s_cselect_b32 s5, ttmp9, s5
	v_mad_u32 v0, s5, s3, v0
	s_mov_b32 s3, 0
	s_delay_alu instid0(VALU_DEP_1)
	v_cmp_gt_u32_e32 vcc_lo, s4, v0
	s_and_saveexec_b32 s4, vcc_lo
	s_cbranch_execz .LBB55_2
; %bb.1:
	s_load_b128 s[4:7], s[0:1], 0x8
	s_wait_xcnt 0x0
	s_bfe_u32 s0, ttmp6, 0x40010
	s_bfe_u32 s1, ttmp6, 0x40004
	s_add_co_i32 s0, s0, 1
	s_delay_alu instid0(SALU_CYCLE_1) | instskip(NEXT) | instid1(SALU_CYCLE_1)
	s_mul_i32 s0, ttmp7, s0
	s_add_co_i32 s1, s1, s0
	s_cmp_eq_u32 s2, 0
	s_cselect_b32 s2, ttmp7, s1
	s_wait_kmcnt 0x0
	s_mul_u64 s[0:1], s[6:7], s[2:3]
	s_delay_alu instid0(SALU_CYCLE_1) | instskip(NEXT) | instid1(SALU_CYCLE_1)
	s_lshl_b64 s[0:1], s[0:1], 3
	s_add_nc_u64 s[0:1], s[4:5], s[0:1]
	global_load_b64 v[2:3], v0, s[0:1] scale_offset
	s_wait_loadcnt 0x0
	v_xor_b32_e32 v3, 0x80000000, v3
	global_store_b64 v0, v[2:3], s[0:1] scale_offset
.LBB55_2:
	s_endpgm
	.section	.rodata,"a",@progbits
	.p2align	6, 0x0
	.amdhsa_kernel _ZN9rocsolver6v33100L6restauIdEEviPT_l
		.amdhsa_group_segment_fixed_size 0
		.amdhsa_private_segment_fixed_size 0
		.amdhsa_kernarg_size 280
		.amdhsa_user_sgpr_count 2
		.amdhsa_user_sgpr_dispatch_ptr 0
		.amdhsa_user_sgpr_queue_ptr 0
		.amdhsa_user_sgpr_kernarg_segment_ptr 1
		.amdhsa_user_sgpr_dispatch_id 0
		.amdhsa_user_sgpr_kernarg_preload_length 0
		.amdhsa_user_sgpr_kernarg_preload_offset 0
		.amdhsa_user_sgpr_private_segment_size 0
		.amdhsa_wavefront_size32 1
		.amdhsa_uses_dynamic_stack 0
		.amdhsa_enable_private_segment 0
		.amdhsa_system_sgpr_workgroup_id_x 1
		.amdhsa_system_sgpr_workgroup_id_y 1
		.amdhsa_system_sgpr_workgroup_id_z 0
		.amdhsa_system_sgpr_workgroup_info 0
		.amdhsa_system_vgpr_workitem_id 0
		.amdhsa_next_free_vgpr 4
		.amdhsa_next_free_sgpr 8
		.amdhsa_named_barrier_count 0
		.amdhsa_reserve_vcc 1
		.amdhsa_float_round_mode_32 0
		.amdhsa_float_round_mode_16_64 0
		.amdhsa_float_denorm_mode_32 3
		.amdhsa_float_denorm_mode_16_64 3
		.amdhsa_fp16_overflow 0
		.amdhsa_memory_ordered 1
		.amdhsa_forward_progress 1
		.amdhsa_inst_pref_size 2
		.amdhsa_round_robin_scheduling 0
		.amdhsa_exception_fp_ieee_invalid_op 0
		.amdhsa_exception_fp_denorm_src 0
		.amdhsa_exception_fp_ieee_div_zero 0
		.amdhsa_exception_fp_ieee_overflow 0
		.amdhsa_exception_fp_ieee_underflow 0
		.amdhsa_exception_fp_ieee_inexact 0
		.amdhsa_exception_int_div_zero 0
	.end_amdhsa_kernel
	.section	.text._ZN9rocsolver6v33100L6restauIdEEviPT_l,"axG",@progbits,_ZN9rocsolver6v33100L6restauIdEEviPT_l,comdat
.Lfunc_end55:
	.size	_ZN9rocsolver6v33100L6restauIdEEviPT_l, .Lfunc_end55-_ZN9rocsolver6v33100L6restauIdEEviPT_l
                                        ; -- End function
	.set _ZN9rocsolver6v33100L6restauIdEEviPT_l.num_vgpr, 4
	.set _ZN9rocsolver6v33100L6restauIdEEviPT_l.num_agpr, 0
	.set _ZN9rocsolver6v33100L6restauIdEEviPT_l.numbered_sgpr, 8
	.set _ZN9rocsolver6v33100L6restauIdEEviPT_l.num_named_barrier, 0
	.set _ZN9rocsolver6v33100L6restauIdEEviPT_l.private_seg_size, 0
	.set _ZN9rocsolver6v33100L6restauIdEEviPT_l.uses_vcc, 1
	.set _ZN9rocsolver6v33100L6restauIdEEviPT_l.uses_flat_scratch, 0
	.set _ZN9rocsolver6v33100L6restauIdEEviPT_l.has_dyn_sized_stack, 0
	.set _ZN9rocsolver6v33100L6restauIdEEviPT_l.has_recursion, 0
	.set _ZN9rocsolver6v33100L6restauIdEEviPT_l.has_indirect_call, 0
	.section	.AMDGPU.csdata,"",@progbits
; Kernel info:
; codeLenInByte = 212
; TotalNumSgprs: 10
; NumVgprs: 4
; ScratchSize: 0
; MemoryBound: 0
; FloatMode: 240
; IeeeMode: 1
; LDSByteSize: 0 bytes/workgroup (compile time only)
; SGPRBlocks: 0
; VGPRBlocks: 0
; NumSGPRsForWavesPerEU: 10
; NumVGPRsForWavesPerEU: 4
; NamedBarCnt: 0
; Occupancy: 16
; WaveLimiterHint : 0
; COMPUTE_PGM_RSRC2:SCRATCH_EN: 0
; COMPUTE_PGM_RSRC2:USER_SGPR: 2
; COMPUTE_PGM_RSRC2:TRAP_HANDLER: 0
; COMPUTE_PGM_RSRC2:TGID_X_EN: 1
; COMPUTE_PGM_RSRC2:TGID_Y_EN: 1
; COMPUTE_PGM_RSRC2:TGID_Z_EN: 0
; COMPUTE_PGM_RSRC2:TIDIG_COMP_CNT: 0
	.section	.text._ZN9rocsolver6v33100L15copyshift_rightIdPdEEvbiT0_iilPT_iil,"axG",@progbits,_ZN9rocsolver6v33100L15copyshift_rightIdPdEEvbiT0_iilPT_iil,comdat
	.globl	_ZN9rocsolver6v33100L15copyshift_rightIdPdEEvbiT0_iilPT_iil ; -- Begin function _ZN9rocsolver6v33100L15copyshift_rightIdPdEEvbiT0_iilPT_iil
	.p2align	8
	.type	_ZN9rocsolver6v33100L15copyshift_rightIdPdEEvbiT0_iilPT_iil,@function
_ZN9rocsolver6v33100L15copyshift_rightIdPdEEvbiT0_iilPT_iil: ; @_ZN9rocsolver6v33100L15copyshift_rightIdPdEEvbiT0_iilPT_iil
; %bb.0:
	s_clause 0x3
	s_load_b128 s[8:11], s[0:1], 0x0
	s_load_b32 s12, s[0:1], 0x44
	s_load_b64 s[2:3], s[0:1], 0x10
	s_load_b128 s[4:7], s[0:1], 0x18
	s_getreg_b32 s13, hwreg(HW_REG_IB_STS2, 6, 4)
	v_bfe_u32 v1, v0, 10, 10
	v_and_b32_e32 v0, 0x3ff, v0
	s_wait_kmcnt 0x0
	s_bitcmp1_b32 s8, 0
	s_cselect_b32 s8, -1, 0
	s_bfe_u32 s17, ttmp6, 0x40014
	s_bfe_u32 s20, ttmp6, 0x4000c
	s_bfe_u32 s22, ttmp6, 0x40010
	s_lshr_b32 s16, ttmp7, 16
	s_and_b32 s21, ttmp7, 0xffff
	s_add_co_i32 s17, s17, 1
	s_add_co_i32 s20, s20, 1
	;; [unrolled: 1-line block ×3, first 2 shown]
	s_bfe_u32 s18, ttmp6, 0x40008
	s_and_b32 s19, ttmp6, 15
	s_bfe_u32 s23, ttmp6, 0x40004
	s_mul_i32 s17, s16, s17
	s_mul_i32 s20, ttmp9, s20
	s_mul_i32 s22, s21, s22
	s_and_b32 s14, s12, 0xffff
	s_lshr_b32 s12, s12, 16
	s_ashr_i32 s15, s2, 31
	s_xor_b32 s8, s8, -1
	s_add_co_i32 s18, s18, s17
	s_add_co_i32 s19, s19, s20
	;; [unrolled: 1-line block ×3, first 2 shown]
	s_cmp_eq_u32 s13, 0
	s_cselect_b32 s13, s21, s23
	s_cselect_b32 s17, ttmp9, s19
	v_mad_u32 v3, s13, s12, v1
	v_mad_u32 v2, s17, s14, v0
	s_mov_b32 s13, 0
	s_cselect_b32 s12, s16, s18
	s_mov_b32 s14, s2
	s_mul_u64 s[4:5], s[4:5], s[12:13]
	s_delay_alu instid0(SALU_CYCLE_1) | instskip(NEXT) | instid1(SALU_CYCLE_1)
	s_lshl_b64 s[4:5], s[4:5], 3
	s_add_nc_u64 s[4:5], s[10:11], s[4:5]
	s_lshl_b64 s[10:11], s[14:15], 3
	s_delay_alu instid0(VALU_DEP_1) | instskip(SKIP_1) | instid1(VALU_DEP_1)
	v_or_b32_e32 v0, v2, v3
	s_add_nc_u64 s[4:5], s[4:5], s[10:11]
	v_cmp_eq_u32_e32 vcc_lo, 0, v0
	s_and_b32 s10, s8, vcc_lo
	s_delay_alu instid0(SALU_CYCLE_1)
	s_and_saveexec_b32 s2, s10
	s_cbranch_execz .LBB56_2
; %bb.1:
	v_mov_b64_e32 v[0:1], 1.0
	v_mov_b32_e32 v4, 0
	global_store_b64 v4, v[0:1], s[4:5]
.LBB56_2:
	s_wait_xcnt 0x0
	s_or_b32 exec_lo, exec_lo, s2
	v_max_u32_e32 v0, v3, v2
	v_cmp_le_u32_e64 s2, v3, v2
	s_delay_alu instid0(VALU_DEP_2) | instskip(SKIP_1) | instid1(SALU_CYCLE_1)
	v_cmp_gt_u32_e32 vcc_lo, s9, v0
	s_and_b32 s2, s2, vcc_lo
	s_and_saveexec_b32 s9, s2
	s_cbranch_execz .LBB56_13
; %bb.3:
	s_load_b128 s[16:19], s[0:1], 0x28
	v_mad_u32 v1, v3, v3, v3
	s_and_b32 vcc_lo, exec_lo, s8
	s_delay_alu instid0(VALU_DEP_1)
	v_lshrrev_b32_e32 v1, 1, v1
	s_wait_kmcnt 0x0
	v_mad_u32 v0, v3, s17, v2
	s_mul_u64 s[0:1], s[18:19], s[12:13]
	s_ashr_i32 s11, s16, 31
	s_lshl_b64 s[0:1], s[0:1], 3
	s_mov_b32 s10, s16
	s_add_nc_u64 s[0:1], s[6:7], s[0:1]
	s_lshl_b64 s[6:7], s[10:11], 3
	s_delay_alu instid0(SALU_CYCLE_1) | instskip(NEXT) | instid1(VALU_DEP_1)
	s_add_nc_u64 s[0:1], s[0:1], s[6:7]
	v_sub_nc_u32_e32 v4, v0, v1
	s_cbranch_vccz .LBB56_8
; %bb.4:
	v_sub_nc_u32_e32 v0, v0, v1
	s_mov_b32 s6, 0
	s_mov_b32 s2, 0
	s_mov_b32 s7, exec_lo
                                        ; implicit-def: $vgpr5
	global_load_b64 v[6:7], v0, s[0:1] scale_offset
	s_wait_xcnt 0x0
	v_mul_lo_u32 v0, v3, s3
	s_delay_alu instid0(VALU_DEP_1)
	v_add3_u32 v1, v2, v0, 1
	s_wait_loadcnt 0x0
	global_store_b64 v1, v[6:7], s[4:5] scale_offset
	s_wait_xcnt 0x0
	v_cmpx_eq_u32_e64 v2, v3
	s_xor_b32 s7, exec_lo, s7
; %bb.5:
	s_mov_b32 s2, exec_lo
	v_add_nc_u32_e32 v5, s3, v0
; %bb.6:
	s_or_b32 exec_lo, exec_lo, s7
	v_mov_b64_e32 v[0:1], 0
	s_and_b32 vcc_lo, exec_lo, s6
	s_cbranch_vccnz .LBB56_9
.LBB56_7:
	v_mov_b32_e32 v4, v5
	s_mov_b64 s[0:1], s[4:5]
	s_and_b32 exec_lo, exec_lo, s2
	s_cbranch_execnz .LBB56_12
	s_branch .LBB56_13
.LBB56_8:
	s_mov_b32 s2, 0
                                        ; implicit-def: $vgpr5
	v_mov_b64_e32 v[0:1], 0
	s_cbranch_execz .LBB56_7
.LBB56_9:
	v_mov_b64_e32 v[0:1], 0
	s_mov_b32 s2, exec_lo
	v_cmpx_ne_u32_e32 0, v3
	s_cbranch_execz .LBB56_11
; %bb.10:
	v_add_nc_u32_e32 v0, -1, v3
	s_delay_alu instid0(VALU_DEP_1) | instskip(NEXT) | instid1(VALU_DEP_1)
	v_mul_lo_u32 v0, v0, s3
	v_add3_u32 v0, v2, v0, 1
	global_load_b64 v[0:1], v0, s[4:5] scale_offset
.LBB56_11:
	s_wait_xcnt 0x0
	s_or_b32 exec_lo, exec_lo, s2
	s_mov_b32 s2, -1
	s_delay_alu instid0(SALU_CYCLE_1)
	s_and_b32 exec_lo, exec_lo, s2
	s_cbranch_execz .LBB56_13
.LBB56_12:
	s_wait_loadcnt 0x0
	global_store_b64 v4, v[0:1], s[0:1] scale_offset
.LBB56_13:
	s_endpgm
	.section	.rodata,"a",@progbits
	.p2align	6, 0x0
	.amdhsa_kernel _ZN9rocsolver6v33100L15copyshift_rightIdPdEEvbiT0_iilPT_iil
		.amdhsa_group_segment_fixed_size 0
		.amdhsa_private_segment_fixed_size 0
		.amdhsa_kernarg_size 312
		.amdhsa_user_sgpr_count 2
		.amdhsa_user_sgpr_dispatch_ptr 0
		.amdhsa_user_sgpr_queue_ptr 0
		.amdhsa_user_sgpr_kernarg_segment_ptr 1
		.amdhsa_user_sgpr_dispatch_id 0
		.amdhsa_user_sgpr_kernarg_preload_length 0
		.amdhsa_user_sgpr_kernarg_preload_offset 0
		.amdhsa_user_sgpr_private_segment_size 0
		.amdhsa_wavefront_size32 1
		.amdhsa_uses_dynamic_stack 0
		.amdhsa_enable_private_segment 0
		.amdhsa_system_sgpr_workgroup_id_x 1
		.amdhsa_system_sgpr_workgroup_id_y 1
		.amdhsa_system_sgpr_workgroup_id_z 1
		.amdhsa_system_sgpr_workgroup_info 0
		.amdhsa_system_vgpr_workitem_id 1
		.amdhsa_next_free_vgpr 8
		.amdhsa_next_free_sgpr 24
		.amdhsa_named_barrier_count 0
		.amdhsa_reserve_vcc 1
		.amdhsa_float_round_mode_32 0
		.amdhsa_float_round_mode_16_64 0
		.amdhsa_float_denorm_mode_32 3
		.amdhsa_float_denorm_mode_16_64 3
		.amdhsa_fp16_overflow 0
		.amdhsa_memory_ordered 1
		.amdhsa_forward_progress 1
		.amdhsa_inst_pref_size 6
		.amdhsa_round_robin_scheduling 0
		.amdhsa_exception_fp_ieee_invalid_op 0
		.amdhsa_exception_fp_denorm_src 0
		.amdhsa_exception_fp_ieee_div_zero 0
		.amdhsa_exception_fp_ieee_overflow 0
		.amdhsa_exception_fp_ieee_underflow 0
		.amdhsa_exception_fp_ieee_inexact 0
		.amdhsa_exception_int_div_zero 0
	.end_amdhsa_kernel
	.section	.text._ZN9rocsolver6v33100L15copyshift_rightIdPdEEvbiT0_iilPT_iil,"axG",@progbits,_ZN9rocsolver6v33100L15copyshift_rightIdPdEEvbiT0_iilPT_iil,comdat
.Lfunc_end56:
	.size	_ZN9rocsolver6v33100L15copyshift_rightIdPdEEvbiT0_iilPT_iil, .Lfunc_end56-_ZN9rocsolver6v33100L15copyshift_rightIdPdEEvbiT0_iilPT_iil
                                        ; -- End function
	.set _ZN9rocsolver6v33100L15copyshift_rightIdPdEEvbiT0_iilPT_iil.num_vgpr, 8
	.set _ZN9rocsolver6v33100L15copyshift_rightIdPdEEvbiT0_iilPT_iil.num_agpr, 0
	.set _ZN9rocsolver6v33100L15copyshift_rightIdPdEEvbiT0_iilPT_iil.numbered_sgpr, 24
	.set _ZN9rocsolver6v33100L15copyshift_rightIdPdEEvbiT0_iilPT_iil.num_named_barrier, 0
	.set _ZN9rocsolver6v33100L15copyshift_rightIdPdEEvbiT0_iilPT_iil.private_seg_size, 0
	.set _ZN9rocsolver6v33100L15copyshift_rightIdPdEEvbiT0_iilPT_iil.uses_vcc, 1
	.set _ZN9rocsolver6v33100L15copyshift_rightIdPdEEvbiT0_iilPT_iil.uses_flat_scratch, 0
	.set _ZN9rocsolver6v33100L15copyshift_rightIdPdEEvbiT0_iilPT_iil.has_dyn_sized_stack, 0
	.set _ZN9rocsolver6v33100L15copyshift_rightIdPdEEvbiT0_iilPT_iil.has_recursion, 0
	.set _ZN9rocsolver6v33100L15copyshift_rightIdPdEEvbiT0_iilPT_iil.has_indirect_call, 0
	.section	.AMDGPU.csdata,"",@progbits
; Kernel info:
; codeLenInByte = 648
; TotalNumSgprs: 26
; NumVgprs: 8
; ScratchSize: 0
; MemoryBound: 0
; FloatMode: 240
; IeeeMode: 1
; LDSByteSize: 0 bytes/workgroup (compile time only)
; SGPRBlocks: 0
; VGPRBlocks: 0
; NumSGPRsForWavesPerEU: 26
; NumVGPRsForWavesPerEU: 8
; NamedBarCnt: 0
; Occupancy: 16
; WaveLimiterHint : 0
; COMPUTE_PGM_RSRC2:SCRATCH_EN: 0
; COMPUTE_PGM_RSRC2:USER_SGPR: 2
; COMPUTE_PGM_RSRC2:TRAP_HANDLER: 0
; COMPUTE_PGM_RSRC2:TGID_X_EN: 1
; COMPUTE_PGM_RSRC2:TGID_Y_EN: 1
; COMPUTE_PGM_RSRC2:TGID_Z_EN: 1
; COMPUTE_PGM_RSRC2:TIDIG_COMP_CNT: 1
	.section	.text._ZN9rocsolver6v33100L16orgl2_init_identIdPdEEviiiT0_iil,"axG",@progbits,_ZN9rocsolver6v33100L16orgl2_init_identIdPdEEviiiT0_iil,comdat
	.globl	_ZN9rocsolver6v33100L16orgl2_init_identIdPdEEviiiT0_iil ; -- Begin function _ZN9rocsolver6v33100L16orgl2_init_identIdPdEEviiiT0_iil
	.p2align	8
	.type	_ZN9rocsolver6v33100L16orgl2_init_identIdPdEEviiiT0_iil,@function
_ZN9rocsolver6v33100L16orgl2_init_identIdPdEEviiiT0_iil: ; @_ZN9rocsolver6v33100L16orgl2_init_identIdPdEEviiiT0_iil
; %bb.0:
	s_clause 0x1
	s_load_b32 s2, s[0:1], 0x34
	s_load_b96 s[4:6], s[0:1], 0x0
	s_bfe_u32 s8, ttmp6, 0x4000c
	s_bfe_u32 s10, ttmp6, 0x40010
	s_and_b32 s9, ttmp7, 0xffff
	s_add_co_i32 s8, s8, 1
	s_add_co_i32 s10, s10, 1
	s_and_b32 s3, ttmp6, 15
	s_bfe_u32 s11, ttmp6, 0x40004
	s_mul_i32 s8, ttmp9, s8
	s_mul_i32 s10, s9, s10
	s_getreg_b32 s7, hwreg(HW_REG_IB_STS2, 6, 4)
	v_bfe_u32 v1, v0, 10, 10
	v_and_b32_e32 v0, 0x3ff, v0
	s_add_co_i32 s3, s3, s8
	s_add_co_i32 s11, s11, s10
	s_wait_kmcnt 0x0
	s_lshr_b32 s8, s2, 16
	s_and_b32 s2, s2, 0xffff
	s_cmp_eq_u32 s7, 0
	s_cselect_b32 s3, ttmp9, s3
	s_cselect_b32 s9, s9, s11
	v_mad_u32 v0, s3, s2, v0
	v_mad_u32 v3, s9, s8, v1
	s_delay_alu instid0(VALU_DEP_2) | instskip(NEXT) | instid1(VALU_DEP_2)
	v_cmp_gt_u32_e32 vcc_lo, s4, v0
	v_cmp_gt_u32_e64 s2, s5, v3
	s_mov_b32 s5, 0
	s_and_b32 s2, vcc_lo, s2
	s_delay_alu instid0(SALU_CYCLE_1)
	s_and_saveexec_b32 s3, s2
	s_cbranch_execz .LBB57_5
; %bb.1:
	s_load_b64 s[2:3], s[0:1], 0x18
	s_mov_b32 s4, exec_lo
                                        ; implicit-def: $vgpr2
	v_cmpx_ne_u32_e64 v0, v3
	s_xor_b32 s4, exec_lo, s4
	s_cbranch_execnz .LBB57_6
; %bb.2:
	s_or_saveexec_b32 s4, s4
	v_mov_b64_e32 v[0:1], 0
	s_xor_b32 exec_lo, exec_lo, s4
	s_cbranch_execnz .LBB57_13
.LBB57_3:
	s_or_b32 exec_lo, exec_lo, s4
	s_delay_alu instid0(SALU_CYCLE_1)
	s_and_b32 exec_lo, exec_lo, s5
	s_cbranch_execz .LBB57_5
.LBB57_4:
	s_clause 0x1
	s_load_b64 s[4:5], s[0:1], 0x20
	s_load_b64 s[8:9], s[0:1], 0x10
	s_wait_xcnt 0x0
	s_bfe_u32 s0, ttmp6, 0x40014
	s_lshr_b32 s6, ttmp7, 16
	s_add_co_i32 s0, s0, 1
	s_bfe_u32 s1, ttmp6, 0x40008
	s_mul_i32 s0, s6, s0
	s_wait_kmcnt 0x0
	s_ashr_i32 s3, s2, 31
	s_add_co_i32 s0, s1, s0
	s_cmp_eq_u32 s7, 0
	s_mov_b32 s1, 0
	s_cselect_b32 s0, s6, s0
	s_lshl_b64 s[2:3], s[2:3], 3
	s_mul_u64 s[0:1], s[4:5], s[0:1]
	s_delay_alu instid0(SALU_CYCLE_1) | instskip(NEXT) | instid1(SALU_CYCLE_1)
	s_lshl_b64 s[0:1], s[0:1], 3
	s_add_nc_u64 s[0:1], s[8:9], s[0:1]
	s_delay_alu instid0(SALU_CYCLE_1)
	s_add_nc_u64 s[0:1], s[0:1], s[2:3]
	global_store_b64 v2, v[0:1], s[0:1] scale_offset
.LBB57_5:
	s_endpgm
.LBB57_6:
	s_mov_b32 s8, exec_lo
                                        ; implicit-def: $vgpr2
	v_cmpx_ge_u32_e64 v3, v0
	s_xor_b32 s8, exec_lo, s8
	s_cbranch_execz .LBB57_10
; %bb.7:
	v_cmp_le_u32_e32 vcc_lo, s6, v0
                                        ; implicit-def: $vgpr2
	s_and_saveexec_b32 s6, vcc_lo
	s_delay_alu instid0(SALU_CYCLE_1)
	s_xor_b32 s6, exec_lo, s6
	s_cbranch_execz .LBB57_9
; %bb.8:
	s_wait_kmcnt 0x0
	v_mad_u32 v2, v3, s3, v0
	s_mov_b32 s5, exec_lo
.LBB57_9:
	s_or_b32 exec_lo, exec_lo, s6
	s_delay_alu instid0(SALU_CYCLE_1)
	s_and_b32 s5, s5, exec_lo
                                        ; implicit-def: $vgpr3
                                        ; implicit-def: $vgpr0
.LBB57_10:
	s_and_not1_saveexec_b32 s6, s8
	s_cbranch_execz .LBB57_12
; %bb.11:
	s_wait_kmcnt 0x0
	v_mad_u32 v2, v3, s3, v0
	s_or_b32 s5, s5, exec_lo
.LBB57_12:
	s_or_b32 exec_lo, exec_lo, s6
	s_delay_alu instid0(SALU_CYCLE_1)
	s_and_b32 s5, s5, exec_lo
                                        ; implicit-def: $vgpr3
	s_or_saveexec_b32 s4, s4
	v_mov_b64_e32 v[0:1], 0
	s_xor_b32 exec_lo, exec_lo, s4
	s_cbranch_execz .LBB57_3
.LBB57_13:
	s_wait_kmcnt 0x0
	v_mad_u32 v2, v3, s3, v3
	v_mov_b64_e32 v[0:1], 1.0
	s_or_b32 s5, s5, exec_lo
	s_or_b32 exec_lo, exec_lo, s4
	s_delay_alu instid0(SALU_CYCLE_1)
	s_and_b32 exec_lo, exec_lo, s5
	s_cbranch_execnz .LBB57_4
	s_branch .LBB57_5
	.section	.rodata,"a",@progbits
	.p2align	6, 0x0
	.amdhsa_kernel _ZN9rocsolver6v33100L16orgl2_init_identIdPdEEviiiT0_iil
		.amdhsa_group_segment_fixed_size 0
		.amdhsa_private_segment_fixed_size 0
		.amdhsa_kernarg_size 296
		.amdhsa_user_sgpr_count 2
		.amdhsa_user_sgpr_dispatch_ptr 0
		.amdhsa_user_sgpr_queue_ptr 0
		.amdhsa_user_sgpr_kernarg_segment_ptr 1
		.amdhsa_user_sgpr_dispatch_id 0
		.amdhsa_user_sgpr_kernarg_preload_length 0
		.amdhsa_user_sgpr_kernarg_preload_offset 0
		.amdhsa_user_sgpr_private_segment_size 0
		.amdhsa_wavefront_size32 1
		.amdhsa_uses_dynamic_stack 0
		.amdhsa_enable_private_segment 0
		.amdhsa_system_sgpr_workgroup_id_x 1
		.amdhsa_system_sgpr_workgroup_id_y 1
		.amdhsa_system_sgpr_workgroup_id_z 1
		.amdhsa_system_sgpr_workgroup_info 0
		.amdhsa_system_vgpr_workitem_id 1
		.amdhsa_next_free_vgpr 4
		.amdhsa_next_free_sgpr 12
		.amdhsa_named_barrier_count 0
		.amdhsa_reserve_vcc 1
		.amdhsa_float_round_mode_32 0
		.amdhsa_float_round_mode_16_64 0
		.amdhsa_float_denorm_mode_32 3
		.amdhsa_float_denorm_mode_16_64 3
		.amdhsa_fp16_overflow 0
		.amdhsa_memory_ordered 1
		.amdhsa_forward_progress 1
		.amdhsa_inst_pref_size 5
		.amdhsa_round_robin_scheduling 0
		.amdhsa_exception_fp_ieee_invalid_op 0
		.amdhsa_exception_fp_denorm_src 0
		.amdhsa_exception_fp_ieee_div_zero 0
		.amdhsa_exception_fp_ieee_overflow 0
		.amdhsa_exception_fp_ieee_underflow 0
		.amdhsa_exception_fp_ieee_inexact 0
		.amdhsa_exception_int_div_zero 0
	.end_amdhsa_kernel
	.section	.text._ZN9rocsolver6v33100L16orgl2_init_identIdPdEEviiiT0_iil,"axG",@progbits,_ZN9rocsolver6v33100L16orgl2_init_identIdPdEEviiiT0_iil,comdat
.Lfunc_end57:
	.size	_ZN9rocsolver6v33100L16orgl2_init_identIdPdEEviiiT0_iil, .Lfunc_end57-_ZN9rocsolver6v33100L16orgl2_init_identIdPdEEviiiT0_iil
                                        ; -- End function
	.set _ZN9rocsolver6v33100L16orgl2_init_identIdPdEEviiiT0_iil.num_vgpr, 4
	.set _ZN9rocsolver6v33100L16orgl2_init_identIdPdEEviiiT0_iil.num_agpr, 0
	.set _ZN9rocsolver6v33100L16orgl2_init_identIdPdEEviiiT0_iil.numbered_sgpr, 12
	.set _ZN9rocsolver6v33100L16orgl2_init_identIdPdEEviiiT0_iil.num_named_barrier, 0
	.set _ZN9rocsolver6v33100L16orgl2_init_identIdPdEEviiiT0_iil.private_seg_size, 0
	.set _ZN9rocsolver6v33100L16orgl2_init_identIdPdEEviiiT0_iil.uses_vcc, 1
	.set _ZN9rocsolver6v33100L16orgl2_init_identIdPdEEviiiT0_iil.uses_flat_scratch, 0
	.set _ZN9rocsolver6v33100L16orgl2_init_identIdPdEEviiiT0_iil.has_dyn_sized_stack, 0
	.set _ZN9rocsolver6v33100L16orgl2_init_identIdPdEEviiiT0_iil.has_recursion, 0
	.set _ZN9rocsolver6v33100L16orgl2_init_identIdPdEEviiiT0_iil.has_indirect_call, 0
	.section	.AMDGPU.csdata,"",@progbits
; Kernel info:
; codeLenInByte = 520
; TotalNumSgprs: 14
; NumVgprs: 4
; ScratchSize: 0
; MemoryBound: 0
; FloatMode: 240
; IeeeMode: 1
; LDSByteSize: 0 bytes/workgroup (compile time only)
; SGPRBlocks: 0
; VGPRBlocks: 0
; NumSGPRsForWavesPerEU: 14
; NumVGPRsForWavesPerEU: 4
; NamedBarCnt: 0
; Occupancy: 16
; WaveLimiterHint : 0
; COMPUTE_PGM_RSRC2:SCRATCH_EN: 0
; COMPUTE_PGM_RSRC2:USER_SGPR: 2
; COMPUTE_PGM_RSRC2:TRAP_HANDLER: 0
; COMPUTE_PGM_RSRC2:TGID_X_EN: 1
; COMPUTE_PGM_RSRC2:TGID_Y_EN: 1
; COMPUTE_PGM_RSRC2:TGID_Z_EN: 1
; COMPUTE_PGM_RSRC2:TIDIG_COMP_CNT: 1
	.section	.text._ZN9rocsolver6v33100L14copyshift_downIdPdEEvbiT0_iilPT_iil,"axG",@progbits,_ZN9rocsolver6v33100L14copyshift_downIdPdEEvbiT0_iilPT_iil,comdat
	.globl	_ZN9rocsolver6v33100L14copyshift_downIdPdEEvbiT0_iilPT_iil ; -- Begin function _ZN9rocsolver6v33100L14copyshift_downIdPdEEvbiT0_iilPT_iil
	.p2align	8
	.type	_ZN9rocsolver6v33100L14copyshift_downIdPdEEvbiT0_iilPT_iil,@function
_ZN9rocsolver6v33100L14copyshift_downIdPdEEvbiT0_iilPT_iil: ; @_ZN9rocsolver6v33100L14copyshift_downIdPdEEvbiT0_iilPT_iil
; %bb.0:
	s_clause 0x3
	s_load_b128 s[8:11], s[0:1], 0x0
	s_load_b32 s12, s[0:1], 0x44
	s_load_b64 s[2:3], s[0:1], 0x10
	s_load_b128 s[4:7], s[0:1], 0x18
	s_getreg_b32 s13, hwreg(HW_REG_IB_STS2, 6, 4)
	v_and_b32_e32 v1, 0x3ff, v0
	v_bfe_u32 v0, v0, 10, 10
	s_wait_kmcnt 0x0
	s_bitcmp1_b32 s8, 0
	s_cselect_b32 s8, -1, 0
	s_bfe_u32 s17, ttmp6, 0x40014
	s_bfe_u32 s20, ttmp6, 0x40010
	;; [unrolled: 1-line block ×3, first 2 shown]
	s_lshr_b32 s16, ttmp7, 16
	s_and_b32 s19, ttmp7, 0xffff
	s_add_co_i32 s17, s17, 1
	s_add_co_i32 s20, s20, 1
	;; [unrolled: 1-line block ×3, first 2 shown]
	s_bfe_u32 s18, ttmp6, 0x40008
	s_bfe_u32 s21, ttmp6, 0x40004
	s_and_b32 s22, ttmp6, 15
	s_mul_i32 s17, s16, s17
	s_mul_i32 s20, s19, s20
	s_mul_i32 s23, ttmp9, s23
	s_lshr_b32 s14, s12, 16
	s_and_b32 s12, s12, 0xffff
	s_ashr_i32 s15, s2, 31
	s_xor_b32 s8, s8, -1
	s_add_co_i32 s18, s18, s17
	s_add_co_i32 s21, s21, s20
	;; [unrolled: 1-line block ×3, first 2 shown]
	s_cmp_eq_u32 s13, 0
	s_cselect_b32 s13, ttmp9, s22
	s_cselect_b32 s17, s19, s21
	v_mad_u32 v2, s13, s12, v1
	v_mad_u32 v0, s17, s14, v0
	s_mov_b32 s13, 0
	s_cselect_b32 s12, s16, s18
	s_mov_b32 s14, s2
	s_mul_u64 s[4:5], s[4:5], s[12:13]
	s_delay_alu instid0(SALU_CYCLE_1) | instskip(NEXT) | instid1(SALU_CYCLE_1)
	s_lshl_b64 s[4:5], s[4:5], 3
	s_add_nc_u64 s[4:5], s[10:11], s[4:5]
	s_lshl_b64 s[10:11], s[14:15], 3
	s_delay_alu instid0(VALU_DEP_1) | instskip(SKIP_1) | instid1(VALU_DEP_1)
	v_or_b32_e32 v1, v2, v0
	s_add_nc_u64 s[4:5], s[4:5], s[10:11]
	v_cmp_eq_u32_e32 vcc_lo, 0, v1
	s_and_b32 s10, s8, vcc_lo
	s_delay_alu instid0(SALU_CYCLE_1)
	s_and_saveexec_b32 s2, s10
	s_cbranch_execz .LBB58_2
; %bb.1:
	v_mov_b64_e32 v[4:5], 1.0
	v_mov_b32_e32 v1, 0
	global_store_b64 v1, v[4:5], s[4:5]
.LBB58_2:
	s_wait_xcnt 0x0
	s_or_b32 exec_lo, exec_lo, s2
	v_max_u32_e32 v1, v0, v2
	v_cmp_le_u32_e64 s2, v2, v0
	s_delay_alu instid0(VALU_DEP_2) | instskip(SKIP_1) | instid1(SALU_CYCLE_1)
	v_cmp_gt_u32_e32 vcc_lo, s9, v1
	s_and_b32 s2, s2, vcc_lo
	s_and_saveexec_b32 s9, s2
	s_cbranch_execz .LBB58_11
; %bb.3:
	s_clause 0x1
	s_load_b64 s[10:11], s[0:1], 0x30
	s_load_b32 s14, s[0:1], 0x28
	v_add_nc_u32_e32 v4, 1, v0
	s_and_b32 vcc_lo, exec_lo, s8
	s_delay_alu instid0(VALU_DEP_1) | instskip(NEXT) | instid1(VALU_DEP_1)
	v_mul_lo_u32 v1, v4, v0
	v_lshrrev_b32_e32 v1, 1, v1
	s_wait_kmcnt 0x0
	s_mul_u64 s[0:1], s[10:11], s[12:13]
	s_ashr_i32 s15, s14, 31
	s_lshl_b64 s[0:1], s[0:1], 3
	v_add_nc_u32_e32 v3, v2, v1
	s_lshl_b64 s[8:9], s[14:15], 3
	s_add_nc_u64 s[0:1], s[6:7], s[0:1]
	s_delay_alu instid0(SALU_CYCLE_1)
	s_add_nc_u64 s[0:1], s[0:1], s[8:9]
	s_cbranch_vccz .LBB58_6
; %bb.4:
	v_add_nc_u32_e32 v1, v2, v1
	v_cmp_eq_u32_e32 vcc_lo, v2, v0
	global_load_b64 v[6:7], v1, s[0:1] scale_offset
	s_wait_xcnt 0x0
	v_mad_u32 v1, v4, s3, v2
	s_and_b32 s2, vcc_lo, exec_lo
	s_wait_loadcnt 0x0
	global_store_b64 v1, v[6:7], s[4:5] scale_offset
	s_wait_xcnt 0x0
	v_mov_b64_e32 v[0:1], 0
	s_cbranch_execz .LBB58_7
; %bb.5:
	v_mov_b32_e32 v3, v4
	s_mov_b64 s[0:1], s[4:5]
	s_and_b32 exec_lo, exec_lo, s2
	s_cbranch_execnz .LBB58_10
	s_branch .LBB58_11
.LBB58_6:
	s_mov_b32 s2, 0
	v_mov_b64_e32 v[0:1], 0
.LBB58_7:
	v_mov_b64_e32 v[0:1], 0
	s_mov_b32 s2, exec_lo
	v_cmpx_ne_u32_e32 0, v2
	s_cbranch_execz .LBB58_9
; %bb.8:
	v_mul_lo_u32 v0, v4, s3
	s_delay_alu instid0(VALU_DEP_1)
	v_add3_u32 v0, v2, v0, -1
	global_load_b64 v[0:1], v0, s[4:5] scale_offset
.LBB58_9:
	s_wait_xcnt 0x0
	s_or_b32 exec_lo, exec_lo, s2
	s_mov_b32 s2, -1
	s_delay_alu instid0(SALU_CYCLE_1)
	s_and_b32 exec_lo, exec_lo, s2
	s_cbranch_execz .LBB58_11
.LBB58_10:
	s_wait_loadcnt 0x0
	global_store_b64 v3, v[0:1], s[0:1] scale_offset
.LBB58_11:
	s_endpgm
	.section	.rodata,"a",@progbits
	.p2align	6, 0x0
	.amdhsa_kernel _ZN9rocsolver6v33100L14copyshift_downIdPdEEvbiT0_iilPT_iil
		.amdhsa_group_segment_fixed_size 0
		.amdhsa_private_segment_fixed_size 0
		.amdhsa_kernarg_size 312
		.amdhsa_user_sgpr_count 2
		.amdhsa_user_sgpr_dispatch_ptr 0
		.amdhsa_user_sgpr_queue_ptr 0
		.amdhsa_user_sgpr_kernarg_segment_ptr 1
		.amdhsa_user_sgpr_dispatch_id 0
		.amdhsa_user_sgpr_kernarg_preload_length 0
		.amdhsa_user_sgpr_kernarg_preload_offset 0
		.amdhsa_user_sgpr_private_segment_size 0
		.amdhsa_wavefront_size32 1
		.amdhsa_uses_dynamic_stack 0
		.amdhsa_enable_private_segment 0
		.amdhsa_system_sgpr_workgroup_id_x 1
		.amdhsa_system_sgpr_workgroup_id_y 1
		.amdhsa_system_sgpr_workgroup_id_z 1
		.amdhsa_system_sgpr_workgroup_info 0
		.amdhsa_system_vgpr_workitem_id 1
		.amdhsa_next_free_vgpr 8
		.amdhsa_next_free_sgpr 24
		.amdhsa_named_barrier_count 0
		.amdhsa_reserve_vcc 1
		.amdhsa_float_round_mode_32 0
		.amdhsa_float_round_mode_16_64 0
		.amdhsa_float_denorm_mode_32 3
		.amdhsa_float_denorm_mode_16_64 3
		.amdhsa_fp16_overflow 0
		.amdhsa_memory_ordered 1
		.amdhsa_forward_progress 1
		.amdhsa_inst_pref_size 5
		.amdhsa_round_robin_scheduling 0
		.amdhsa_exception_fp_ieee_invalid_op 0
		.amdhsa_exception_fp_denorm_src 0
		.amdhsa_exception_fp_ieee_div_zero 0
		.amdhsa_exception_fp_ieee_overflow 0
		.amdhsa_exception_fp_ieee_underflow 0
		.amdhsa_exception_fp_ieee_inexact 0
		.amdhsa_exception_int_div_zero 0
	.end_amdhsa_kernel
	.section	.text._ZN9rocsolver6v33100L14copyshift_downIdPdEEvbiT0_iilPT_iil,"axG",@progbits,_ZN9rocsolver6v33100L14copyshift_downIdPdEEvbiT0_iilPT_iil,comdat
.Lfunc_end58:
	.size	_ZN9rocsolver6v33100L14copyshift_downIdPdEEvbiT0_iilPT_iil, .Lfunc_end58-_ZN9rocsolver6v33100L14copyshift_downIdPdEEvbiT0_iilPT_iil
                                        ; -- End function
	.set _ZN9rocsolver6v33100L14copyshift_downIdPdEEvbiT0_iilPT_iil.num_vgpr, 8
	.set _ZN9rocsolver6v33100L14copyshift_downIdPdEEvbiT0_iilPT_iil.num_agpr, 0
	.set _ZN9rocsolver6v33100L14copyshift_downIdPdEEvbiT0_iilPT_iil.numbered_sgpr, 24
	.set _ZN9rocsolver6v33100L14copyshift_downIdPdEEvbiT0_iilPT_iil.num_named_barrier, 0
	.set _ZN9rocsolver6v33100L14copyshift_downIdPdEEvbiT0_iilPT_iil.private_seg_size, 0
	.set _ZN9rocsolver6v33100L14copyshift_downIdPdEEvbiT0_iilPT_iil.uses_vcc, 1
	.set _ZN9rocsolver6v33100L14copyshift_downIdPdEEvbiT0_iilPT_iil.uses_flat_scratch, 0
	.set _ZN9rocsolver6v33100L14copyshift_downIdPdEEvbiT0_iilPT_iil.has_dyn_sized_stack, 0
	.set _ZN9rocsolver6v33100L14copyshift_downIdPdEEvbiT0_iilPT_iil.has_recursion, 0
	.set _ZN9rocsolver6v33100L14copyshift_downIdPdEEvbiT0_iilPT_iil.has_indirect_call, 0
	.section	.AMDGPU.csdata,"",@progbits
; Kernel info:
; codeLenInByte = 600
; TotalNumSgprs: 26
; NumVgprs: 8
; ScratchSize: 0
; MemoryBound: 0
; FloatMode: 240
; IeeeMode: 1
; LDSByteSize: 0 bytes/workgroup (compile time only)
; SGPRBlocks: 0
; VGPRBlocks: 0
; NumSGPRsForWavesPerEU: 26
; NumVGPRsForWavesPerEU: 8
; NamedBarCnt: 0
; Occupancy: 16
; WaveLimiterHint : 0
; COMPUTE_PGM_RSRC2:SCRATCH_EN: 0
; COMPUTE_PGM_RSRC2:USER_SGPR: 2
; COMPUTE_PGM_RSRC2:TRAP_HANDLER: 0
; COMPUTE_PGM_RSRC2:TGID_X_EN: 1
; COMPUTE_PGM_RSRC2:TGID_Y_EN: 1
; COMPUTE_PGM_RSRC2:TGID_Z_EN: 1
; COMPUTE_PGM_RSRC2:TIDIG_COMP_CNT: 1
	.section	.text._ZN9rocsolver6v33100L10bdsqr_initIddEEviPT0_lS3_lPiiS2_S2_S4_S3_lS4_,"axG",@progbits,_ZN9rocsolver6v33100L10bdsqr_initIddEEviPT0_lS3_lPiiS2_S2_S4_S3_lS4_,comdat
	.globl	_ZN9rocsolver6v33100L10bdsqr_initIddEEviPT0_lS3_lPiiS2_S2_S4_S3_lS4_ ; -- Begin function _ZN9rocsolver6v33100L10bdsqr_initIddEEviPT0_lS3_lPiiS2_S2_S4_S3_lS4_
	.p2align	8
	.type	_ZN9rocsolver6v33100L10bdsqr_initIddEEviPT0_lS3_lPiiS2_S2_S4_S3_lS4_,@function
_ZN9rocsolver6v33100L10bdsqr_initIddEEviPT0_lS3_lPiiS2_S2_S4_S3_lS4_: ; @_ZN9rocsolver6v33100L10bdsqr_initIddEEviPT0_lS3_lPiiS2_S2_S4_S3_lS4_
; %bb.0:
	s_clause 0x1
	s_load_b32 s2, s[0:1], 0x0
	s_load_b256 s[4:11], s[0:1], 0x8
	s_bfe_u32 s3, ttmp6, 0x40010
	s_bfe_u32 s12, ttmp6, 0x40004
	s_add_co_i32 s3, s3, 1
	s_getreg_b32 s13, hwreg(HW_REG_IB_STS2, 6, 4)
	s_mul_i32 s3, ttmp7, s3
	s_load_b64 s[16:17], s[0:1], 0x28
	s_add_co_i32 s12, s12, s3
	s_wait_kmcnt 0x0
	s_ashr_i32 s3, s2, 31
	s_cmp_eq_u32 s13, 0
	v_cmp_gt_i64_e64 s20, s[2:3], 1
	s_cselect_b32 s14, ttmp7, s12
	s_delay_alu instid0(SALU_CYCLE_1) | instskip(NEXT) | instid1(SALU_CYCLE_1)
	s_ashr_i32 s15, s14, 31
	s_mul_u64 s[6:7], s[6:7], s[14:15]
	s_delay_alu instid0(SALU_CYCLE_1) | instskip(NEXT) | instid1(SALU_CYCLE_1)
	s_lshl_b64 s[6:7], s[6:7], 3
	s_add_nc_u64 s[18:19], s[4:5], s[6:7]
	s_lshl_b64 s[4:5], s[2:3], 3
	v_cmp_lt_i64_e64 s7, s[2:3], 2
	s_add_nc_u64 s[12:13], s[18:19], s[4:5]
	s_mov_b32 s3, 1
	s_add_nc_u64 s[4:5], s[12:13], -8
	s_clause 0x1
	s_load_b64 s[22:23], s[18:19], 0x0
	s_load_b64 s[24:25], s[4:5], 0x0
	s_wait_xcnt 0x0
	s_mul_u64 s[4:5], s[10:11], s[14:15]
	s_delay_alu instid0(SALU_CYCLE_1) | instskip(NEXT) | instid1(SALU_CYCLE_1)
	s_lshl_b64 s[10:11], s[4:5], 3
	s_add_nc_u64 s[8:9], s[8:9], s[10:11]
	s_wait_kmcnt 0x0
	v_cmp_ge_f64_e64 s6, s[22:23], s[24:25]
	s_and_b32 s4, s6, exec_lo
	s_cselect_b32 s5, s23, s25
	s_cselect_b32 s4, s22, s24
	s_bitset0_b32 s5, 31
	s_and_b32 vcc_lo, exec_lo, s7
	v_mov_b64_e32 v[0:1], s[4:5]
	s_cbranch_vccnz .LBB59_3
; %bb.1:
	v_mov_b64_e32 v[0:1], s[4:5]
	v_mov_b64_e32 v[2:3], s[4:5]
	s_add_co_i32 s4, s2, -2
.LBB59_2:                               ; =>This Inner Loop Header: Depth=1
	s_and_b32 s5, s6, exec_lo
	s_cselect_b32 s10, s3, s4
	s_add_co_i32 s5, s3, -1
	s_and_b32 s7, s6, exec_lo
	s_cselect_b32 s22, s5, s4
	s_ashr_i32 s11, s10, 31
	s_ashr_i32 s23, s22, 31
	s_lshl_b64 s[10:11], s[10:11], 3
	s_lshl_b64 s[22:23], s[22:23], 3
	s_add_nc_u64 s[10:11], s[18:19], s[10:11]
	s_add_nc_u64 s[22:23], s[8:9], s[22:23]
	s_load_b64 s[10:11], s[10:11], 0x0
	s_add_co_i32 s3, s3, 1
	s_load_b64 s[22:23], s[22:23], 0x0
	s_add_co_i32 s4, s4, -1
	s_cmp_lg_u32 s3, s2
	s_wait_kmcnt 0x0
	v_add_f64_e64 v[4:5], v[2:3], |s[22:23]|
	s_delay_alu instid0(VALU_DEP_1) | instskip(SKIP_1) | instid1(VALU_DEP_2)
	v_div_scale_f64 v[6:7], null, v[4:5], v[4:5], v[2:3]
	v_div_scale_f64 v[12:13], vcc_lo, v[2:3], v[4:5], v[2:3]
	v_rcp_f64_e32 v[8:9], v[6:7]
	v_nop
	s_delay_alu instid0(TRANS32_DEP_1) | instskip(NEXT) | instid1(VALU_DEP_1)
	v_fma_f64 v[10:11], -v[6:7], v[8:9], 1.0
	v_fmac_f64_e32 v[8:9], v[8:9], v[10:11]
	s_delay_alu instid0(VALU_DEP_1) | instskip(NEXT) | instid1(VALU_DEP_1)
	v_fma_f64 v[10:11], -v[6:7], v[8:9], 1.0
	v_fmac_f64_e32 v[8:9], v[8:9], v[10:11]
	s_delay_alu instid0(VALU_DEP_1) | instskip(NEXT) | instid1(VALU_DEP_1)
	v_mul_f64_e32 v[10:11], v[12:13], v[8:9]
	v_fma_f64 v[6:7], -v[6:7], v[10:11], v[12:13]
	s_delay_alu instid0(VALU_DEP_1) | instskip(NEXT) | instid1(VALU_DEP_1)
	v_div_fmas_f64 v[6:7], v[6:7], v[8:9], v[10:11]
	v_div_fixup_f64 v[2:3], v[6:7], v[4:5], v[2:3]
	s_delay_alu instid0(VALU_DEP_1) | instskip(NEXT) | instid1(VALU_DEP_1)
	v_mul_f64_e64 v[2:3], |s[10:11]|, v[2:3]
	v_cmp_lt_f64_e32 vcc_lo, v[2:3], v[0:1]
	v_dual_cndmask_b32 v1, v1, v3 :: v_dual_cndmask_b32 v0, v0, v2
	s_cbranch_scc1 .LBB59_2
.LBB59_3:
	v_cvt_f64_i32_e32 v[2:3], s2
	s_load_b128 s[4:7], s[0:1], 0x58
	s_lshl_b32 s25, s2, 1
	s_add_co_i32 s3, s2, -1
	s_mul_i32 s10, s25, s14
	s_load_b256 s[36:43], s[0:1], 0x38
	s_ashr_i32 s11, s10, 31
	s_wait_xcnt 0x0
	s_load_b32 s0, s[0:1], 0x30
	s_lshl_b64 s[10:11], s[10:11], 2
	s_mov_b32 s26, 0
	s_mov_b32 s24, 0
	s_wait_kmcnt 0x0
	s_mul_u64 s[4:5], s[4:5], s[14:15]
	s_delay_alu instid0(SALU_CYCLE_1) | instskip(NEXT) | instid1(VALU_DEP_1)
	s_lshl_b64 s[22:23], s[4:5], 3
	v_cmp_gt_f64_e32 vcc_lo, 0x10000000, v[2:3]
	s_and_b32 s4, vcc_lo, exec_lo
	s_cselect_b32 s4, 0x100, 0
	s_delay_alu instid0(SALU_CYCLE_1) | instskip(SKIP_1) | instid1(VALU_DEP_1)
	v_ldexp_f64 v[2:3], v[2:3], s4
	s_cselect_b32 s4, 0xffffff80, 0
	v_rsq_f64_e32 v[4:5], v[2:3]
	v_cmp_class_f64_e64 vcc_lo, v[2:3], 0x260
	s_delay_alu instid0(TRANS32_DEP_1) | instskip(SKIP_1) | instid1(VALU_DEP_1)
	v_mul_f64_e32 v[6:7], v[2:3], v[4:5]
	v_mul_f64_e32 v[4:5], 0.5, v[4:5]
	v_fma_f64 v[8:9], -v[4:5], v[6:7], 0.5
	s_delay_alu instid0(VALU_DEP_1) | instskip(SKIP_1) | instid1(VALU_DEP_2)
	v_fmac_f64_e32 v[6:7], v[6:7], v[8:9]
	v_fmac_f64_e32 v[4:5], v[4:5], v[8:9]
	v_fma_f64 v[8:9], -v[6:7], v[6:7], v[2:3]
	s_delay_alu instid0(VALU_DEP_1) | instskip(NEXT) | instid1(VALU_DEP_1)
	v_fmac_f64_e32 v[6:7], v[8:9], v[4:5]
	v_fma_f64 v[8:9], -v[6:7], v[6:7], v[2:3]
	s_delay_alu instid0(VALU_DEP_1) | instskip(NEXT) | instid1(VALU_DEP_1)
	v_fmac_f64_e32 v[6:7], v[8:9], v[4:5]
	v_ldexp_f64 v[4:5], v[6:7], s4
	v_mul_f64_e32 v[6:7], s[38:39], v[0:1]
	s_add_nc_u64 s[4:5], s[40:41], s[10:11]
	s_mov_b32 s10, 0
	s_delay_alu instid0(VALU_DEP_2) | instskip(NEXT) | instid1(VALU_DEP_1)
	v_dual_cndmask_b32 v3, v5, v3 :: v_dual_cndmask_b32 v2, v4, v2
	v_div_scale_f64 v[4:5], null, v[2:3], v[2:3], v[6:7]
	v_div_scale_f64 v[12:13], vcc_lo, v[6:7], v[2:3], v[6:7]
	s_delay_alu instid0(VALU_DEP_2) | instskip(SKIP_1) | instid1(TRANS32_DEP_1)
	v_rcp_f64_e32 v[8:9], v[4:5]
	v_nop
	v_fma_f64 v[10:11], -v[4:5], v[8:9], 1.0
	s_delay_alu instid0(VALU_DEP_1) | instskip(NEXT) | instid1(VALU_DEP_1)
	v_fmac_f64_e32 v[8:9], v[8:9], v[10:11]
	v_fma_f64 v[10:11], -v[4:5], v[8:9], 1.0
	s_delay_alu instid0(VALU_DEP_1) | instskip(NEXT) | instid1(VALU_DEP_1)
	v_fmac_f64_e32 v[8:9], v[8:9], v[10:11]
	v_mul_f64_e32 v[10:11], v[12:13], v[8:9]
	s_delay_alu instid0(VALU_DEP_1) | instskip(NEXT) | instid1(VALU_DEP_1)
	v_fma_f64 v[4:5], -v[4:5], v[10:11], v[12:13]
	v_div_fmas_f64 v[4:5], v[4:5], v[8:9], v[10:11]
	v_cvt_f64_i32_e32 v[8:9], s0
	v_cndmask_b32_e64 v10, 0, 1, s20
	s_add_nc_u64 s[0:1], s[42:43], s[22:23]
	s_delay_alu instid0(VALU_DEP_3) | instskip(NEXT) | instid1(VALU_DEP_3)
	v_div_fixup_f64 v[2:3], v[4:5], v[2:3], v[6:7]
	v_dual_mul_f64 v[6:7], s[36:37], v[8:9] :: v_dual_mov_b32 v4, 0
	s_delay_alu instid0(VALU_DEP_1)
	v_cmp_lt_f64_e32 vcc_lo, v[2:3], v[6:7]
	v_dual_cndmask_b32 v3, v3, v7 :: v_dual_cndmask_b32 v2, v2, v6
	s_and_not1_b32 vcc_lo, exec_lo, s20
	global_store_b128 v4, v[0:3], s[0:1]
	s_cbranch_vccnz .LBB59_15
; %bb.4:
	s_wait_xcnt 0x0
	v_mov_b64_e32 v[0:1], 0
	s_mov_b32 s21, 0
	s_delay_alu instid0(SALU_CYCLE_1)
	s_mov_b32 s10, s21
	s_mov_b32 s20, s21
	s_branch .LBB59_7
.LBB59_5:                               ;   in Loop: Header=BB59_7 Depth=1
	s_mov_b32 s20, s11
.LBB59_6:                               ;   in Loop: Header=BB59_7 Depth=1
	v_and_b32_e32 v7, 0x7fffffff, v7
	s_wait_loadcnt 0x0
	v_cmp_nlg_f64_e64 s11, 0x7ff00000, |v[8:9]|
	s_delay_alu instid0(VALU_DEP_2) | instskip(SKIP_1) | instid1(SALU_CYCLE_1)
	v_cmp_nlg_f64_e32 vcc_lo, 0x7ff00000, v[6:7]
	s_or_b32 s11, s11, vcc_lo
	s_or_b32 s26, s11, s26
	s_cmp_eq_u32 s20, s3
	s_cbranch_scc1 .LBB59_15
.LBB59_7:                               ; =>This Inner Loop Header: Depth=1
	s_lshl_b32 s22, s20, 2
	s_delay_alu instid0(SALU_CYCLE_1) | instskip(NEXT) | instid1(SALU_CYCLE_1)
	s_or_b32 s11, s22, 3
	s_cmp_ge_i32 s11, s25
	s_cbranch_scc1 .LBB59_9
; %bb.8:                                ;   in Loop: Header=BB59_7 Depth=1
	s_mov_b32 s23, s21
	s_wait_xcnt 0x0
	v_dual_mov_b32 v5, v4 :: v_dual_mov_b32 v6, v4
	v_mov_b32_e32 v7, v4
	s_lshl_b64 s[22:23], s[22:23], 2
	s_delay_alu instid0(SALU_CYCLE_1)
	s_add_nc_u64 s[22:23], s[4:5], s[22:23]
	global_store_b128 v4, v[4:7], s[22:23]
	global_wb scope:SCOPE_DEV
	s_wait_storecnt 0x0
	global_inv scope:SCOPE_DEV
.LBB59_9:                               ;   in Loop: Header=BB59_7 Depth=1
	s_wait_xcnt 0x0
	v_mov_b32_e32 v5, s20
	s_mov_b32 s22, -1
	s_clause 0x1
	global_load_b64 v[6:7], v5, s[8:9] scale_offset
	global_load_b64 v[8:9], v5, s[18:19] scale_offset
	s_wait_loadcnt 0x1
	v_cmp_lt_f64_e64 s11, |v[6:7]|, v[2:3]
	s_and_b32 vcc_lo, exec_lo, s11
                                        ; implicit-def: $sgpr11
	s_cbranch_vccnz .LBB59_11
; %bb.10:                               ;   in Loop: Header=BB59_7 Depth=1
	s_add_co_i32 s11, s20, 1
	s_mov_b32 s22, 0
.LBB59_11:                              ;   in Loop: Header=BB59_7 Depth=1
	s_delay_alu instid0(SALU_CYCLE_1)
	s_and_not1_b32 vcc_lo, exec_lo, s22
	s_cbranch_vccnz .LBB59_5
; %bb.12:                               ;   in Loop: Header=BB59_7 Depth=1
	s_lshl_b64 s[22:23], s[20:21], 3
	s_cmp_ge_i32 s10, s20
	s_add_nc_u64 s[22:23], s[8:9], s[22:23]
	global_store_b64 v4, v[0:1], s[22:23]
	s_cbranch_scc1 .LBB59_14
; %bb.13:                               ;   in Loop: Header=BB59_7 Depth=1
	s_mov_b32 s11, s20
	s_wait_xcnt 0x0
	s_lshl_b32 s22, s24, 2
	v_mov_b64_e32 v[12:13], s[10:11]
	s_ashr_i32 s23, s22, 31
	s_add_co_i32 s24, s24, 1
	s_lshl_b64 s[10:11], s[22:23], 2
	s_delay_alu instid0(SALU_CYCLE_1)
	s_add_nc_u64 s[10:11], s[4:5], s[10:11]
	global_store_b64 v4, v[12:13], s[10:11] offset:4
.LBB59_14:                              ;   in Loop: Header=BB59_7 Depth=1
	s_add_co_i32 s20, s20, 1
	s_wait_xcnt 0x0
	s_mov_b32 s10, s20
	s_branch .LBB59_6
.LBB59_15:
	s_wait_xcnt 0x0
	v_mov_b32_e32 v2, 0
	s_cmp_lt_i32 s10, s3
	global_load_b64 v[0:1], v2, s[12:13] offset:-8
	s_cbranch_scc0 .LBB59_17
; %bb.16:
	s_lshl_b32 s20, s24, 2
	v_dual_mov_b32 v4, s10 :: v_dual_mov_b32 v5, s3
	s_ashr_i32 s21, s20, 31
	s_delay_alu instid0(SALU_CYCLE_1) | instskip(NEXT) | instid1(SALU_CYCLE_1)
	s_lshl_b64 s[10:11], s[20:21], 2
	s_add_nc_u64 s[4:5], s[4:5], s[10:11]
	global_store_b64 v2, v[4:5], s[4:5] offset:4
.LBB59_17:
	s_wait_loadcnt 0x0
	v_cmp_nlg_f64_e64 s4, 0x7ff00000, |v[0:1]|
	s_or_b32 s4, s4, s26
	s_delay_alu instid0(SALU_CYCLE_1)
	s_and_not1_b32 vcc_lo, exec_lo, s4
	s_mov_b32 s4, -1
	s_cbranch_vccz .LBB59_22
; %bb.18:
	s_add_co_i32 s5, s24, 1
	v_mov_b32_e32 v2, 0
	v_cvt_f64_i32_e32 v[0:1], s5
	s_lshl_b64 s[10:11], s[14:15], 2
	s_mov_b32 s4, 0
	s_cmp_lt_i32 s24, 0
	v_mov_b32_e32 v3, v2
	s_add_nc_u64 s[10:11], s[16:17], s[10:11]
	s_clause 0x1
	global_store_b128 v2, v[0:3], s[0:1] offset:16
	global_store_b32 v2, v2, s[10:11]
	s_cbranch_scc1 .LBB59_22
; %bb.19:
	s_wait_xcnt 0x1
	v_mov_b32_e32 v1, 0
	s_mov_b32 s0, 0
.LBB59_20:                              ; =>This Inner Loop Header: Depth=1
	v_mov_b32_e32 v0, s5
	s_wait_xcnt 0x0
	global_atomic_cmpswap_b32 v1, v2, v[0:1], s[6:7] offset:4 th:TH_ATOMIC_RETURN scope:SCOPE_DEV
	s_wait_loadcnt 0x0
	v_cmp_lt_i32_e32 vcc_lo, s24, v1
	s_or_b32 s0, vcc_lo, s0
	s_wait_xcnt 0x0
	s_and_not1_b32 exec_lo, exec_lo, s0
	s_cbranch_execnz .LBB59_20
; %bb.21:
	s_or_b32 exec_lo, exec_lo, s0
.LBB59_22:
	s_delay_alu instid0(SALU_CYCLE_1)
	s_and_not1_b32 vcc_lo, exec_lo, s4
	s_cbranch_vccnz .LBB59_28
; %bb.23:
	v_cmp_ne_u32_e32 vcc_lo, 1, v10
	s_cbranch_vccnz .LBB59_26
; %bb.24:
	s_wait_xcnt 0x1
	v_mov_b64_e32 v[0:1], 0x7ff8000000000000
	s_wait_xcnt 0x0
	v_mov_b32_e32 v2, 0
.LBB59_25:                              ; =>This Inner Loop Header: Depth=1
	s_add_co_i32 s3, s3, -1
	s_clause 0x1
	global_store_b64 v2, v[0:1], s[18:19]
	global_store_b64 v2, v[0:1], s[8:9]
	s_wait_xcnt 0x1
	s_add_nc_u64 s[18:19], s[18:19], 8
	s_cmp_eq_u32 s3, 0
	s_wait_xcnt 0x0
	s_add_nc_u64 s[8:9], s[8:9], 8
	s_cbranch_scc0 .LBB59_25
.LBB59_26:
	s_wait_xcnt 0x1
	s_mov_b32 s0, exec_lo
	s_wait_xcnt 0x0
	v_mov_b64_e32 v[2:3], 0x7ff8000000000000
	v_mbcnt_lo_u32_b32 v1, s0, 0
	v_dual_mov_b32 v0, 0 :: v_dual_mov_b32 v4, s2
	s_lshl_b64 s[4:5], s[14:15], 2
	v_mov_b32_e32 v5, 2
	s_add_nc_u64 s[8:9], s[16:17], s[4:5]
	s_add_nc_u64 s[2:3], s[6:7], s[4:5]
	s_clause 0x2
	global_store_b64 v0, v[2:3], s[12:13] offset:-8
	global_store_b32 v0, v4, s[8:9]
	global_store_b32 v0, v5, s[2:3] offset:8
	s_mov_b32 s1, exec_lo
	s_wait_xcnt 0x0
	v_cmpx_eq_u32_e32 0, v1
	s_cbranch_execz .LBB59_28
; %bb.27:
	s_bcnt1_i32_b32 s0, s0
	s_delay_alu instid0(SALU_CYCLE_1)
	v_mov_b32_e32 v1, s0
	global_atomic_add_u32 v0, v1, s[6:7] scope:SCOPE_DEV
.LBB59_28:
	s_endpgm
	.section	.rodata,"a",@progbits
	.p2align	6, 0x0
	.amdhsa_kernel _ZN9rocsolver6v33100L10bdsqr_initIddEEviPT0_lS3_lPiiS2_S2_S4_S3_lS4_
		.amdhsa_group_segment_fixed_size 0
		.amdhsa_private_segment_fixed_size 0
		.amdhsa_kernarg_size 104
		.amdhsa_user_sgpr_count 2
		.amdhsa_user_sgpr_dispatch_ptr 0
		.amdhsa_user_sgpr_queue_ptr 0
		.amdhsa_user_sgpr_kernarg_segment_ptr 1
		.amdhsa_user_sgpr_dispatch_id 0
		.amdhsa_user_sgpr_kernarg_preload_length 0
		.amdhsa_user_sgpr_kernarg_preload_offset 0
		.amdhsa_user_sgpr_private_segment_size 0
		.amdhsa_wavefront_size32 1
		.amdhsa_uses_dynamic_stack 0
		.amdhsa_enable_private_segment 0
		.amdhsa_system_sgpr_workgroup_id_x 1
		.amdhsa_system_sgpr_workgroup_id_y 1
		.amdhsa_system_sgpr_workgroup_id_z 0
		.amdhsa_system_sgpr_workgroup_info 0
		.amdhsa_system_vgpr_workitem_id 0
		.amdhsa_next_free_vgpr 14
		.amdhsa_next_free_sgpr 44
		.amdhsa_named_barrier_count 0
		.amdhsa_reserve_vcc 1
		.amdhsa_float_round_mode_32 0
		.amdhsa_float_round_mode_16_64 0
		.amdhsa_float_denorm_mode_32 3
		.amdhsa_float_denorm_mode_16_64 3
		.amdhsa_fp16_overflow 0
		.amdhsa_memory_ordered 1
		.amdhsa_forward_progress 1
		.amdhsa_inst_pref_size 13
		.amdhsa_round_robin_scheduling 0
		.amdhsa_exception_fp_ieee_invalid_op 0
		.amdhsa_exception_fp_denorm_src 0
		.amdhsa_exception_fp_ieee_div_zero 0
		.amdhsa_exception_fp_ieee_overflow 0
		.amdhsa_exception_fp_ieee_underflow 0
		.amdhsa_exception_fp_ieee_inexact 0
		.amdhsa_exception_int_div_zero 0
	.end_amdhsa_kernel
	.section	.text._ZN9rocsolver6v33100L10bdsqr_initIddEEviPT0_lS3_lPiiS2_S2_S4_S3_lS4_,"axG",@progbits,_ZN9rocsolver6v33100L10bdsqr_initIddEEviPT0_lS3_lPiiS2_S2_S4_S3_lS4_,comdat
.Lfunc_end59:
	.size	_ZN9rocsolver6v33100L10bdsqr_initIddEEviPT0_lS3_lPiiS2_S2_S4_S3_lS4_, .Lfunc_end59-_ZN9rocsolver6v33100L10bdsqr_initIddEEviPT0_lS3_lPiiS2_S2_S4_S3_lS4_
                                        ; -- End function
	.set _ZN9rocsolver6v33100L10bdsqr_initIddEEviPT0_lS3_lPiiS2_S2_S4_S3_lS4_.num_vgpr, 14
	.set _ZN9rocsolver6v33100L10bdsqr_initIddEEviPT0_lS3_lPiiS2_S2_S4_S3_lS4_.num_agpr, 0
	.set _ZN9rocsolver6v33100L10bdsqr_initIddEEviPT0_lS3_lPiiS2_S2_S4_S3_lS4_.numbered_sgpr, 44
	.set _ZN9rocsolver6v33100L10bdsqr_initIddEEviPT0_lS3_lPiiS2_S2_S4_S3_lS4_.num_named_barrier, 0
	.set _ZN9rocsolver6v33100L10bdsqr_initIddEEviPT0_lS3_lPiiS2_S2_S4_S3_lS4_.private_seg_size, 0
	.set _ZN9rocsolver6v33100L10bdsqr_initIddEEviPT0_lS3_lPiiS2_S2_S4_S3_lS4_.uses_vcc, 1
	.set _ZN9rocsolver6v33100L10bdsqr_initIddEEviPT0_lS3_lPiiS2_S2_S4_S3_lS4_.uses_flat_scratch, 0
	.set _ZN9rocsolver6v33100L10bdsqr_initIddEEviPT0_lS3_lPiiS2_S2_S4_S3_lS4_.has_dyn_sized_stack, 0
	.set _ZN9rocsolver6v33100L10bdsqr_initIddEEviPT0_lS3_lPiiS2_S2_S4_S3_lS4_.has_recursion, 0
	.set _ZN9rocsolver6v33100L10bdsqr_initIddEEviPT0_lS3_lPiiS2_S2_S4_S3_lS4_.has_indirect_call, 0
	.section	.AMDGPU.csdata,"",@progbits
; Kernel info:
; codeLenInByte = 1640
; TotalNumSgprs: 46
; NumVgprs: 14
; ScratchSize: 0
; MemoryBound: 0
; FloatMode: 240
; IeeeMode: 1
; LDSByteSize: 0 bytes/workgroup (compile time only)
; SGPRBlocks: 0
; VGPRBlocks: 0
; NumSGPRsForWavesPerEU: 46
; NumVGPRsForWavesPerEU: 14
; NamedBarCnt: 0
; Occupancy: 16
; WaveLimiterHint : 0
; COMPUTE_PGM_RSRC2:SCRATCH_EN: 0
; COMPUTE_PGM_RSRC2:USER_SGPR: 2
; COMPUTE_PGM_RSRC2:TRAP_HANDLER: 0
; COMPUTE_PGM_RSRC2:TGID_X_EN: 1
; COMPUTE_PGM_RSRC2:TGID_Y_EN: 1
; COMPUTE_PGM_RSRC2:TGID_Z_EN: 0
; COMPUTE_PGM_RSRC2:TIDIG_COMP_CNT: 0
	.section	.text._ZN9rocsolver6v33100L11swap_kernelIdiEEvT0_PT_S2_S4_S2_,"axG",@progbits,_ZN9rocsolver6v33100L11swap_kernelIdiEEvT0_PT_S2_S4_S2_,comdat
	.globl	_ZN9rocsolver6v33100L11swap_kernelIdiEEvT0_PT_S2_S4_S2_ ; -- Begin function _ZN9rocsolver6v33100L11swap_kernelIdiEEvT0_PT_S2_S4_S2_
	.p2align	8
	.type	_ZN9rocsolver6v33100L11swap_kernelIdiEEvT0_PT_S2_S4_S2_,@function
_ZN9rocsolver6v33100L11swap_kernelIdiEEvT0_PT_S2_S4_S2_: ; @_ZN9rocsolver6v33100L11swap_kernelIdiEEvT0_PT_S2_S4_S2_
; %bb.0:
	s_load_b32 s12, s[0:1], 0x0
	s_wait_kmcnt 0x0
	s_cmp_lt_i32 s12, 1
	s_cbranch_scc1 .LBB60_10
; %bb.1:
	s_clause 0x2
	s_load_b32 s2, s[0:1], 0x34
	s_load_b96 s[4:6], s[0:1], 0x8
	s_load_b96 s[8:10], s[0:1], 0x18
	s_bfe_u32 s3, ttmp6, 0x4000c
	s_wait_xcnt 0x0
	s_load_b32 s0, s[0:1], 0x28
	s_add_co_i32 s3, s3, 1
	s_wait_xcnt 0x0
	s_and_b32 s1, ttmp6, 15
	s_mul_i32 s3, ttmp9, s3
	s_getreg_b32 s7, hwreg(HW_REG_IB_STS2, 6, 4)
	s_add_co_i32 s1, s1, s3
	s_wait_kmcnt 0x0
	s_and_b32 s2, s2, 0xffff
	s_cmp_eq_u32 s7, 0
	s_cselect_b32 s1, ttmp9, s1
	s_cmp_eq_u32 s6, 1
	v_mad_u32 v0, s1, s2, v0
	s_cselect_b32 s1, -1, 0
	s_cmp_eq_u32 s10, 1
	s_mul_i32 s2, s0, s2
	s_cselect_b32 s3, -1, 0
	s_delay_alu instid0(SALU_CYCLE_1) | instskip(NEXT) | instid1(SALU_CYCLE_1)
	s_and_b32 s1, s1, s3
	s_and_b32 vcc_lo, exec_lo, s1
	s_mov_b32 s1, -1
	s_delay_alu instid0(VALU_DEP_1)
	v_cmp_gt_i32_e64 s0, s12, v0
	s_cbranch_vccnz .LBB60_6
; %bb.2:
	s_and_saveexec_b32 s1, s0
	s_cbranch_execz .LBB60_5
; %bb.3:
	v_ashrrev_i32_e32 v1, 31, v0
	s_ashr_i32 s7, s6, 31
	s_ashr_i32 s11, s10, 31
	;; [unrolled: 1-line block ×3, first 2 shown]
	s_delay_alu instid0(SALU_CYCLE_1)
	s_mul_u64 s[14:15], s[6:7], s[2:3]
	v_mul_u64_e32 v[2:3], s[10:11], v[0:1]
	v_mul_u64_e32 v[4:5], s[6:7], v[0:1]
	v_mov_b32_e32 v1, v0
	s_mul_u64 s[10:11], s[10:11], s[2:3]
	s_mov_b32 s3, 0
	s_lshl_b64 s[6:7], s[10:11], 3
	s_lshl_b64 s[10:11], s[14:15], 3
	s_delay_alu instid0(VALU_DEP_3) | instskip(NEXT) | instid1(VALU_DEP_3)
	v_lshl_add_u64 v[2:3], v[2:3], 3, s[8:9]
	v_lshl_add_u64 v[4:5], v[4:5], 3, s[4:5]
.LBB60_4:                               ; =>This Inner Loop Header: Depth=1
	global_load_b64 v[6:7], v[4:5], off
	global_load_b64 v[8:9], v[2:3], off
	v_add_nc_u32_e32 v1, s2, v1
	s_wait_loadcnt 0x1
	global_store_b64 v[2:3], v[6:7], off
	s_wait_loadcnt 0x0
	global_store_b64 v[4:5], v[8:9], off
	v_cmp_le_i32_e32 vcc_lo, s12, v1
	s_wait_xcnt 0x1
	v_add_nc_u64_e32 v[2:3], s[6:7], v[2:3]
	s_wait_xcnt 0x0
	v_add_nc_u64_e32 v[4:5], s[10:11], v[4:5]
	s_or_b32 s3, vcc_lo, s3
	s_delay_alu instid0(SALU_CYCLE_1)
	s_and_not1_b32 exec_lo, exec_lo, s3
	s_cbranch_execnz .LBB60_4
.LBB60_5:
	s_or_b32 exec_lo, exec_lo, s1
	s_mov_b32 s1, 0
.LBB60_6:
	s_delay_alu instid0(SALU_CYCLE_1)
	s_and_not1_b32 vcc_lo, exec_lo, s1
	s_cbranch_vccnz .LBB60_10
; %bb.7:
	s_and_saveexec_b32 s1, s0
	s_cbranch_execz .LBB60_10
; %bb.8:
	v_ashrrev_i32_e32 v1, 31, v0
	s_ashr_i32 s3, s2, 31
	s_delay_alu instid0(SALU_CYCLE_1) | instskip(SKIP_1) | instid1(VALU_DEP_1)
	s_lshl_b64 s[0:1], s[2:3], 3
	s_mov_b32 s3, 0
	v_lshlrev_b64_e32 v[2:3], 3, v[0:1]
.LBB60_9:                               ; =>This Inner Loop Header: Depth=1
	s_delay_alu instid0(VALU_DEP_1)
	v_add_nc_u64_e32 v[4:5], s[4:5], v[2:3]
	v_add_nc_u64_e32 v[6:7], s[8:9], v[2:3]
	v_add_nc_u32_e32 v0, s2, v0
	v_add_nc_u64_e32 v[2:3], s[0:1], v[2:3]
	global_load_b64 v[8:9], v[4:5], off
	global_load_b64 v[10:11], v[6:7], off
	v_cmp_le_i32_e32 vcc_lo, s12, v0
	s_wait_loadcnt 0x1
	global_store_b64 v[6:7], v[8:9], off
	s_wait_loadcnt 0x0
	global_store_b64 v[4:5], v[10:11], off
	s_or_b32 s3, vcc_lo, s3
	s_wait_xcnt 0x0
	s_and_not1_b32 exec_lo, exec_lo, s3
	s_cbranch_execnz .LBB60_9
.LBB60_10:
	s_endpgm
	.section	.rodata,"a",@progbits
	.p2align	6, 0x0
	.amdhsa_kernel _ZN9rocsolver6v33100L11swap_kernelIdiEEvT0_PT_S2_S4_S2_
		.amdhsa_group_segment_fixed_size 0
		.amdhsa_private_segment_fixed_size 0
		.amdhsa_kernarg_size 296
		.amdhsa_user_sgpr_count 2
		.amdhsa_user_sgpr_dispatch_ptr 0
		.amdhsa_user_sgpr_queue_ptr 0
		.amdhsa_user_sgpr_kernarg_segment_ptr 1
		.amdhsa_user_sgpr_dispatch_id 0
		.amdhsa_user_sgpr_kernarg_preload_length 0
		.amdhsa_user_sgpr_kernarg_preload_offset 0
		.amdhsa_user_sgpr_private_segment_size 0
		.amdhsa_wavefront_size32 1
		.amdhsa_uses_dynamic_stack 0
		.amdhsa_enable_private_segment 0
		.amdhsa_system_sgpr_workgroup_id_x 1
		.amdhsa_system_sgpr_workgroup_id_y 0
		.amdhsa_system_sgpr_workgroup_id_z 0
		.amdhsa_system_sgpr_workgroup_info 0
		.amdhsa_system_vgpr_workitem_id 0
		.amdhsa_next_free_vgpr 12
		.amdhsa_next_free_sgpr 16
		.amdhsa_named_barrier_count 0
		.amdhsa_reserve_vcc 1
		.amdhsa_float_round_mode_32 0
		.amdhsa_float_round_mode_16_64 0
		.amdhsa_float_denorm_mode_32 3
		.amdhsa_float_denorm_mode_16_64 3
		.amdhsa_fp16_overflow 0
		.amdhsa_memory_ordered 1
		.amdhsa_forward_progress 1
		.amdhsa_inst_pref_size 4
		.amdhsa_round_robin_scheduling 0
		.amdhsa_exception_fp_ieee_invalid_op 0
		.amdhsa_exception_fp_denorm_src 0
		.amdhsa_exception_fp_ieee_div_zero 0
		.amdhsa_exception_fp_ieee_overflow 0
		.amdhsa_exception_fp_ieee_underflow 0
		.amdhsa_exception_fp_ieee_inexact 0
		.amdhsa_exception_int_div_zero 0
	.end_amdhsa_kernel
	.section	.text._ZN9rocsolver6v33100L11swap_kernelIdiEEvT0_PT_S2_S4_S2_,"axG",@progbits,_ZN9rocsolver6v33100L11swap_kernelIdiEEvT0_PT_S2_S4_S2_,comdat
.Lfunc_end60:
	.size	_ZN9rocsolver6v33100L11swap_kernelIdiEEvT0_PT_S2_S4_S2_, .Lfunc_end60-_ZN9rocsolver6v33100L11swap_kernelIdiEEvT0_PT_S2_S4_S2_
                                        ; -- End function
	.set _ZN9rocsolver6v33100L11swap_kernelIdiEEvT0_PT_S2_S4_S2_.num_vgpr, 12
	.set _ZN9rocsolver6v33100L11swap_kernelIdiEEvT0_PT_S2_S4_S2_.num_agpr, 0
	.set _ZN9rocsolver6v33100L11swap_kernelIdiEEvT0_PT_S2_S4_S2_.numbered_sgpr, 16
	.set _ZN9rocsolver6v33100L11swap_kernelIdiEEvT0_PT_S2_S4_S2_.num_named_barrier, 0
	.set _ZN9rocsolver6v33100L11swap_kernelIdiEEvT0_PT_S2_S4_S2_.private_seg_size, 0
	.set _ZN9rocsolver6v33100L11swap_kernelIdiEEvT0_PT_S2_S4_S2_.uses_vcc, 1
	.set _ZN9rocsolver6v33100L11swap_kernelIdiEEvT0_PT_S2_S4_S2_.uses_flat_scratch, 0
	.set _ZN9rocsolver6v33100L11swap_kernelIdiEEvT0_PT_S2_S4_S2_.has_dyn_sized_stack, 0
	.set _ZN9rocsolver6v33100L11swap_kernelIdiEEvT0_PT_S2_S4_S2_.has_recursion, 0
	.set _ZN9rocsolver6v33100L11swap_kernelIdiEEvT0_PT_S2_S4_S2_.has_indirect_call, 0
	.section	.AMDGPU.csdata,"",@progbits
; Kernel info:
; codeLenInByte = 500
; TotalNumSgprs: 18
; NumVgprs: 12
; ScratchSize: 0
; MemoryBound: 0
; FloatMode: 240
; IeeeMode: 1
; LDSByteSize: 0 bytes/workgroup (compile time only)
; SGPRBlocks: 0
; VGPRBlocks: 0
; NumSGPRsForWavesPerEU: 18
; NumVGPRsForWavesPerEU: 12
; NamedBarCnt: 0
; Occupancy: 16
; WaveLimiterHint : 0
; COMPUTE_PGM_RSRC2:SCRATCH_EN: 0
; COMPUTE_PGM_RSRC2:USER_SGPR: 2
; COMPUTE_PGM_RSRC2:TRAP_HANDLER: 0
; COMPUTE_PGM_RSRC2:TGID_X_EN: 1
; COMPUTE_PGM_RSRC2:TGID_Y_EN: 0
; COMPUTE_PGM_RSRC2:TGID_Z_EN: 0
; COMPUTE_PGM_RSRC2:TIDIG_COMP_CNT: 0
	.section	.text._ZN9rocsolver6v33100L10rot_kernelIddiEEvT1_PT0_S2_S4_S2_T_S5_,"axG",@progbits,_ZN9rocsolver6v33100L10rot_kernelIddiEEvT1_PT0_S2_S4_S2_T_S5_,comdat
	.globl	_ZN9rocsolver6v33100L10rot_kernelIddiEEvT1_PT0_S2_S4_S2_T_S5_ ; -- Begin function _ZN9rocsolver6v33100L10rot_kernelIddiEEvT1_PT0_S2_S4_S2_T_S5_
	.p2align	8
	.type	_ZN9rocsolver6v33100L10rot_kernelIddiEEvT1_PT0_S2_S4_S2_T_S5_,@function
_ZN9rocsolver6v33100L10rot_kernelIddiEEvT1_PT0_S2_S4_S2_T_S5_: ; @_ZN9rocsolver6v33100L10rot_kernelIddiEEvT1_PT0_S2_S4_S2_T_S5_
; %bb.0:
	s_load_b32 s16, s[0:1], 0x0
	s_wait_kmcnt 0x0
	s_cmp_lt_i32 s16, 1
	s_cbranch_scc1 .LBB61_10
; %bb.1:
	s_clause 0x2
	s_load_b32 s2, s[0:1], 0x44
	s_load_b96 s[8:10], s[0:1], 0x8
	s_load_b96 s[12:14], s[0:1], 0x18
	s_bfe_u32 s3, ttmp6, 0x4000c
	s_and_b32 s4, ttmp6, 15
	s_add_co_i32 s3, s3, 1
	s_load_b32 s11, s[0:1], 0x38
	s_mul_i32 s3, ttmp9, s3
	s_getreg_b32 s5, hwreg(HW_REG_IB_STS2, 6, 4)
	s_add_co_i32 s3, s4, s3
	s_wait_kmcnt 0x0
	s_and_b32 s2, s2, 0xffff
	s_cmp_eq_u32 s5, 0
	s_load_b128 s[4:7], s[0:1], 0x28
	s_wait_xcnt 0x0
	s_cselect_b32 s0, ttmp9, s3
	s_cmp_eq_u32 s10, 1
	v_mad_u32 v0, s0, s2, v0
	s_cselect_b32 s0, -1, 0
	s_cmp_eq_u32 s14, 1
	s_mul_i32 s2, s11, s2
	s_cselect_b32 s1, -1, 0
	s_delay_alu instid0(SALU_CYCLE_1) | instskip(NEXT) | instid1(SALU_CYCLE_1)
	s_and_b32 s1, s0, s1
	s_and_b32 vcc_lo, exec_lo, s1
	s_mov_b32 s1, -1
	s_delay_alu instid0(VALU_DEP_1)
	v_cmp_gt_i32_e64 s0, s16, v0
	s_cbranch_vccnz .LBB61_6
; %bb.2:
	s_and_saveexec_b32 s1, s0
	s_cbranch_execz .LBB61_5
; %bb.3:
	v_ashrrev_i32_e32 v1, 31, v0
	s_ashr_i32 s11, s10, 31
	s_ashr_i32 s15, s14, 31
	;; [unrolled: 1-line block ×3, first 2 shown]
	s_delay_alu instid0(SALU_CYCLE_1)
	s_mul_u64 s[18:19], s[10:11], s[2:3]
	v_mul_u64_e32 v[2:3], s[14:15], v[0:1]
	v_mul_u64_e32 v[4:5], s[10:11], v[0:1]
	v_mov_b32_e32 v1, v0
	s_mul_u64 s[14:15], s[14:15], s[2:3]
	s_mov_b32 s3, 0
	s_lshl_b64 s[10:11], s[14:15], 3
	s_lshl_b64 s[14:15], s[18:19], 3
	s_delay_alu instid0(VALU_DEP_3) | instskip(NEXT) | instid1(VALU_DEP_3)
	v_lshl_add_u64 v[2:3], v[2:3], 3, s[12:13]
	v_lshl_add_u64 v[4:5], v[4:5], 3, s[8:9]
.LBB61_4:                               ; =>This Inner Loop Header: Depth=1
	global_load_b64 v[6:7], v[4:5], off
	global_load_b64 v[8:9], v[2:3], off
	v_add_nc_u32_e32 v1, s2, v1
	s_delay_alu instid0(VALU_DEP_1)
	v_cmp_le_i32_e32 vcc_lo, s16, v1
	s_or_b32 s3, vcc_lo, s3
	s_wait_loadcnt 0x1
	s_wait_kmcnt 0x0
	v_mul_f64_e32 v[10:11], s[6:7], v[6:7]
	s_wait_loadcnt 0x0
	v_mul_f64_e32 v[12:13], s[6:7], v[8:9]
	s_delay_alu instid0(VALU_DEP_2) | instskip(NEXT) | instid1(VALU_DEP_2)
	v_fma_f64 v[8:9], s[4:5], v[8:9], -v[10:11]
	v_fmac_f64_e32 v[12:13], s[4:5], v[6:7]
	global_store_b64 v[2:3], v[8:9], off
	global_store_b64 v[4:5], v[12:13], off
	s_wait_xcnt 0x1
	v_add_nc_u64_e32 v[2:3], s[10:11], v[2:3]
	s_wait_xcnt 0x0
	v_add_nc_u64_e32 v[4:5], s[14:15], v[4:5]
	s_and_not1_b32 exec_lo, exec_lo, s3
	s_cbranch_execnz .LBB61_4
.LBB61_5:
	s_or_b32 exec_lo, exec_lo, s1
	s_mov_b32 s1, 0
.LBB61_6:
	s_delay_alu instid0(SALU_CYCLE_1)
	s_and_not1_b32 vcc_lo, exec_lo, s1
	s_cbranch_vccnz .LBB61_10
; %bb.7:
	s_and_saveexec_b32 s1, s0
	s_cbranch_execz .LBB61_10
; %bb.8:
	v_ashrrev_i32_e32 v1, 31, v0
	s_ashr_i32 s3, s2, 31
	s_delay_alu instid0(SALU_CYCLE_1) | instskip(SKIP_1) | instid1(VALU_DEP_1)
	s_lshl_b64 s[0:1], s[2:3], 3
	s_mov_b32 s3, 0
	v_lshlrev_b64_e32 v[2:3], 3, v[0:1]
.LBB61_9:                               ; =>This Inner Loop Header: Depth=1
	s_delay_alu instid0(VALU_DEP_1)
	v_add_nc_u64_e32 v[4:5], s[8:9], v[2:3]
	v_add_nc_u64_e32 v[6:7], s[12:13], v[2:3]
	;; [unrolled: 1-line block ×3, first 2 shown]
	global_load_b64 v[8:9], v[4:5], off
	global_load_b64 v[10:11], v[6:7], off
	v_add_nc_u32_e32 v0, s2, v0
	s_delay_alu instid0(VALU_DEP_1)
	v_cmp_le_i32_e32 vcc_lo, s16, v0
	s_or_b32 s3, vcc_lo, s3
	s_wait_loadcnt 0x1
	s_wait_kmcnt 0x0
	v_mul_f64_e32 v[12:13], s[6:7], v[8:9]
	s_wait_loadcnt 0x0
	v_mul_f64_e32 v[14:15], s[6:7], v[10:11]
	s_delay_alu instid0(VALU_DEP_2) | instskip(NEXT) | instid1(VALU_DEP_2)
	v_fma_f64 v[10:11], s[4:5], v[10:11], -v[12:13]
	v_fmac_f64_e32 v[14:15], s[4:5], v[8:9]
	global_store_b64 v[6:7], v[10:11], off
	global_store_b64 v[4:5], v[14:15], off
	s_wait_xcnt 0x0
	s_and_not1_b32 exec_lo, exec_lo, s3
	s_cbranch_execnz .LBB61_9
.LBB61_10:
	s_endpgm
	.section	.rodata,"a",@progbits
	.p2align	6, 0x0
	.amdhsa_kernel _ZN9rocsolver6v33100L10rot_kernelIddiEEvT1_PT0_S2_S4_S2_T_S5_
		.amdhsa_group_segment_fixed_size 0
		.amdhsa_private_segment_fixed_size 0
		.amdhsa_kernarg_size 312
		.amdhsa_user_sgpr_count 2
		.amdhsa_user_sgpr_dispatch_ptr 0
		.amdhsa_user_sgpr_queue_ptr 0
		.amdhsa_user_sgpr_kernarg_segment_ptr 1
		.amdhsa_user_sgpr_dispatch_id 0
		.amdhsa_user_sgpr_kernarg_preload_length 0
		.amdhsa_user_sgpr_kernarg_preload_offset 0
		.amdhsa_user_sgpr_private_segment_size 0
		.amdhsa_wavefront_size32 1
		.amdhsa_uses_dynamic_stack 0
		.amdhsa_enable_private_segment 0
		.amdhsa_system_sgpr_workgroup_id_x 1
		.amdhsa_system_sgpr_workgroup_id_y 0
		.amdhsa_system_sgpr_workgroup_id_z 0
		.amdhsa_system_sgpr_workgroup_info 0
		.amdhsa_system_vgpr_workitem_id 0
		.amdhsa_next_free_vgpr 16
		.amdhsa_next_free_sgpr 20
		.amdhsa_named_barrier_count 0
		.amdhsa_reserve_vcc 1
		.amdhsa_float_round_mode_32 0
		.amdhsa_float_round_mode_16_64 0
		.amdhsa_float_denorm_mode_32 3
		.amdhsa_float_denorm_mode_16_64 3
		.amdhsa_fp16_overflow 0
		.amdhsa_memory_ordered 1
		.amdhsa_forward_progress 1
		.amdhsa_inst_pref_size 5
		.amdhsa_round_robin_scheduling 0
		.amdhsa_exception_fp_ieee_invalid_op 0
		.amdhsa_exception_fp_denorm_src 0
		.amdhsa_exception_fp_ieee_div_zero 0
		.amdhsa_exception_fp_ieee_overflow 0
		.amdhsa_exception_fp_ieee_underflow 0
		.amdhsa_exception_fp_ieee_inexact 0
		.amdhsa_exception_int_div_zero 0
	.end_amdhsa_kernel
	.section	.text._ZN9rocsolver6v33100L10rot_kernelIddiEEvT1_PT0_S2_S4_S2_T_S5_,"axG",@progbits,_ZN9rocsolver6v33100L10rot_kernelIddiEEvT1_PT0_S2_S4_S2_T_S5_,comdat
.Lfunc_end61:
	.size	_ZN9rocsolver6v33100L10rot_kernelIddiEEvT1_PT0_S2_S4_S2_T_S5_, .Lfunc_end61-_ZN9rocsolver6v33100L10rot_kernelIddiEEvT1_PT0_S2_S4_S2_T_S5_
                                        ; -- End function
	.set _ZN9rocsolver6v33100L10rot_kernelIddiEEvT1_PT0_S2_S4_S2_T_S5_.num_vgpr, 16
	.set _ZN9rocsolver6v33100L10rot_kernelIddiEEvT1_PT0_S2_S4_S2_T_S5_.num_agpr, 0
	.set _ZN9rocsolver6v33100L10rot_kernelIddiEEvT1_PT0_S2_S4_S2_T_S5_.numbered_sgpr, 20
	.set _ZN9rocsolver6v33100L10rot_kernelIddiEEvT1_PT0_S2_S4_S2_T_S5_.num_named_barrier, 0
	.set _ZN9rocsolver6v33100L10rot_kernelIddiEEvT1_PT0_S2_S4_S2_T_S5_.private_seg_size, 0
	.set _ZN9rocsolver6v33100L10rot_kernelIddiEEvT1_PT0_S2_S4_S2_T_S5_.uses_vcc, 1
	.set _ZN9rocsolver6v33100L10rot_kernelIddiEEvT1_PT0_S2_S4_S2_T_S5_.uses_flat_scratch, 0
	.set _ZN9rocsolver6v33100L10rot_kernelIddiEEvT1_PT0_S2_S4_S2_T_S5_.has_dyn_sized_stack, 0
	.set _ZN9rocsolver6v33100L10rot_kernelIddiEEvT1_PT0_S2_S4_S2_T_S5_.has_recursion, 0
	.set _ZN9rocsolver6v33100L10rot_kernelIddiEEvT1_PT0_S2_S4_S2_T_S5_.has_indirect_call, 0
	.section	.AMDGPU.csdata,"",@progbits
; Kernel info:
; codeLenInByte = 564
; TotalNumSgprs: 22
; NumVgprs: 16
; ScratchSize: 0
; MemoryBound: 0
; FloatMode: 240
; IeeeMode: 1
; LDSByteSize: 0 bytes/workgroup (compile time only)
; SGPRBlocks: 0
; VGPRBlocks: 0
; NumSGPRsForWavesPerEU: 22
; NumVGPRsForWavesPerEU: 16
; NamedBarCnt: 0
; Occupancy: 16
; WaveLimiterHint : 0
; COMPUTE_PGM_RSRC2:SCRATCH_EN: 0
; COMPUTE_PGM_RSRC2:USER_SGPR: 2
; COMPUTE_PGM_RSRC2:TRAP_HANDLER: 0
; COMPUTE_PGM_RSRC2:TGID_X_EN: 1
; COMPUTE_PGM_RSRC2:TGID_Y_EN: 0
; COMPUTE_PGM_RSRC2:TGID_Z_EN: 0
; COMPUTE_PGM_RSRC2:TIDIG_COMP_CNT: 0
	.section	.text._ZN9rocsolver6v33100L11lasr_kernelIddPdiEEv13rocblas_side_14rocblas_pivot_15rocblas_direct_T2_S6_PT0_lS8_lT1_lS6_lS6_,"axG",@progbits,_ZN9rocsolver6v33100L11lasr_kernelIddPdiEEv13rocblas_side_14rocblas_pivot_15rocblas_direct_T2_S6_PT0_lS8_lT1_lS6_lS6_,comdat
	.globl	_ZN9rocsolver6v33100L11lasr_kernelIddPdiEEv13rocblas_side_14rocblas_pivot_15rocblas_direct_T2_S6_PT0_lS8_lT1_lS6_lS6_ ; -- Begin function _ZN9rocsolver6v33100L11lasr_kernelIddPdiEEv13rocblas_side_14rocblas_pivot_15rocblas_direct_T2_S6_PT0_lS8_lT1_lS6_lS6_
	.p2align	8
	.type	_ZN9rocsolver6v33100L11lasr_kernelIddPdiEEv13rocblas_side_14rocblas_pivot_15rocblas_direct_T2_S6_PT0_lS8_lT1_lS6_lS6_,@function
_ZN9rocsolver6v33100L11lasr_kernelIddPdiEEv13rocblas_side_14rocblas_pivot_15rocblas_direct_T2_S6_PT0_lS8_lT1_lS6_lS6_: ; @_ZN9rocsolver6v33100L11lasr_kernelIddPdiEEv13rocblas_side_14rocblas_pivot_15rocblas_direct_T2_S6_PT0_lS8_lT1_lS6_lS6_
; %bb.0:
	s_load_b32 s33, s[0:1], 0x58
	s_bfe_u32 s2, ttmp6, 0x40014
	s_lshr_b32 s3, ttmp7, 16
	s_add_co_i32 s2, s2, 1
	s_bfe_u32 s5, ttmp6, 0x40008
	s_mul_i32 s2, s3, s2
	s_getreg_b32 s4, hwreg(HW_REG_IB_STS2, 6, 4)
	s_add_co_i32 s5, s5, s2
	s_cmp_eq_u32 s4, 0
	s_cselect_b32 s2, s3, s5
	s_mov_b32 s3, 0
	s_wait_kmcnt 0x0
	s_cmp_ge_u32 s2, s33
	s_cbranch_scc1 .LBB62_108
; %bb.1:
	s_clause 0x3
	s_load_b32 s20, s[0:1], 0x48
	s_load_b64 s[22:23], s[0:1], 0x68
	s_load_b128 s[16:19], s[0:1], 0x38
	s_load_b128 s[12:15], s[0:1], 0x0
	s_bfe_u32 s5, ttmp6, 0x4000c
	s_and_b32 s6, ttmp6, 15
	s_add_co_i32 s5, s5, 1
	s_load_b32 s24, s[0:1], 0x60
	s_mul_i32 s5, ttmp9, s5
	s_mov_b32 s37, s3
	s_add_co_i32 s6, s6, s5
	s_mov_b32 s49, s3
	s_wait_kmcnt 0x0
	s_ashr_i32 s21, s20, 31
	s_and_b32 s25, s23, 0xffff
	s_cmp_eq_u32 s4, 0
	s_load_b32 s23, s[0:1], 0x10
	s_cselect_b32 s26, ttmp9, s6
	s_lshl_b64 s[46:47], s[18:19], 3
	v_mad_u32 v0, s26, s25, v0
	s_cmp_eq_u32 s12, 0x8d
	s_load_b64 s[18:19], s[0:1], 0x50
	s_cselect_b32 s27, -1, 0
	s_cmp_eq_u32 s12, 0x8e
	s_load_b256 s[4:11], s[0:1], 0x18
	s_cselect_b32 s28, -1, 0
	s_cmp_eq_u32 s13, 0x119
	s_mul_i32 s12, s24, s25
	s_cselect_b32 s29, -1, 0
	s_cmp_eq_u32 s13, 0x11b
	v_ashrrev_i32_e32 v1, 31, v0
	s_wait_xcnt 0x0
	s_cselect_b32 s0, -1, 0
	s_cmp_eq_u32 s13, 0x11a
	s_add_nc_u64 s[24:25], s[16:17], s[46:47]
	s_cselect_b32 s1, -1, 0
	v_mul_u64_e32 v[8:9], s[20:21], v[0:1]
	s_cmp_eq_u32 s14, 0xab
	v_lshlrev_b64_e32 v[10:11], 3, v[0:1]
	s_cselect_b32 s13, -1, 0
	s_cmp_eq_u32 s14, 0xac
	v_mov_b32_e32 v1, 0
	s_cselect_b32 s30, -1, 0
	s_and_b32 s26, s27, s1
	s_and_b32 s14, s27, s29
	;; [unrolled: 1-line block ×6, first 2 shown]
	s_xor_b32 s78, s26, -1
	s_and_b32 s26, s28, s29
	s_and_b32 s1, s28, s1
	;; [unrolled: 1-line block ×3, first 2 shown]
	v_cmp_gt_i32_e64 s0, s15, v0
	s_and_b32 s34, s14, s30
	s_xor_b32 s14, s31, -1
	s_and_b32 s31, s27, s13
	s_and_b32 s27, s27, s30
	;; [unrolled: 1-line block ×3, first 2 shown]
	s_xor_b32 s80, s27, -1
	s_and_b32 s26, s26, s30
	s_and_b32 s27, s1, s13
	;; [unrolled: 1-line block ×3, first 2 shown]
	s_xor_b32 s82, s26, -1
	s_and_b32 s13, s28, s13
	s_xor_b32 s84, s1, -1
	s_wait_kmcnt 0x0
	s_add_co_i32 s26, s23, -1
	s_and_b32 s1, s30, s0
	s_xor_b32 s76, s34, -1
	s_xor_b32 s77, s35, -1
	;; [unrolled: 1-line block ×6, first 2 shown]
	s_ashr_i32 s27, s26, 31
	s_and_b32 s86, s28, s1
	s_add_co_i32 s36, s23, -2
	s_cmp_gt_i32 s23, 1
	s_mul_u64 s[28:29], s[20:21], s[26:27]
	s_mov_b32 s27, s3
	s_cselect_b32 s87, -1, 0
	s_ashr_i32 s31, s15, 31
	s_add_co_i32 s48, s15, -2
	s_cmp_gt_i32 s15, 1
	s_mul_u64 s[50:51], s[20:21], s[26:27]
	s_cselect_b32 s88, -1, 0
	s_lshl_b64 s[50:51], s[50:51], 3
	s_lshl_b64 s[42:43], s[20:21], 3
	s_add_nc_u64 s[50:51], s[50:51], s[46:47]
	s_lshl_b64 s[38:39], s[36:37], 3
	s_mul_u64 s[36:37], s[20:21], s[36:37]
	s_add_nc_u64 s[50:51], s[16:17], s[50:51]
	s_add_nc_u64 s[52:53], s[46:47], s[42:43]
	s_lshl_b64 s[36:37], s[36:37], 3
	v_add_nc_u64_e32 v[6:7], s[50:51], v[10:11]
	s_add_nc_u64 s[50:51], s[16:17], s[52:53]
	v_lshl_add_u64 v[14:15], v[8:9], 3, s[46:47]
	s_add_nc_u64 s[40:41], s[36:37], s[46:47]
	v_add_nc_u64_e32 v[8:9], s[50:51], v[10:11]
	s_lshl_b64 s[50:51], s[48:49], 3
	s_add_nc_u64 s[34:35], s[4:5], s[38:39]
	s_add_nc_u64 s[36:37], s[8:9], s[38:39]
	s_add_nc_u64 s[38:39], s[16:17], s[40:41]
	s_add_nc_u64 s[48:49], s[16:17], s[50:51]
	v_add_nc_u64_e32 v[2:3], s[38:39], v[10:11]
	v_add_nc_u64_e32 v[4:5], s[24:25], v[10:11]
	;; [unrolled: 1-line block ×4, first 2 shown]
	s_add_co_i32 s46, s15, -1
	s_mov_b32 s47, s3
	s_ashr_i32 s13, s12, 31
	s_lshl_b64 s[52:53], s[46:47], 3
	v_cmp_gt_i32_e64 s1, s23, v0
	s_add_nc_u64 s[16:17], s[16:17], s[52:53]
	v_add_nc_u64_e32 v[16:17], 8, v[10:11]
	v_add_nc_u64_e32 v[14:15], s[16:17], v[14:15]
	;; [unrolled: 1-line block ×3, first 2 shown]
	s_mul_u64 s[52:53], s[20:21], s[12:13]
	s_mov_b32 s30, s15
	s_lshl_b64 s[6:7], s[6:7], 3
	s_lshl_b64 s[10:11], s[10:11], 3
	;; [unrolled: 1-line block ×4, first 2 shown]
	s_sub_nc_u64 s[44:45], 0, s[42:43]
	s_add_co_i32 s27, s23, 1
	s_add_nc_u64 s[48:49], s[4:5], s[50:51]
	s_add_nc_u64 s[16:17], s[8:9], s[50:51]
	s_lshl_b64 s[50:51], s[52:53], 3
	s_add_co_i32 s13, s15, 1
	s_branch .LBB62_4
.LBB62_2:                               ;   in Loop: Header=BB62_4 Depth=1
	s_or_b32 exec_lo, exec_lo, s47
.LBB62_3:                               ;   in Loop: Header=BB62_4 Depth=1
	s_add_co_i32 s2, s2, s22
	s_delay_alu instid0(SALU_CYCLE_1)
	s_cmp_ge_u32 s2, s33
	s_cbranch_scc1 .LBB62_108
.LBB62_4:                               ; =>This Loop Header: Depth=1
                                        ;     Child Loop BB62_19 Depth 2
                                        ;       Child Loop BB62_20 Depth 3
                                        ;     Child Loop BB62_26 Depth 2
                                        ;       Child Loop BB62_27 Depth 3
	;; [unrolled: 2-line block ×12, first 2 shown]
	s_mul_u64 s[62:63], s[38:39], s[2:3]
	s_mul_u64 s[54:55], s[18:19], s[2:3]
	v_add_nc_u64_e32 v[20:21], s[62:63], v[16:17]
	s_mul_u64 s[64:65], s[6:7], s[2:3]
	s_mul_u64 s[66:67], s[10:11], s[2:3]
	s_lshl_b64 s[56:57], s[54:55], 3
	s_add_nc_u64 s[52:53], s[4:5], s[64:65]
	s_add_nc_u64 s[54:55], s[8:9], s[66:67]
	;; [unrolled: 1-line block ×3, first 2 shown]
	s_and_b32 vcc_lo, exec_lo, s14
	s_mov_b32 s47, -1
	s_cbranch_vccnz .LBB62_6
; %bb.5:                                ;   in Loop: Header=BB62_4 Depth=1
	s_and_not1_b32 vcc_lo, exec_lo, s47
	s_cbranch_vccnz .LBB62_3
	s_branch .LBB62_103
.LBB62_6:                               ;   in Loop: Header=BB62_4 Depth=1
	s_add_nc_u64 s[58:59], s[48:49], s[64:65]
	s_add_nc_u64 s[60:61], s[16:17], s[66:67]
	s_and_b32 vcc_lo, exec_lo, s76
	s_cbranch_vccz .LBB62_95
; %bb.7:                                ;   in Loop: Header=BB62_4 Depth=1
	s_and_b32 vcc_lo, exec_lo, s77
	s_cbranch_vccz .LBB62_87
; %bb.8:                                ;   in Loop: Header=BB62_4 Depth=1
	;; [unrolled: 3-line block ×3, first 2 shown]
	s_and_b32 vcc_lo, exec_lo, s79
	s_cbranch_vccz .LBB62_71
; %bb.10:                               ;   in Loop: Header=BB62_4 Depth=1
	s_and_b32 vcc_lo, exec_lo, s80
	s_cbranch_vccz .LBB62_63
; %bb.11:                               ;   in Loop: Header=BB62_4 Depth=1
	v_add_nc_u64_e32 v[22:23], s[62:63], v[4:5]
	s_and_b32 vcc_lo, exec_lo, s81
	s_cbranch_vccz .LBB62_55
; %bb.12:                               ;   in Loop: Header=BB62_4 Depth=1
	v_add_nc_u64_e32 v[24:25], s[62:63], v[6:7]
	v_add_nc_u64_e32 v[26:27], s[62:63], v[2:3]
	s_add_nc_u64 s[64:65], s[34:35], s[64:65]
	s_add_nc_u64 s[66:67], s[36:37], s[66:67]
	s_and_b32 vcc_lo, exec_lo, s82
	s_cbranch_vccz .LBB62_46
; %bb.13:                               ;   in Loop: Header=BB62_4 Depth=1
	s_and_b32 vcc_lo, exec_lo, s83
	s_cbranch_vccz .LBB62_38
; %bb.14:                               ;   in Loop: Header=BB62_4 Depth=1
	;; [unrolled: 3-line block ×4, first 2 shown]
	s_and_saveexec_b32 s47, s86
	s_cbranch_execz .LBB62_21
; %bb.17:                               ;   in Loop: Header=BB62_4 Depth=1
	v_mov_b64_e32 v[28:29], v[26:27]
	v_mov_b32_e32 v30, v0
	s_lshl_b64 s[68:69], s[28:29], 3
	s_mov_b32 s74, 0
	s_add_nc_u64 s[68:69], s[56:57], s[68:69]
	s_branch .LBB62_19
.LBB62_18:                              ;   in Loop: Header=BB62_19 Depth=2
	v_ashrrev_i32_e32 v31, 31, v30
	v_add_nc_u64_e32 v[28:29], s[40:41], v[28:29]
	s_delay_alu instid0(VALU_DEP_2)
	v_lshl_add_u64 v[34:35], v[30:31], 3, s[68:69]
	s_wait_xcnt 0x0
	v_add_nc_u32_e32 v30, s12, v30
	s_wait_loadcnt 0x0
	global_store_b64 v[34:35], v[32:33], off
	v_cmp_le_i32_e32 vcc_lo, s15, v30
	s_or_b32 s74, vcc_lo, s74
	s_wait_xcnt 0x0
	s_and_not1_b32 exec_lo, exec_lo, s74
	s_cbranch_execz .LBB62_21
.LBB62_19:                              ;   Parent Loop BB62_4 Depth=1
                                        ; =>  This Loop Header: Depth=2
                                        ;       Child Loop BB62_20 Depth 3
	global_load_b64 v[32:33], v30, s[68:69] scale_offset
	v_mov_b64_e32 v[34:35], v[28:29]
	s_and_not1_b32 vcc_lo, exec_lo, s87
	s_mov_b64 s[70:71], s[66:67]
	s_mov_b64 s[72:73], s[64:65]
	s_mov_b32 s75, s26
	s_cbranch_vccnz .LBB62_18
.LBB62_20:                              ;   Parent Loop BB62_4 Depth=1
                                        ;     Parent Loop BB62_19 Depth=2
                                        ; =>    This Inner Loop Header: Depth=3
	global_load_b64 v[36:37], v[34:35], off
	s_clause 0x1
	global_load_b64 v[38:39], v1, s[72:73]
	global_load_b64 v[40:41], v1, s[70:71]
	s_add_co_i32 s75, s75, -1
	s_wait_xcnt 0x1
	s_add_nc_u64 s[72:73], s[72:73], -8
	s_cmp_eq_u32 s75, 0
	s_wait_xcnt 0x0
	s_add_nc_u64 s[70:71], s[70:71], -8
	s_wait_loadcnt 0x1
	v_mul_f64_e32 v[42:43], v[38:39], v[36:37]
	s_wait_loadcnt 0x0
	v_mul_f64_e32 v[36:37], v[40:41], v[36:37]
	s_delay_alu instid0(VALU_DEP_2) | instskip(NEXT) | instid1(VALU_DEP_2)
	v_fmac_f64_e32 v[42:43], v[32:33], v[40:41]
	v_fma_f64 v[32:33], v[32:33], v[38:39], -v[36:37]
	global_store_b64 v[34:35], v[42:43], off
	s_wait_xcnt 0x0
	v_add_nc_u64_e32 v[34:35], s[44:45], v[34:35]
	s_cbranch_scc0 .LBB62_20
	s_branch .LBB62_18
.LBB62_21:                              ;   in Loop: Header=BB62_4 Depth=1
	s_or_b32 exec_lo, exec_lo, s47
	s_mov_b32 s47, 0
.LBB62_22:                              ;   in Loop: Header=BB62_4 Depth=1
	s_delay_alu instid0(SALU_CYCLE_1)
	s_and_not1_b32 vcc_lo, exec_lo, s47
	s_cbranch_vccnz .LBB62_29
; %bb.23:                               ;   in Loop: Header=BB62_4 Depth=1
	s_and_saveexec_b32 s47, s0
	s_cbranch_execz .LBB62_28
; %bb.24:                               ;   in Loop: Header=BB62_4 Depth=1
	v_mov_b64_e32 v[28:29], v[22:23]
	v_mov_b32_e32 v30, v0
	s_lshl_b64 s[68:69], s[28:29], 3
	s_mov_b32 s74, 0
	s_add_nc_u64 s[68:69], s[56:57], s[68:69]
	s_branch .LBB62_26
.LBB62_25:                              ;   in Loop: Header=BB62_26 Depth=2
	v_ashrrev_i32_e32 v31, 31, v30
	v_add_nc_u64_e32 v[28:29], s[40:41], v[28:29]
	s_delay_alu instid0(VALU_DEP_2)
	v_lshl_add_u64 v[34:35], v[30:31], 3, s[68:69]
	s_wait_xcnt 0x0
	v_add_nc_u32_e32 v30, s12, v30
	s_wait_loadcnt 0x0
	global_store_b64 v[34:35], v[32:33], off
	v_cmp_le_i32_e32 vcc_lo, s15, v30
	s_or_b32 s74, vcc_lo, s74
	s_wait_xcnt 0x0
	s_and_not1_b32 exec_lo, exec_lo, s74
	s_cbranch_execz .LBB62_28
.LBB62_26:                              ;   Parent Loop BB62_4 Depth=1
                                        ; =>  This Loop Header: Depth=2
                                        ;       Child Loop BB62_27 Depth 3
	global_load_b64 v[32:33], v30, s[68:69] scale_offset
	v_mov_b64_e32 v[34:35], v[28:29]
	s_and_not1_b32 vcc_lo, exec_lo, s87
	s_mov_b64 s[70:71], s[54:55]
	s_mov_b64 s[72:73], s[52:53]
	s_mov_b32 s75, s26
	s_cbranch_vccnz .LBB62_25
.LBB62_27:                              ;   Parent Loop BB62_4 Depth=1
                                        ;     Parent Loop BB62_26 Depth=2
                                        ; =>    This Inner Loop Header: Depth=3
	global_load_b64 v[36:37], v[34:35], off
	s_clause 0x1
	global_load_b64 v[38:39], v1, s[72:73]
	global_load_b64 v[40:41], v1, s[70:71]
	s_add_co_i32 s75, s75, -1
	s_wait_xcnt 0x1
	s_add_nc_u64 s[72:73], s[72:73], 8
	s_cmp_eq_u32 s75, 0
	s_wait_xcnt 0x0
	s_add_nc_u64 s[70:71], s[70:71], 8
	s_wait_loadcnt 0x1
	v_mul_f64_e32 v[42:43], v[38:39], v[36:37]
	s_wait_loadcnt 0x0
	v_mul_f64_e32 v[36:37], v[40:41], v[36:37]
	s_delay_alu instid0(VALU_DEP_2) | instskip(NEXT) | instid1(VALU_DEP_2)
	v_fmac_f64_e32 v[42:43], v[32:33], v[40:41]
	v_fma_f64 v[32:33], v[32:33], v[38:39], -v[36:37]
	global_store_b64 v[34:35], v[42:43], off
	s_wait_xcnt 0x0
	v_add_nc_u64_e32 v[34:35], s[42:43], v[34:35]
	s_cbranch_scc0 .LBB62_27
	s_branch .LBB62_25
.LBB62_28:                              ;   in Loop: Header=BB62_4 Depth=1
	s_or_b32 exec_lo, exec_lo, s47
.LBB62_29:                              ;   in Loop: Header=BB62_4 Depth=1
	s_mov_b32 s47, 0
.LBB62_30:                              ;   in Loop: Header=BB62_4 Depth=1
	s_delay_alu instid0(SALU_CYCLE_1)
	s_and_not1_b32 vcc_lo, exec_lo, s47
	s_cbranch_vccnz .LBB62_37
; %bb.31:                               ;   in Loop: Header=BB62_4 Depth=1
	s_and_saveexec_b32 s47, s0
	s_cbranch_execz .LBB62_36
; %bb.32:                               ;   in Loop: Header=BB62_4 Depth=1
	v_mov_b64_e32 v[28:29], v[24:25]
	v_mov_b32_e32 v30, v0
	s_mov_b32 s72, 0
	s_branch .LBB62_34
.LBB62_33:                              ;   in Loop: Header=BB62_34 Depth=2
	v_ashrrev_i32_e32 v31, 31, v30
	v_add_nc_u64_e32 v[28:29], s[40:41], v[28:29]
	s_delay_alu instid0(VALU_DEP_2)
	v_lshl_add_u64 v[34:35], v[30:31], 3, s[56:57]
	s_wait_xcnt 0x0
	v_add_nc_u32_e32 v30, s12, v30
	s_wait_loadcnt 0x0
	global_store_b64 v[34:35], v[32:33], off
	v_cmp_le_i32_e32 vcc_lo, s15, v30
	s_or_b32 s72, vcc_lo, s72
	s_wait_xcnt 0x0
	s_and_not1_b32 exec_lo, exec_lo, s72
	s_cbranch_execz .LBB62_36
.LBB62_34:                              ;   Parent Loop BB62_4 Depth=1
                                        ; =>  This Loop Header: Depth=2
                                        ;       Child Loop BB62_35 Depth 3
	global_load_b64 v[32:33], v30, s[56:57] scale_offset
	v_mov_b64_e32 v[34:35], v[28:29]
	s_and_not1_b32 vcc_lo, exec_lo, s87
	s_mov_b64 s[68:69], s[66:67]
	s_mov_b64 s[70:71], s[64:65]
	s_mov_b32 s73, s27
	s_cbranch_vccnz .LBB62_33
.LBB62_35:                              ;   Parent Loop BB62_4 Depth=1
                                        ;     Parent Loop BB62_34 Depth=2
                                        ; =>    This Inner Loop Header: Depth=3
	s_clause 0x1
	global_load_b64 v[36:37], v1, s[68:69]
	global_load_b64 v[38:39], v1, s[70:71]
	global_load_b64 v[40:41], v[34:35], off
	s_wait_loadcnt 0x3
	v_mov_b64_e32 v[42:43], v[32:33]
	s_add_co_i32 s73, s73, -1
	s_wait_xcnt 0x1
	s_add_nc_u64 s[70:71], s[70:71], -8
	s_cmp_lt_u32 s73, 3
	s_add_nc_u64 s[68:69], s[68:69], -8
	s_wait_loadcnt 0x2
	v_mul_f64_e32 v[44:45], v[42:43], v[36:37]
	s_wait_loadcnt 0x0
	v_mul_f64_e32 v[32:33], v[36:37], v[40:41]
	s_delay_alu instid0(VALU_DEP_2) | instskip(NEXT) | instid1(VALU_DEP_2)
	v_fma_f64 v[36:37], v[38:39], v[40:41], -v[44:45]
	v_fmac_f64_e32 v[32:33], v[42:43], v[38:39]
	global_store_b64 v[34:35], v[36:37], off
	s_wait_xcnt 0x0
	v_add_nc_u64_e32 v[34:35], s[44:45], v[34:35]
	s_cbranch_scc0 .LBB62_35
	s_branch .LBB62_33
.LBB62_36:                              ;   in Loop: Header=BB62_4 Depth=1
	s_or_b32 exec_lo, exec_lo, s47
.LBB62_37:                              ;   in Loop: Header=BB62_4 Depth=1
	s_mov_b32 s47, 0
.LBB62_38:                              ;   in Loop: Header=BB62_4 Depth=1
	s_delay_alu instid0(SALU_CYCLE_1)
	s_and_not1_b32 vcc_lo, exec_lo, s47
	s_cbranch_vccnz .LBB62_45
; %bb.39:                               ;   in Loop: Header=BB62_4 Depth=1
	s_and_saveexec_b32 s47, s0
	s_cbranch_execz .LBB62_44
; %bb.40:                               ;   in Loop: Header=BB62_4 Depth=1
	v_add_nc_u64_e32 v[28:29], s[62:63], v[8:9]
	v_mov_b32_e32 v30, v0
	s_mov_b32 s72, 0
	s_branch .LBB62_42
.LBB62_41:                              ;   in Loop: Header=BB62_42 Depth=2
	v_ashrrev_i32_e32 v31, 31, v30
	v_add_nc_u64_e32 v[28:29], s[40:41], v[28:29]
	s_delay_alu instid0(VALU_DEP_2)
	v_lshl_add_u64 v[34:35], v[30:31], 3, s[56:57]
	s_wait_xcnt 0x0
	v_add_nc_u32_e32 v30, s12, v30
	s_wait_loadcnt 0x0
	global_store_b64 v[34:35], v[32:33], off
	v_cmp_le_i32_e32 vcc_lo, s15, v30
	s_or_b32 s72, vcc_lo, s72
	s_wait_xcnt 0x0
	s_and_not1_b32 exec_lo, exec_lo, s72
	s_cbranch_execz .LBB62_44
.LBB62_42:                              ;   Parent Loop BB62_4 Depth=1
                                        ; =>  This Loop Header: Depth=2
                                        ;       Child Loop BB62_43 Depth 3
	global_load_b64 v[32:33], v30, s[56:57] scale_offset
	v_mov_b64_e32 v[34:35], v[28:29]
	s_and_not1_b32 vcc_lo, exec_lo, s87
	s_mov_b32 s73, s26
	s_mov_b64 s[68:69], s[52:53]
	s_mov_b64 s[70:71], s[54:55]
	s_cbranch_vccnz .LBB62_41
.LBB62_43:                              ;   Parent Loop BB62_4 Depth=1
                                        ;     Parent Loop BB62_42 Depth=2
                                        ; =>    This Inner Loop Header: Depth=3
	s_clause 0x1
	global_load_b64 v[36:37], v1, s[70:71]
	global_load_b64 v[38:39], v1, s[68:69]
	global_load_b64 v[40:41], v[34:35], off
	s_wait_loadcnt 0x3
	v_mov_b64_e32 v[42:43], v[32:33]
	s_add_co_i32 s73, s73, -1
	s_wait_xcnt 0x2
	s_add_nc_u64 s[70:71], s[70:71], 8
	s_cmp_eq_u32 s73, 0
	s_wait_xcnt 0x1
	s_add_nc_u64 s[68:69], s[68:69], 8
	s_wait_loadcnt 0x2
	v_mul_f64_e32 v[44:45], v[42:43], v[36:37]
	s_wait_loadcnt 0x0
	v_mul_f64_e32 v[32:33], v[36:37], v[40:41]
	s_delay_alu instid0(VALU_DEP_2) | instskip(NEXT) | instid1(VALU_DEP_2)
	v_fma_f64 v[36:37], v[38:39], v[40:41], -v[44:45]
	v_fmac_f64_e32 v[32:33], v[42:43], v[38:39]
	global_store_b64 v[34:35], v[36:37], off
	s_wait_xcnt 0x0
	v_add_nc_u64_e32 v[34:35], s[42:43], v[34:35]
	s_cbranch_scc0 .LBB62_43
	s_branch .LBB62_41
.LBB62_44:                              ;   in Loop: Header=BB62_4 Depth=1
	s_or_b32 exec_lo, exec_lo, s47
.LBB62_45:                              ;   in Loop: Header=BB62_4 Depth=1
	s_mov_b32 s47, 0
.LBB62_46:                              ;   in Loop: Header=BB62_4 Depth=1
	s_delay_alu instid0(SALU_CYCLE_1)
	s_and_not1_b32 vcc_lo, exec_lo, s47
	s_cbranch_vccnz .LBB62_54
; %bb.47:                               ;   in Loop: Header=BB62_4 Depth=1
	s_and_saveexec_b32 s47, s0
	s_cbranch_execz .LBB62_53
; %bb.48:                               ;   in Loop: Header=BB62_4 Depth=1
	v_mov_b32_e32 v28, v0
	s_lshl_b64 s[68:69], s[28:29], 3
	s_mov_b32 s89, 0
	s_add_nc_u64 s[68:69], s[56:57], s[68:69]
	s_branch .LBB62_50
.LBB62_49:                              ;   in Loop: Header=BB62_50 Depth=2
	v_ashrrev_i32_e32 v29, 31, v28
	v_add_nc_u64_e32 v[24:25], s[40:41], v[24:25]
	v_add_nc_u64_e32 v[26:27], s[40:41], v[26:27]
	s_wait_xcnt 0x0
	s_delay_alu instid0(VALU_DEP_3)
	v_lshl_add_u64 v[32:33], v[28:29], 3, s[56:57]
	v_add_nc_u32_e32 v28, s12, v28
	s_wait_loadcnt 0x0
	global_store_b64 v[32:33], v[30:31], off
	v_cmp_le_i32_e32 vcc_lo, s15, v28
	s_or_b32 s89, vcc_lo, s89
	s_wait_xcnt 0x0
	s_and_not1_b32 exec_lo, exec_lo, s89
	s_cbranch_execz .LBB62_53
.LBB62_50:                              ;   Parent Loop BB62_4 Depth=1
                                        ; =>  This Loop Header: Depth=2
                                        ;       Child Loop BB62_52 Depth 3
	global_load_b64 v[30:31], v28, s[68:69] scale_offset
	s_and_not1_b32 vcc_lo, exec_lo, s87
	s_cbranch_vccnz .LBB62_49
; %bb.51:                               ;   in Loop: Header=BB62_50 Depth=2
	s_mov_b64 s[70:71], 0
	s_mov_b64 s[72:73], s[66:67]
	;; [unrolled: 1-line block ×3, first 2 shown]
	s_mov_b32 s90, s26
.LBB62_52:                              ;   Parent Loop BB62_4 Depth=1
                                        ;     Parent Loop BB62_50 Depth=2
                                        ; =>    This Inner Loop Header: Depth=3
	s_wait_xcnt 0x0
	v_add_nc_u64_e32 v[32:33], s[70:71], v[26:27]
	s_wait_loadcnt 0x0
	v_mov_b64_e32 v[38:39], v[30:31]
	s_add_co_i32 s90, s90, -1
	s_clause 0x1
	global_load_b64 v[34:35], v1, s[74:75]
	global_load_b64 v[36:37], v1, s[72:73]
	global_load_b64 v[32:33], v[32:33], off
	s_wait_xcnt 0x2
	s_add_nc_u64 s[74:75], s[74:75], -8
	s_cmp_eq_u32 s90, 0
	s_wait_xcnt 0x1
	s_add_nc_u64 s[72:73], s[72:73], -8
	s_wait_loadcnt 0x0
	v_mul_f64_e32 v[40:41], v[36:37], v[32:33]
	v_mul_f64_e32 v[30:31], v[34:35], v[32:33]
	s_wait_xcnt 0x0
	s_delay_alu instid0(VALU_DEP_2) | instskip(NEXT) | instid1(VALU_DEP_2)
	v_fma_f64 v[32:33], v[38:39], v[34:35], -v[40:41]
	v_fmac_f64_e32 v[30:31], v[38:39], v[36:37]
	v_add_nc_u64_e32 v[34:35], s[70:71], v[24:25]
	s_sub_nc_u64 s[70:71], s[70:71], s[42:43]
	global_store_b64 v[34:35], v[32:33], off
	s_cbranch_scc0 .LBB62_52
	s_branch .LBB62_49
.LBB62_53:                              ;   in Loop: Header=BB62_4 Depth=1
	s_or_b32 exec_lo, exec_lo, s47
.LBB62_54:                              ;   in Loop: Header=BB62_4 Depth=1
	s_mov_b32 s47, 0
.LBB62_55:                              ;   in Loop: Header=BB62_4 Depth=1
	s_delay_alu instid0(SALU_CYCLE_1)
	s_and_not1_b32 vcc_lo, exec_lo, s47
	s_cbranch_vccnz .LBB62_62
; %bb.56:                               ;   in Loop: Header=BB62_4 Depth=1
	s_and_saveexec_b32 s47, s0
	s_cbranch_execz .LBB62_61
; %bb.57:                               ;   in Loop: Header=BB62_4 Depth=1
	v_mov_b32_e32 v24, v0
	s_lshl_b64 s[64:65], s[28:29], 3
	s_mov_b32 s70, 0
	s_add_nc_u64 s[64:65], s[56:57], s[64:65]
	s_branch .LBB62_59
.LBB62_58:                              ;   in Loop: Header=BB62_59 Depth=2
	v_ashrrev_i32_e32 v25, 31, v24
	v_add_nc_u64_e32 v[22:23], s[40:41], v[22:23]
	s_delay_alu instid0(VALU_DEP_2)
	v_lshl_add_u64 v[28:29], v[24:25], 3, s[64:65]
	s_wait_xcnt 0x0
	v_add_nc_u32_e32 v24, s12, v24
	s_wait_loadcnt 0x0
	global_store_b64 v[28:29], v[26:27], off
	v_cmp_le_i32_e32 vcc_lo, s15, v24
	s_or_b32 s70, vcc_lo, s70
	s_wait_xcnt 0x0
	s_and_not1_b32 exec_lo, exec_lo, s70
	s_cbranch_execz .LBB62_61
.LBB62_59:                              ;   Parent Loop BB62_4 Depth=1
                                        ; =>  This Loop Header: Depth=2
                                        ;       Child Loop BB62_60 Depth 3
	global_load_b64 v[26:27], v24, s[56:57] scale_offset
	v_mov_b64_e32 v[28:29], v[22:23]
	s_and_not1_b32 vcc_lo, exec_lo, s87
	s_mov_b64 s[66:67], s[54:55]
	s_mov_b64 s[68:69], s[52:53]
	s_mov_b32 s71, s26
	s_cbranch_vccnz .LBB62_58
.LBB62_60:                              ;   Parent Loop BB62_4 Depth=1
                                        ;     Parent Loop BB62_59 Depth=2
                                        ; =>    This Inner Loop Header: Depth=3
	s_delay_alu instid0(VALU_DEP_1)
	v_add_nc_u64_e32 v[30:31], s[42:43], v[28:29]
	s_add_co_i32 s71, s71, -1
	global_load_b64 v[32:33], v[30:31], off
	s_clause 0x1
	global_load_b64 v[34:35], v1, s[66:67]
	global_load_b64 v[36:37], v1, s[68:69]
	s_wait_xcnt 0x0
	s_add_nc_u64 s[68:69], s[68:69], 8
	s_cmp_eq_u32 s71, 0
	s_add_nc_u64 s[66:67], s[66:67], 8
	s_wait_loadcnt 0x1
	v_mul_f64_e32 v[38:39], v[34:35], v[32:33]
	v_mul_f64_e32 v[34:35], v[26:27], v[34:35]
	s_wait_loadcnt 0x0
	s_delay_alu instid0(VALU_DEP_2) | instskip(NEXT) | instid1(VALU_DEP_2)
	v_fmac_f64_e32 v[38:39], v[26:27], v[36:37]
	v_fma_f64 v[26:27], v[36:37], v[32:33], -v[34:35]
	global_store_b64 v[28:29], v[38:39], off
	s_wait_xcnt 0x0
	v_mov_b64_e32 v[28:29], v[30:31]
	s_cbranch_scc0 .LBB62_60
	s_branch .LBB62_58
.LBB62_61:                              ;   in Loop: Header=BB62_4 Depth=1
	s_or_b32 exec_lo, exec_lo, s47
.LBB62_62:                              ;   in Loop: Header=BB62_4 Depth=1
	s_mov_b32 s47, 0
.LBB62_63:                              ;   in Loop: Header=BB62_4 Depth=1
	s_delay_alu instid0(SALU_CYCLE_1)
	s_and_not1_b32 vcc_lo, exec_lo, s47
	s_cbranch_vccnz .LBB62_70
; %bb.64:                               ;   in Loop: Header=BB62_4 Depth=1
	s_and_saveexec_b32 s47, s1
	s_cbranch_execz .LBB62_69
; %bb.65:                               ;   in Loop: Header=BB62_4 Depth=1
	v_add_nc_u64_e32 v[22:23], s[62:63], v[12:13]
	v_mov_b32_e32 v24, v0
	s_lshl_b64 s[64:65], s[30:31], 3
	s_mov_b32 s70, 0
	s_add_nc_u64 s[64:65], s[56:57], s[64:65]
	s_branch .LBB62_67
.LBB62_66:                              ;   in Loop: Header=BB62_67 Depth=2
	v_add_nc_u32_e32 v24, s12, v24
	v_add_nc_u64_e32 v[22:23], s[50:51], v[22:23]
	s_wait_loadcnt 0x0
	global_store_b64 v[26:27], v[28:29], off offset:-8
	v_cmp_le_i32_e32 vcc_lo, s23, v24
	s_or_b32 s70, vcc_lo, s70
	s_wait_xcnt 0x0
	s_and_not1_b32 exec_lo, exec_lo, s70
	s_cbranch_execz .LBB62_69
.LBB62_67:                              ;   Parent Loop BB62_4 Depth=1
                                        ; =>  This Loop Header: Depth=2
                                        ;       Child Loop BB62_68 Depth 3
	v_ashrrev_i32_e32 v25, 31, v24
	v_mov_b64_e32 v[30:31], v[22:23]
	s_and_not1_b32 vcc_lo, exec_lo, s88
	s_mov_b64 s[66:67], s[60:61]
	s_mov_b64 s[68:69], s[58:59]
	v_mul_u64_e32 v[26:27], s[20:21], v[24:25]
	s_mov_b32 s71, s46
	s_delay_alu instid0(VALU_DEP_1)
	v_lshl_add_u64 v[26:27], v[26:27], 3, s[64:65]
	global_load_b64 v[28:29], v[26:27], off offset:-8
	s_cbranch_vccnz .LBB62_66
.LBB62_68:                              ;   Parent Loop BB62_4 Depth=1
                                        ;     Parent Loop BB62_67 Depth=2
                                        ; =>    This Inner Loop Header: Depth=3
	global_load_b64 v[32:33], v[30:31], off
	s_clause 0x1
	global_load_b64 v[34:35], v1, s[68:69]
	global_load_b64 v[36:37], v1, s[66:67]
	s_add_co_i32 s71, s71, -1
	s_wait_xcnt 0x1
	s_add_nc_u64 s[68:69], s[68:69], -8
	s_cmp_eq_u32 s71, 0
	s_wait_xcnt 0x0
	s_add_nc_u64 s[66:67], s[66:67], -8
	s_wait_loadcnt 0x1
	v_mul_f64_e32 v[38:39], v[34:35], v[32:33]
	s_wait_loadcnt 0x0
	v_mul_f64_e32 v[32:33], v[36:37], v[32:33]
	s_delay_alu instid0(VALU_DEP_2) | instskip(NEXT) | instid1(VALU_DEP_2)
	v_fmac_f64_e32 v[38:39], v[28:29], v[36:37]
	v_fma_f64 v[28:29], v[28:29], v[34:35], -v[32:33]
	global_store_b64 v[30:31], v[38:39], off
	s_wait_xcnt 0x0
	v_add_nc_u64_e32 v[30:31], -8, v[30:31]
	s_cbranch_scc0 .LBB62_68
	s_branch .LBB62_66
.LBB62_69:                              ;   in Loop: Header=BB62_4 Depth=1
	s_or_b32 exec_lo, exec_lo, s47
.LBB62_70:                              ;   in Loop: Header=BB62_4 Depth=1
	s_mov_b32 s47, 0
.LBB62_71:                              ;   in Loop: Header=BB62_4 Depth=1
	s_delay_alu instid0(SALU_CYCLE_1)
	s_and_not1_b32 vcc_lo, exec_lo, s47
	s_cbranch_vccnz .LBB62_78
; %bb.72:                               ;   in Loop: Header=BB62_4 Depth=1
	s_and_saveexec_b32 s47, s1
	s_cbranch_execz .LBB62_77
; %bb.73:                               ;   in Loop: Header=BB62_4 Depth=1
	v_add_nc_u64_e32 v[22:23], s[62:63], v[10:11]
	v_mov_b32_e32 v24, v0
	s_lshl_b64 s[64:65], s[30:31], 3
	s_mov_b32 s70, 0
	s_add_nc_u64 s[64:65], s[56:57], s[64:65]
	s_branch .LBB62_75
.LBB62_74:                              ;   in Loop: Header=BB62_75 Depth=2
	v_add_nc_u32_e32 v24, s12, v24
	v_add_nc_u64_e32 v[22:23], s[50:51], v[22:23]
	s_wait_loadcnt 0x0
	global_store_b64 v[26:27], v[28:29], off offset:-8
	v_cmp_le_i32_e32 vcc_lo, s23, v24
	s_or_b32 s70, vcc_lo, s70
	s_wait_xcnt 0x0
	s_and_not1_b32 exec_lo, exec_lo, s70
	s_cbranch_execz .LBB62_77
.LBB62_75:                              ;   Parent Loop BB62_4 Depth=1
                                        ; =>  This Loop Header: Depth=2
                                        ;       Child Loop BB62_76 Depth 3
	v_ashrrev_i32_e32 v25, 31, v24
	v_mov_b64_e32 v[30:31], v[22:23]
	s_and_not1_b32 vcc_lo, exec_lo, s88
	s_mov_b64 s[66:67], s[54:55]
	s_mov_b64 s[68:69], s[52:53]
	v_mul_u64_e32 v[26:27], s[20:21], v[24:25]
	s_mov_b32 s71, s46
	s_delay_alu instid0(VALU_DEP_1)
	v_lshl_add_u64 v[26:27], v[26:27], 3, s[64:65]
	global_load_b64 v[28:29], v[26:27], off offset:-8
	s_cbranch_vccnz .LBB62_74
.LBB62_76:                              ;   Parent Loop BB62_4 Depth=1
                                        ;     Parent Loop BB62_75 Depth=2
                                        ; =>    This Inner Loop Header: Depth=3
	global_load_b64 v[32:33], v[30:31], off
	s_clause 0x1
	global_load_b64 v[34:35], v1, s[68:69]
	global_load_b64 v[36:37], v1, s[66:67]
	s_add_co_i32 s71, s71, -1
	s_wait_xcnt 0x1
	s_add_nc_u64 s[68:69], s[68:69], 8
	s_cmp_eq_u32 s71, 0
	s_wait_xcnt 0x0
	s_add_nc_u64 s[66:67], s[66:67], 8
	s_wait_loadcnt 0x1
	v_mul_f64_e32 v[38:39], v[34:35], v[32:33]
	s_wait_loadcnt 0x0
	v_mul_f64_e32 v[32:33], v[36:37], v[32:33]
	s_delay_alu instid0(VALU_DEP_2) | instskip(NEXT) | instid1(VALU_DEP_2)
	v_fmac_f64_e32 v[38:39], v[28:29], v[36:37]
	v_fma_f64 v[28:29], v[28:29], v[34:35], -v[32:33]
	global_store_b64 v[30:31], v[38:39], off
	s_wait_xcnt 0x0
	v_add_nc_u64_e32 v[30:31], 8, v[30:31]
	s_cbranch_scc0 .LBB62_76
	s_branch .LBB62_74
.LBB62_77:                              ;   in Loop: Header=BB62_4 Depth=1
	s_or_b32 exec_lo, exec_lo, s47
.LBB62_78:                              ;   in Loop: Header=BB62_4 Depth=1
	s_mov_b32 s47, 0
.LBB62_79:                              ;   in Loop: Header=BB62_4 Depth=1
	s_delay_alu instid0(SALU_CYCLE_1)
	s_and_not1_b32 vcc_lo, exec_lo, s47
	s_cbranch_vccnz .LBB62_86
; %bb.80:                               ;   in Loop: Header=BB62_4 Depth=1
	s_and_saveexec_b32 s47, s1
	s_cbranch_execz .LBB62_85
; %bb.81:                               ;   in Loop: Header=BB62_4 Depth=1
	v_add_nc_u64_e32 v[22:23], s[62:63], v[14:15]
	v_mov_b32_e32 v24, v0
	s_mov_b32 s68, 0
	s_branch .LBB62_83
.LBB62_82:                              ;   in Loop: Header=BB62_83 Depth=2
	v_add_nc_u32_e32 v24, s12, v24
	v_add_nc_u64_e32 v[22:23], s[50:51], v[22:23]
	s_wait_loadcnt 0x0
	global_store_b64 v[26:27], v[28:29], off
	v_cmp_le_i32_e32 vcc_lo, s23, v24
	s_or_b32 s68, vcc_lo, s68
	s_wait_xcnt 0x0
	s_and_not1_b32 exec_lo, exec_lo, s68
	s_cbranch_execz .LBB62_85
.LBB62_83:                              ;   Parent Loop BB62_4 Depth=1
                                        ; =>  This Loop Header: Depth=2
                                        ;       Child Loop BB62_84 Depth 3
	s_delay_alu instid0(VALU_DEP_1) | instskip(NEXT) | instid1(VALU_DEP_3)
	v_ashrrev_i32_e32 v25, 31, v24
	v_mov_b64_e32 v[30:31], v[22:23]
	s_and_not1_b32 vcc_lo, exec_lo, s88
	s_mov_b64 s[64:65], s[60:61]
	s_mov_b64 s[66:67], s[58:59]
	v_mul_u64_e32 v[26:27], s[20:21], v[24:25]
	s_mov_b32 s69, s13
	s_delay_alu instid0(VALU_DEP_1)
	v_lshl_add_u64 v[26:27], v[26:27], 3, s[56:57]
	global_load_b64 v[28:29], v[26:27], off
	s_cbranch_vccnz .LBB62_82
.LBB62_84:                              ;   Parent Loop BB62_4 Depth=1
                                        ;     Parent Loop BB62_83 Depth=2
                                        ; =>    This Inner Loop Header: Depth=3
	s_clause 0x1
	global_load_b64 v[32:33], v1, s[64:65]
	global_load_b64 v[34:35], v1, s[66:67]
	global_load_b64 v[36:37], v[30:31], off
	s_wait_loadcnt 0x3
	v_mov_b64_e32 v[38:39], v[28:29]
	s_add_co_i32 s69, s69, -1
	s_wait_xcnt 0x1
	s_add_nc_u64 s[66:67], s[66:67], -8
	s_cmp_lt_u32 s69, 3
	s_add_nc_u64 s[64:65], s[64:65], -8
	s_wait_loadcnt 0x2
	v_mul_f64_e32 v[40:41], v[38:39], v[32:33]
	s_wait_loadcnt 0x0
	v_mul_f64_e32 v[28:29], v[32:33], v[36:37]
	s_delay_alu instid0(VALU_DEP_2) | instskip(NEXT) | instid1(VALU_DEP_2)
	v_fma_f64 v[32:33], v[34:35], v[36:37], -v[40:41]
	v_fmac_f64_e32 v[28:29], v[38:39], v[34:35]
	global_store_b64 v[30:31], v[32:33], off
	s_wait_xcnt 0x0
	v_add_nc_u64_e32 v[30:31], -8, v[30:31]
	s_cbranch_scc0 .LBB62_84
	s_branch .LBB62_82
.LBB62_85:                              ;   in Loop: Header=BB62_4 Depth=1
	s_or_b32 exec_lo, exec_lo, s47
.LBB62_86:                              ;   in Loop: Header=BB62_4 Depth=1
	s_mov_b32 s47, 0
.LBB62_87:                              ;   in Loop: Header=BB62_4 Depth=1
	s_delay_alu instid0(SALU_CYCLE_1)
	s_and_not1_b32 vcc_lo, exec_lo, s47
	s_cbranch_vccnz .LBB62_94
; %bb.88:                               ;   in Loop: Header=BB62_4 Depth=1
	s_and_saveexec_b32 s47, s1
	s_cbranch_execz .LBB62_93
; %bb.89:                               ;   in Loop: Header=BB62_4 Depth=1
	v_mov_b64_e32 v[22:23], v[20:21]
	v_mov_b32_e32 v24, v0
	s_mov_b32 s68, 0
	s_branch .LBB62_91
.LBB62_90:                              ;   in Loop: Header=BB62_91 Depth=2
	v_add_nc_u32_e32 v24, s12, v24
	v_add_nc_u64_e32 v[22:23], s[50:51], v[22:23]
	s_wait_loadcnt 0x0
	global_store_b64 v[26:27], v[28:29], off
	v_cmp_le_i32_e32 vcc_lo, s23, v24
	s_or_b32 s68, vcc_lo, s68
	s_wait_xcnt 0x0
	s_and_not1_b32 exec_lo, exec_lo, s68
	s_cbranch_execz .LBB62_93
.LBB62_91:                              ;   Parent Loop BB62_4 Depth=1
                                        ; =>  This Loop Header: Depth=2
                                        ;       Child Loop BB62_92 Depth 3
	s_delay_alu instid0(VALU_DEP_1) | instskip(NEXT) | instid1(VALU_DEP_3)
	v_ashrrev_i32_e32 v25, 31, v24
	v_mov_b64_e32 v[30:31], v[22:23]
	s_and_not1_b32 vcc_lo, exec_lo, s88
	s_mov_b32 s69, s46
	s_mov_b64 s[64:65], s[52:53]
	v_mul_u64_e32 v[26:27], s[20:21], v[24:25]
	s_mov_b64 s[66:67], s[54:55]
	s_delay_alu instid0(VALU_DEP_1)
	v_lshl_add_u64 v[26:27], v[26:27], 3, s[56:57]
	global_load_b64 v[28:29], v[26:27], off
	s_cbranch_vccnz .LBB62_90
.LBB62_92:                              ;   Parent Loop BB62_4 Depth=1
                                        ;     Parent Loop BB62_91 Depth=2
                                        ; =>    This Inner Loop Header: Depth=3
	s_clause 0x1
	global_load_b64 v[32:33], v1, s[66:67]
	global_load_b64 v[34:35], v1, s[64:65]
	global_load_b64 v[36:37], v[30:31], off
	s_wait_loadcnt 0x3
	v_mov_b64_e32 v[38:39], v[28:29]
	s_add_co_i32 s69, s69, -1
	s_wait_xcnt 0x2
	s_add_nc_u64 s[66:67], s[66:67], 8
	s_cmp_eq_u32 s69, 0
	s_wait_xcnt 0x1
	s_add_nc_u64 s[64:65], s[64:65], 8
	s_wait_loadcnt 0x2
	v_mul_f64_e32 v[40:41], v[38:39], v[32:33]
	s_wait_loadcnt 0x0
	v_mul_f64_e32 v[28:29], v[32:33], v[36:37]
	s_delay_alu instid0(VALU_DEP_2) | instskip(NEXT) | instid1(VALU_DEP_2)
	v_fma_f64 v[32:33], v[34:35], v[36:37], -v[40:41]
	v_fmac_f64_e32 v[28:29], v[38:39], v[34:35]
	global_store_b64 v[30:31], v[32:33], off
	s_wait_xcnt 0x0
	v_add_nc_u64_e32 v[30:31], 8, v[30:31]
	s_cbranch_scc0 .LBB62_92
	s_branch .LBB62_90
.LBB62_93:                              ;   in Loop: Header=BB62_4 Depth=1
	s_or_b32 exec_lo, exec_lo, s47
.LBB62_94:                              ;   in Loop: Header=BB62_4 Depth=1
	s_mov_b32 s47, 0
.LBB62_95:                              ;   in Loop: Header=BB62_4 Depth=1
	s_delay_alu instid0(SALU_CYCLE_1)
	s_and_not1_b32 vcc_lo, exec_lo, s47
	s_cbranch_vccnz .LBB62_102
; %bb.96:                               ;   in Loop: Header=BB62_4 Depth=1
	s_and_saveexec_b32 s47, s1
	s_cbranch_execz .LBB62_101
; %bb.97:                               ;   in Loop: Header=BB62_4 Depth=1
	v_add_nc_u64_e32 v[22:23], s[62:63], v[18:19]
	v_mov_b32_e32 v24, v0
	s_lshl_b64 s[62:63], s[30:31], 3
	s_mov_b32 s68, 0
	s_add_nc_u64 s[62:63], s[56:57], s[62:63]
	s_branch .LBB62_99
.LBB62_98:                              ;   in Loop: Header=BB62_99 Depth=2
	v_add_nc_u32_e32 v24, s12, v24
	v_add_nc_u64_e32 v[22:23], s[50:51], v[22:23]
	v_lshl_add_u64 v[26:27], v[26:27], 3, s[56:57]
	s_delay_alu instid0(VALU_DEP_3)
	v_cmp_le_i32_e32 vcc_lo, s23, v24
	s_wait_loadcnt 0x0
	global_store_b64 v[26:27], v[28:29], off
	s_or_b32 s68, vcc_lo, s68
	s_wait_xcnt 0x0
	s_and_not1_b32 exec_lo, exec_lo, s68
	s_cbranch_execz .LBB62_101
.LBB62_99:                              ;   Parent Loop BB62_4 Depth=1
                                        ; =>  This Loop Header: Depth=2
                                        ;       Child Loop BB62_100 Depth 3
	v_ashrrev_i32_e32 v25, 31, v24
	v_mov_b64_e32 v[30:31], v[22:23]
	s_and_not1_b32 vcc_lo, exec_lo, s88
	s_mov_b64 s[64:65], s[60:61]
	s_mov_b64 s[66:67], s[58:59]
	v_mul_u64_e32 v[26:27], s[20:21], v[24:25]
	s_mov_b32 s69, s46
	s_delay_alu instid0(VALU_DEP_1)
	v_lshl_add_u64 v[28:29], v[26:27], 3, s[62:63]
	global_load_b64 v[28:29], v[28:29], off offset:-8
	s_cbranch_vccnz .LBB62_98
.LBB62_100:                             ;   Parent Loop BB62_4 Depth=1
                                        ;     Parent Loop BB62_99 Depth=2
                                        ; =>    This Inner Loop Header: Depth=3
	global_load_b64 v[32:33], v[30:31], off offset:-8
	s_clause 0x1
	global_load_b64 v[34:35], v1, s[64:65]
	global_load_b64 v[36:37], v1, s[66:67]
	s_wait_loadcnt 0x3
	v_mov_b64_e32 v[40:41], v[28:29]
	s_add_co_i32 s69, s69, -1
	s_wait_xcnt 0x0
	s_add_nc_u64 s[66:67], s[66:67], -8
	s_cmp_eq_u32 s69, 0
	s_add_nc_u64 s[64:65], s[64:65], -8
	s_wait_loadcnt 0x1
	v_mul_f64_e32 v[38:39], v[34:35], v[32:33]
	s_wait_loadcnt 0x0
	v_mul_f64_e32 v[28:29], v[36:37], v[32:33]
	s_delay_alu instid0(VALU_DEP_2) | instskip(NEXT) | instid1(VALU_DEP_2)
	v_fma_f64 v[32:33], v[40:41], v[36:37], -v[38:39]
	v_fmac_f64_e32 v[28:29], v[40:41], v[34:35]
	v_add_nc_u64_e32 v[34:35], -8, v[30:31]
	global_store_b64 v[30:31], v[32:33], off
	s_wait_xcnt 0x0
	v_mov_b64_e32 v[30:31], v[34:35]
	s_cbranch_scc0 .LBB62_100
	s_branch .LBB62_98
.LBB62_101:                             ;   in Loop: Header=BB62_4 Depth=1
	s_or_b32 exec_lo, exec_lo, s47
.LBB62_102:                             ;   in Loop: Header=BB62_4 Depth=1
	s_cbranch_execnz .LBB62_3
.LBB62_103:                             ;   in Loop: Header=BB62_4 Depth=1
	s_and_saveexec_b32 s47, s1
	s_cbranch_execz .LBB62_2
; %bb.104:                              ;   in Loop: Header=BB62_4 Depth=1
	v_mov_b32_e32 v22, v0
	s_lshl_b64 s[58:59], s[30:31], 3
	s_mov_b32 s64, 0
	s_add_nc_u64 s[58:59], s[56:57], s[58:59]
	s_branch .LBB62_106
.LBB62_105:                             ;   in Loop: Header=BB62_106 Depth=2
	v_add_nc_u32_e32 v22, s12, v22
	v_add_nc_u64_e32 v[20:21], s[50:51], v[20:21]
	v_lshl_add_u64 v[24:25], v[24:25], 3, s[58:59]
	s_delay_alu instid0(VALU_DEP_3)
	v_cmp_le_i32_e32 vcc_lo, s23, v22
	s_wait_loadcnt 0x0
	global_store_b64 v[24:25], v[26:27], off offset:-8
	s_or_b32 s64, vcc_lo, s64
	s_wait_xcnt 0x0
	s_and_not1_b32 exec_lo, exec_lo, s64
	s_cbranch_execz .LBB62_2
.LBB62_106:                             ;   Parent Loop BB62_4 Depth=1
                                        ; =>  This Loop Header: Depth=2
                                        ;       Child Loop BB62_107 Depth 3
	v_ashrrev_i32_e32 v23, 31, v22
	v_mov_b64_e32 v[28:29], v[20:21]
	s_and_not1_b32 vcc_lo, exec_lo, s88
	s_mov_b64 s[60:61], s[54:55]
	s_mov_b64 s[62:63], s[52:53]
	v_mul_u64_e32 v[24:25], s[20:21], v[22:23]
	s_mov_b32 s65, s46
	s_delay_alu instid0(VALU_DEP_1)
	v_lshl_add_u64 v[26:27], v[24:25], 3, s[56:57]
	global_load_b64 v[26:27], v[26:27], off
	s_cbranch_vccnz .LBB62_105
.LBB62_107:                             ;   Parent Loop BB62_4 Depth=1
                                        ;     Parent Loop BB62_106 Depth=2
                                        ; =>    This Inner Loop Header: Depth=3
	global_load_b64 v[30:31], v[28:29], off
	s_clause 0x1
	global_load_b64 v[32:33], v1, s[60:61]
	global_load_b64 v[34:35], v1, s[62:63]
	s_add_co_i32 s65, s65, -1
	s_wait_xcnt 0x0
	s_add_nc_u64 s[62:63], s[62:63], 8
	s_cmp_eq_u32 s65, 0
	s_add_nc_u64 s[60:61], s[60:61], 8
	s_wait_loadcnt 0x1
	v_mul_f64_e32 v[36:37], v[32:33], v[30:31]
	v_mul_f64_e32 v[32:33], v[26:27], v[32:33]
	s_wait_loadcnt 0x0
	s_delay_alu instid0(VALU_DEP_2) | instskip(NEXT) | instid1(VALU_DEP_2)
	v_fmac_f64_e32 v[36:37], v[26:27], v[34:35]
	v_fma_f64 v[26:27], v[34:35], v[30:31], -v[32:33]
	global_store_b64 v[28:29], v[36:37], off offset:-8
	s_wait_xcnt 0x0
	v_add_nc_u64_e32 v[28:29], 8, v[28:29]
	s_cbranch_scc0 .LBB62_107
	s_branch .LBB62_105
.LBB62_108:
	s_endpgm
	.section	.rodata,"a",@progbits
	.p2align	6, 0x0
	.amdhsa_kernel _ZN9rocsolver6v33100L11lasr_kernelIddPdiEEv13rocblas_side_14rocblas_pivot_15rocblas_direct_T2_S6_PT0_lS8_lT1_lS6_lS6_
		.amdhsa_group_segment_fixed_size 0
		.amdhsa_private_segment_fixed_size 0
		.amdhsa_kernarg_size 352
		.amdhsa_user_sgpr_count 2
		.amdhsa_user_sgpr_dispatch_ptr 0
		.amdhsa_user_sgpr_queue_ptr 0
		.amdhsa_user_sgpr_kernarg_segment_ptr 1
		.amdhsa_user_sgpr_dispatch_id 0
		.amdhsa_user_sgpr_kernarg_preload_length 0
		.amdhsa_user_sgpr_kernarg_preload_offset 0
		.amdhsa_user_sgpr_private_segment_size 0
		.amdhsa_wavefront_size32 1
		.amdhsa_uses_dynamic_stack 0
		.amdhsa_enable_private_segment 0
		.amdhsa_system_sgpr_workgroup_id_x 1
		.amdhsa_system_sgpr_workgroup_id_y 0
		.amdhsa_system_sgpr_workgroup_id_z 1
		.amdhsa_system_sgpr_workgroup_info 0
		.amdhsa_system_vgpr_workitem_id 0
		.amdhsa_next_free_vgpr 46
		.amdhsa_next_free_sgpr 91
		.amdhsa_named_barrier_count 0
		.amdhsa_reserve_vcc 1
		.amdhsa_float_round_mode_32 0
		.amdhsa_float_round_mode_16_64 0
		.amdhsa_float_denorm_mode_32 3
		.amdhsa_float_denorm_mode_16_64 3
		.amdhsa_fp16_overflow 0
		.amdhsa_memory_ordered 1
		.amdhsa_forward_progress 1
		.amdhsa_inst_pref_size 33
		.amdhsa_round_robin_scheduling 0
		.amdhsa_exception_fp_ieee_invalid_op 0
		.amdhsa_exception_fp_denorm_src 0
		.amdhsa_exception_fp_ieee_div_zero 0
		.amdhsa_exception_fp_ieee_overflow 0
		.amdhsa_exception_fp_ieee_underflow 0
		.amdhsa_exception_fp_ieee_inexact 0
		.amdhsa_exception_int_div_zero 0
	.end_amdhsa_kernel
	.section	.text._ZN9rocsolver6v33100L11lasr_kernelIddPdiEEv13rocblas_side_14rocblas_pivot_15rocblas_direct_T2_S6_PT0_lS8_lT1_lS6_lS6_,"axG",@progbits,_ZN9rocsolver6v33100L11lasr_kernelIddPdiEEv13rocblas_side_14rocblas_pivot_15rocblas_direct_T2_S6_PT0_lS8_lT1_lS6_lS6_,comdat
.Lfunc_end62:
	.size	_ZN9rocsolver6v33100L11lasr_kernelIddPdiEEv13rocblas_side_14rocblas_pivot_15rocblas_direct_T2_S6_PT0_lS8_lT1_lS6_lS6_, .Lfunc_end62-_ZN9rocsolver6v33100L11lasr_kernelIddPdiEEv13rocblas_side_14rocblas_pivot_15rocblas_direct_T2_S6_PT0_lS8_lT1_lS6_lS6_
                                        ; -- End function
	.set _ZN9rocsolver6v33100L11lasr_kernelIddPdiEEv13rocblas_side_14rocblas_pivot_15rocblas_direct_T2_S6_PT0_lS8_lT1_lS6_lS6_.num_vgpr, 46
	.set _ZN9rocsolver6v33100L11lasr_kernelIddPdiEEv13rocblas_side_14rocblas_pivot_15rocblas_direct_T2_S6_PT0_lS8_lT1_lS6_lS6_.num_agpr, 0
	.set _ZN9rocsolver6v33100L11lasr_kernelIddPdiEEv13rocblas_side_14rocblas_pivot_15rocblas_direct_T2_S6_PT0_lS8_lT1_lS6_lS6_.numbered_sgpr, 91
	.set _ZN9rocsolver6v33100L11lasr_kernelIddPdiEEv13rocblas_side_14rocblas_pivot_15rocblas_direct_T2_S6_PT0_lS8_lT1_lS6_lS6_.num_named_barrier, 0
	.set _ZN9rocsolver6v33100L11lasr_kernelIddPdiEEv13rocblas_side_14rocblas_pivot_15rocblas_direct_T2_S6_PT0_lS8_lT1_lS6_lS6_.private_seg_size, 0
	.set _ZN9rocsolver6v33100L11lasr_kernelIddPdiEEv13rocblas_side_14rocblas_pivot_15rocblas_direct_T2_S6_PT0_lS8_lT1_lS6_lS6_.uses_vcc, 1
	.set _ZN9rocsolver6v33100L11lasr_kernelIddPdiEEv13rocblas_side_14rocblas_pivot_15rocblas_direct_T2_S6_PT0_lS8_lT1_lS6_lS6_.uses_flat_scratch, 0
	.set _ZN9rocsolver6v33100L11lasr_kernelIddPdiEEv13rocblas_side_14rocblas_pivot_15rocblas_direct_T2_S6_PT0_lS8_lT1_lS6_lS6_.has_dyn_sized_stack, 0
	.set _ZN9rocsolver6v33100L11lasr_kernelIddPdiEEv13rocblas_side_14rocblas_pivot_15rocblas_direct_T2_S6_PT0_lS8_lT1_lS6_lS6_.has_recursion, 0
	.set _ZN9rocsolver6v33100L11lasr_kernelIddPdiEEv13rocblas_side_14rocblas_pivot_15rocblas_direct_T2_S6_PT0_lS8_lT1_lS6_lS6_.has_indirect_call, 0
	.section	.AMDGPU.csdata,"",@progbits
; Kernel info:
; codeLenInByte = 4192
; TotalNumSgprs: 93
; NumVgprs: 46
; ScratchSize: 0
; MemoryBound: 0
; FloatMode: 240
; IeeeMode: 1
; LDSByteSize: 0 bytes/workgroup (compile time only)
; SGPRBlocks: 0
; VGPRBlocks: 2
; NumSGPRsForWavesPerEU: 93
; NumVGPRsForWavesPerEU: 46
; NamedBarCnt: 0
; Occupancy: 16
; WaveLimiterHint : 0
; COMPUTE_PGM_RSRC2:SCRATCH_EN: 0
; COMPUTE_PGM_RSRC2:USER_SGPR: 2
; COMPUTE_PGM_RSRC2:TRAP_HANDLER: 0
; COMPUTE_PGM_RSRC2:TGID_X_EN: 1
; COMPUTE_PGM_RSRC2:TGID_Y_EN: 0
; COMPUTE_PGM_RSRC2:TGID_Z_EN: 1
; COMPUTE_PGM_RSRC2:TIDIG_COMP_CNT: 0
	.section	.text._ZN9rocsolver6v33100L11scal_kernelIddiEEvT1_T_PT0_S2_,"axG",@progbits,_ZN9rocsolver6v33100L11scal_kernelIddiEEvT1_T_PT0_S2_,comdat
	.globl	_ZN9rocsolver6v33100L11scal_kernelIddiEEvT1_T_PT0_S2_ ; -- Begin function _ZN9rocsolver6v33100L11scal_kernelIddiEEvT1_T_PT0_S2_
	.p2align	8
	.type	_ZN9rocsolver6v33100L11scal_kernelIddiEEvT1_T_PT0_S2_,@function
_ZN9rocsolver6v33100L11scal_kernelIddiEEvT1_T_PT0_S2_: ; @_ZN9rocsolver6v33100L11scal_kernelIddiEEvT1_T_PT0_S2_
; %bb.0:
	s_load_b32 s10, s[0:1], 0x0
	s_wait_kmcnt 0x0
	s_cmp_lt_i32 s10, 1
	s_cbranch_scc1 .LBB63_10
; %bb.1:
	s_clause 0x3
	s_load_b32 s2, s[0:1], 0x2c
	s_load_b128 s[4:7], s[0:1], 0x8
	s_load_b32 s8, s[0:1], 0x18
	s_load_b32 s3, s[0:1], 0x20
	s_wait_xcnt 0x0
	s_bfe_u32 s0, ttmp6, 0x4000c
	s_and_b32 s1, ttmp6, 15
	s_add_co_i32 s0, s0, 1
	s_getreg_b32 s9, hwreg(HW_REG_IB_STS2, 6, 4)
	s_mul_i32 s0, ttmp9, s0
	s_delay_alu instid0(SALU_CYCLE_1)
	s_add_co_i32 s1, s1, s0
	s_wait_kmcnt 0x0
	s_and_b32 s2, s2, 0xffff
	s_cmp_eq_u32 s9, 0
	s_cselect_b32 s0, ttmp9, s1
	s_cmp_eq_u32 s8, 1
	v_mad_u32 v0, s0, s2, v0
	s_mul_i32 s2, s3, s2
	s_mov_b32 s1, -1
	s_delay_alu instid0(VALU_DEP_1)
	v_cmp_gt_i32_e64 s0, s10, v0
	s_cbranch_scc1 .LBB63_6
; %bb.2:
	s_and_saveexec_b32 s1, s0
	s_cbranch_execz .LBB63_5
; %bb.3:
	v_ashrrev_i32_e32 v1, 31, v0
	s_ashr_i32 s9, s8, 31
	s_ashr_i32 s3, s2, 31
	s_delay_alu instid0(VALU_DEP_1) | instskip(SKIP_4) | instid1(VALU_DEP_2)
	v_mul_u64_e32 v[2:3], s[8:9], v[0:1]
	v_mov_b32_e32 v1, v0
	s_mul_u64 s[8:9], s[8:9], s[2:3]
	s_mov_b32 s3, 0
	s_lshl_b64 s[8:9], s[8:9], 3
	v_lshl_add_u64 v[2:3], v[2:3], 3, s[6:7]
.LBB63_4:                               ; =>This Inner Loop Header: Depth=1
	global_load_b64 v[4:5], v[2:3], off
	v_add_nc_u32_e32 v1, s2, v1
	s_delay_alu instid0(VALU_DEP_1)
	v_cmp_le_i32_e32 vcc_lo, s10, v1
	s_or_b32 s3, vcc_lo, s3
	s_wait_loadcnt 0x0
	v_mul_f64_e32 v[4:5], s[4:5], v[4:5]
	global_store_b64 v[2:3], v[4:5], off
	s_wait_xcnt 0x0
	v_add_nc_u64_e32 v[2:3], s[8:9], v[2:3]
	s_and_not1_b32 exec_lo, exec_lo, s3
	s_cbranch_execnz .LBB63_4
.LBB63_5:
	s_or_b32 exec_lo, exec_lo, s1
	s_mov_b32 s1, 0
.LBB63_6:
	s_delay_alu instid0(SALU_CYCLE_1)
	s_and_not1_b32 vcc_lo, exec_lo, s1
	s_cbranch_vccnz .LBB63_10
; %bb.7:
	s_and_saveexec_b32 s1, s0
	s_cbranch_execz .LBB63_10
; %bb.8:
	v_ashrrev_i32_e32 v1, 31, v0
	s_ashr_i32 s3, s2, 31
	s_delay_alu instid0(SALU_CYCLE_1) | instskip(SKIP_1) | instid1(VALU_DEP_1)
	s_lshl_b64 s[0:1], s[2:3], 3
	s_mov_b32 s3, 0
	v_lshl_add_u64 v[2:3], v[0:1], 3, s[6:7]
.LBB63_9:                               ; =>This Inner Loop Header: Depth=1
	global_load_b64 v[4:5], v[2:3], off
	v_add_nc_u32_e32 v0, s2, v0
	s_delay_alu instid0(VALU_DEP_1)
	v_cmp_le_i32_e32 vcc_lo, s10, v0
	s_or_b32 s3, vcc_lo, s3
	s_wait_loadcnt 0x0
	v_mul_f64_e32 v[4:5], s[4:5], v[4:5]
	global_store_b64 v[2:3], v[4:5], off
	s_wait_xcnt 0x0
	v_add_nc_u64_e32 v[2:3], s[0:1], v[2:3]
	s_and_not1_b32 exec_lo, exec_lo, s3
	s_cbranch_execnz .LBB63_9
.LBB63_10:
	s_endpgm
	.section	.rodata,"a",@progbits
	.p2align	6, 0x0
	.amdhsa_kernel _ZN9rocsolver6v33100L11scal_kernelIddiEEvT1_T_PT0_S2_
		.amdhsa_group_segment_fixed_size 0
		.amdhsa_private_segment_fixed_size 0
		.amdhsa_kernarg_size 288
		.amdhsa_user_sgpr_count 2
		.amdhsa_user_sgpr_dispatch_ptr 0
		.amdhsa_user_sgpr_queue_ptr 0
		.amdhsa_user_sgpr_kernarg_segment_ptr 1
		.amdhsa_user_sgpr_dispatch_id 0
		.amdhsa_user_sgpr_kernarg_preload_length 0
		.amdhsa_user_sgpr_kernarg_preload_offset 0
		.amdhsa_user_sgpr_private_segment_size 0
		.amdhsa_wavefront_size32 1
		.amdhsa_uses_dynamic_stack 0
		.amdhsa_enable_private_segment 0
		.amdhsa_system_sgpr_workgroup_id_x 1
		.amdhsa_system_sgpr_workgroup_id_y 0
		.amdhsa_system_sgpr_workgroup_id_z 0
		.amdhsa_system_sgpr_workgroup_info 0
		.amdhsa_system_vgpr_workitem_id 0
		.amdhsa_next_free_vgpr 6
		.amdhsa_next_free_sgpr 11
		.amdhsa_named_barrier_count 0
		.amdhsa_reserve_vcc 1
		.amdhsa_float_round_mode_32 0
		.amdhsa_float_round_mode_16_64 0
		.amdhsa_float_denorm_mode_32 3
		.amdhsa_float_denorm_mode_16_64 3
		.amdhsa_fp16_overflow 0
		.amdhsa_memory_ordered 1
		.amdhsa_forward_progress 1
		.amdhsa_inst_pref_size 4
		.amdhsa_round_robin_scheduling 0
		.amdhsa_exception_fp_ieee_invalid_op 0
		.amdhsa_exception_fp_denorm_src 0
		.amdhsa_exception_fp_ieee_div_zero 0
		.amdhsa_exception_fp_ieee_overflow 0
		.amdhsa_exception_fp_ieee_underflow 0
		.amdhsa_exception_fp_ieee_inexact 0
		.amdhsa_exception_int_div_zero 0
	.end_amdhsa_kernel
	.section	.text._ZN9rocsolver6v33100L11scal_kernelIddiEEvT1_T_PT0_S2_,"axG",@progbits,_ZN9rocsolver6v33100L11scal_kernelIddiEEvT1_T_PT0_S2_,comdat
.Lfunc_end63:
	.size	_ZN9rocsolver6v33100L11scal_kernelIddiEEvT1_T_PT0_S2_, .Lfunc_end63-_ZN9rocsolver6v33100L11scal_kernelIddiEEvT1_T_PT0_S2_
                                        ; -- End function
	.set _ZN9rocsolver6v33100L11scal_kernelIddiEEvT1_T_PT0_S2_.num_vgpr, 6
	.set _ZN9rocsolver6v33100L11scal_kernelIddiEEvT1_T_PT0_S2_.num_agpr, 0
	.set _ZN9rocsolver6v33100L11scal_kernelIddiEEvT1_T_PT0_S2_.numbered_sgpr, 11
	.set _ZN9rocsolver6v33100L11scal_kernelIddiEEvT1_T_PT0_S2_.num_named_barrier, 0
	.set _ZN9rocsolver6v33100L11scal_kernelIddiEEvT1_T_PT0_S2_.private_seg_size, 0
	.set _ZN9rocsolver6v33100L11scal_kernelIddiEEvT1_T_PT0_S2_.uses_vcc, 1
	.set _ZN9rocsolver6v33100L11scal_kernelIddiEEvT1_T_PT0_S2_.uses_flat_scratch, 0
	.set _ZN9rocsolver6v33100L11scal_kernelIddiEEvT1_T_PT0_S2_.has_dyn_sized_stack, 0
	.set _ZN9rocsolver6v33100L11scal_kernelIddiEEvT1_T_PT0_S2_.has_recursion, 0
	.set _ZN9rocsolver6v33100L11scal_kernelIddiEEvT1_T_PT0_S2_.has_indirect_call, 0
	.section	.AMDGPU.csdata,"",@progbits
; Kernel info:
; codeLenInByte = 388
; TotalNumSgprs: 13
; NumVgprs: 6
; ScratchSize: 0
; MemoryBound: 0
; FloatMode: 240
; IeeeMode: 1
; LDSByteSize: 0 bytes/workgroup (compile time only)
; SGPRBlocks: 0
; VGPRBlocks: 0
; NumSGPRsForWavesPerEU: 13
; NumVGPRsForWavesPerEU: 6
; NamedBarCnt: 0
; Occupancy: 16
; WaveLimiterHint : 0
; COMPUTE_PGM_RSRC2:SCRATCH_EN: 0
; COMPUTE_PGM_RSRC2:USER_SGPR: 2
; COMPUTE_PGM_RSRC2:TRAP_HANDLER: 0
; COMPUTE_PGM_RSRC2:TGID_X_EN: 1
; COMPUTE_PGM_RSRC2:TGID_Y_EN: 0
; COMPUTE_PGM_RSRC2:TGID_Z_EN: 0
; COMPUTE_PGM_RSRC2:TIDIG_COMP_CNT: 0
	.section	.text._ZN9rocsolver6v33100L17bdsqr_lower2upperIddPdS2_EEviiiPT0_lS4_lT1_iilT2_iilPiS4_lS7_,"axG",@progbits,_ZN9rocsolver6v33100L17bdsqr_lower2upperIddPdS2_EEviiiPT0_lS4_lT1_iilT2_iilPiS4_lS7_,comdat
	.globl	_ZN9rocsolver6v33100L17bdsqr_lower2upperIddPdS2_EEviiiPT0_lS4_lT1_iilT2_iilPiS4_lS7_ ; -- Begin function _ZN9rocsolver6v33100L17bdsqr_lower2upperIddPdS2_EEviiiPT0_lS4_lT1_iilT2_iilPiS4_lS7_
	.p2align	8
	.type	_ZN9rocsolver6v33100L17bdsqr_lower2upperIddPdS2_EEviiiPT0_lS4_lT1_iilT2_iilPiS4_lS7_,@function
_ZN9rocsolver6v33100L17bdsqr_lower2upperIddPdS2_EEviiiPT0_lS4_lT1_iilT2_iilPiS4_lS7_: ; @_ZN9rocsolver6v33100L17bdsqr_lower2upperIddPdS2_EEviiiPT0_lS4_lT1_iilT2_iilPiS4_lS7_
; %bb.0:
	s_load_b64 s[2:3], s[0:1], 0x78
	s_bfe_u32 s4, ttmp6, 0x40010
	s_bfe_u32 s5, ttmp6, 0x40004
	s_add_co_i32 s4, s4, 1
	s_getreg_b32 s6, hwreg(HW_REG_IB_STS2, 6, 4)
	s_mul_i32 s4, ttmp7, s4
	s_delay_alu instid0(SALU_CYCLE_1) | instskip(SKIP_2) | instid1(SALU_CYCLE_1)
	s_add_co_i32 s5, s5, s4
	s_cmp_eq_u32 s6, 0
	s_cselect_b32 s24, ttmp7, s5
	s_ashr_i32 s25, s24, 31
	s_delay_alu instid0(SALU_CYCLE_1)
	s_lshl_b64 s[4:5], s[24:25], 2
	s_wait_kmcnt 0x0
	s_add_nc_u64 s[2:3], s[2:3], s[4:5]
	s_load_b32 s2, s[2:3], 0x8
	s_wait_kmcnt 0x0
	s_cmp_lg_u32 s2, 0
	s_cbranch_scc1 .LBB64_34
; %bb.1:
	s_clause 0x1
	s_load_b256 s[4:11], s[0:1], 0x30
	s_load_b128 s[16:19], s[0:1], 0x68
	s_mov_b64 s[2:3], 0
	s_mov_b64 s[22:23], 0
	s_wait_kmcnt 0x0
	s_cmp_eq_u64 s[4:5], 0
	s_cbranch_scc1 .LBB64_3
; %bb.2:
	s_mul_u64 s[8:9], s[8:9], s[24:25]
	s_ashr_i32 s13, s6, 31
	s_lshl_b64 s[8:9], s[8:9], 3
	s_mov_b32 s12, s6
	s_add_nc_u64 s[4:5], s[4:5], s[8:9]
	s_lshl_b64 s[8:9], s[12:13], 3
	s_delay_alu instid0(SALU_CYCLE_1)
	s_add_nc_u64 s[22:23], s[4:5], s[8:9]
.LBB64_3:
	s_load_b64 s[20:21], s[0:1], 0x50
	s_cmp_eq_u64 s[10:11], 0
	s_cbranch_scc1 .LBB64_5
; %bb.4:
	s_load_b64 s[2:3], s[0:1], 0x58
	s_wait_kmcnt 0x0
	s_ashr_i32 s5, s20, 31
	s_mov_b32 s4, s20
	s_delay_alu instid0(SALU_CYCLE_1) | instskip(SKIP_1) | instid1(SALU_CYCLE_1)
	s_lshl_b64 s[4:5], s[4:5], 3
	s_mul_u64 s[2:3], s[2:3], s[24:25]
	s_lshl_b64 s[2:3], s[2:3], 3
	s_delay_alu instid0(SALU_CYCLE_1) | instskip(NEXT) | instid1(SALU_CYCLE_1)
	s_add_nc_u64 s[2:3], s[10:11], s[2:3]
	s_add_nc_u64 s[2:3], s[2:3], s[4:5]
.LBB64_5:
	s_load_b96 s[4:6], s[0:1], 0x0
	s_mul_u64 s[18:19], s[18:19], s[24:25]
	s_wait_kmcnt 0x0
	s_mov_b32 s20, exec_lo
	v_cmpx_eq_u32_e32 0, v0
	s_cbranch_execz .LBB64_22
; %bb.6:
	s_load_b256 s[8:15], s[0:1], 0x10
	s_add_co_i32 s26, s4, -1
	s_wait_kmcnt 0x0
	s_mul_u64 s[10:11], s[10:11], s[24:25]
	s_delay_alu instid0(SALU_CYCLE_1)
	s_lshl_b64 s[10:11], s[10:11], 3
	s_cmp_lt_i32 s4, 2
	s_add_nc_u64 s[8:9], s[8:9], s[10:11]
	s_load_b64 s[10:11], s[8:9], 0x0
	s_wait_kmcnt 0x0
	v_mov_b64_e32 v[2:3], s[10:11]
	s_cbranch_scc1 .LBB64_21
; %bb.7:
	s_mul_u64 s[14:15], s[14:15], s[24:25]
	v_mov_b64_e32 v[2:3], s[10:11]
	s_lshl_b64 s[14:15], s[14:15], 3
	s_or_b32 s28, s6, s5
	s_add_nc_u64 s[24:25], s[12:13], s[14:15]
	s_lshl_b64 s[14:15], s[18:19], 3
	s_load_b64 s[12:13], s[24:25], 0x0
	v_mov_b32_e32 v1, 0
	s_cmp_lg_u32 s28, 0
	s_add_nc_u64 s[10:11], s[16:17], s[14:15]
	s_mov_b32 s27, 0
	s_cselect_b32 s28, -1, 0
	s_add_nc_u64 s[14:15], s[8:9], 8
	s_wait_xcnt 0x0
	s_add_nc_u64 s[24:25], s[24:25], 8
	s_wait_kmcnt 0x0
	v_mov_b64_e32 v[4:5], s[12:13]
	s_add_nc_u64 s[12:13], s[10:11], 32
	s_branch .LBB64_9
.LBB64_8:                               ;   in Loop: Header=BB64_9 Depth=1
	s_wait_loadcnt 0x0
	v_mul_f64_e32 v[2:3], v[6:7], v[2:3]
	s_add_co_i32 s27, s27, 1
	s_wait_xcnt 0x1
	s_add_nc_u64 s[12:13], s[12:13], 8
	s_wait_xcnt 0x0
	s_add_nc_u64 s[14:15], s[14:15], 8
	s_cmp_lg_u32 s26, s27
	s_add_nc_u64 s[24:25], s[24:25], 8
	s_cbranch_scc0 .LBB64_21
.LBB64_9:                               ; =>This Inner Loop Header: Depth=1
	s_delay_alu instid0(VALU_DEP_1)
	v_cmp_eq_f64_e32 vcc_lo, 0, v[4:5]
	s_cbranch_vccnz .LBB64_13
; %bb.10:                               ;   in Loop: Header=BB64_9 Depth=1
	s_delay_alu instid0(VALU_DEP_2)
	v_cmp_neq_f64_e32 vcc_lo, 0, v[2:3]
	s_cbranch_vccz .LBB64_14
; %bb.11:                               ;   in Loop: Header=BB64_9 Depth=1
	v_cmp_ngt_f64_e64 s29, |v[4:5]|, |v[2:3]|
	s_and_b32 vcc_lo, exec_lo, s29
	s_cbranch_vccz .LBB64_15
; %bb.12:                               ;   in Loop: Header=BB64_9 Depth=1
	v_div_scale_f64 v[6:7], null, v[2:3], v[2:3], -v[4:5]
	v_div_scale_f64 v[12:13], vcc_lo, -v[4:5], v[2:3], -v[4:5]
	s_delay_alu instid0(VALU_DEP_2) | instskip(SKIP_1) | instid1(TRANS32_DEP_1)
	v_rcp_f64_e32 v[8:9], v[6:7]
	v_nop
	v_fma_f64 v[10:11], -v[6:7], v[8:9], 1.0
	s_delay_alu instid0(VALU_DEP_1) | instskip(NEXT) | instid1(VALU_DEP_1)
	v_fmac_f64_e32 v[8:9], v[8:9], v[10:11]
	v_fma_f64 v[10:11], -v[6:7], v[8:9], 1.0
	s_delay_alu instid0(VALU_DEP_1) | instskip(NEXT) | instid1(VALU_DEP_1)
	v_fmac_f64_e32 v[8:9], v[8:9], v[10:11]
	v_mul_f64_e32 v[10:11], v[12:13], v[8:9]
	s_delay_alu instid0(VALU_DEP_1) | instskip(NEXT) | instid1(VALU_DEP_1)
	v_fma_f64 v[6:7], -v[6:7], v[10:11], v[12:13]
	v_div_fmas_f64 v[6:7], v[6:7], v[8:9], v[10:11]
	s_delay_alu instid0(VALU_DEP_1) | instskip(NEXT) | instid1(VALU_DEP_1)
	v_div_fixup_f64 v[8:9], v[6:7], v[2:3], -v[4:5]
	v_fma_f64 v[6:7], v[8:9], v[8:9], 1.0
	s_delay_alu instid0(VALU_DEP_1) | instskip(SKIP_2) | instid1(SALU_CYCLE_1)
	v_cmp_gt_f64_e32 vcc_lo, 0x10000000, v[6:7]
	s_and_b32 s29, vcc_lo, exec_lo
	s_cselect_b32 s29, 0x100, 0
	v_ldexp_f64 v[6:7], v[6:7], s29
	s_cselect_b32 s29, 0xffffff80, 0
	s_delay_alu instid0(VALU_DEP_1) | instskip(SKIP_1) | instid1(TRANS32_DEP_1)
	v_rsq_f64_e32 v[10:11], v[6:7]
	v_cmp_class_f64_e64 vcc_lo, v[6:7], 0x260
	v_mul_f64_e32 v[12:13], v[6:7], v[10:11]
	v_mul_f64_e32 v[10:11], 0.5, v[10:11]
	s_delay_alu instid0(VALU_DEP_1) | instskip(NEXT) | instid1(VALU_DEP_1)
	v_fma_f64 v[14:15], -v[10:11], v[12:13], 0.5
	v_fmac_f64_e32 v[12:13], v[12:13], v[14:15]
	v_fmac_f64_e32 v[10:11], v[10:11], v[14:15]
	s_delay_alu instid0(VALU_DEP_2) | instskip(NEXT) | instid1(VALU_DEP_1)
	v_fma_f64 v[14:15], -v[12:13], v[12:13], v[6:7]
	v_fmac_f64_e32 v[12:13], v[14:15], v[10:11]
	s_delay_alu instid0(VALU_DEP_1) | instskip(NEXT) | instid1(VALU_DEP_1)
	v_fma_f64 v[14:15], -v[12:13], v[12:13], v[6:7]
	v_fmac_f64_e32 v[12:13], v[14:15], v[10:11]
	s_delay_alu instid0(VALU_DEP_1) | instskip(NEXT) | instid1(VALU_DEP_1)
	v_ldexp_f64 v[10:11], v[12:13], s29
	v_dual_cndmask_b32 v7, v11, v7 :: v_dual_cndmask_b32 v6, v10, v6
	s_delay_alu instid0(VALU_DEP_1) | instskip(NEXT) | instid1(VALU_DEP_1)
	v_div_scale_f64 v[10:11], null, v[6:7], v[6:7], 1.0
	v_rcp_f64_e32 v[12:13], v[10:11]
	v_nop
	s_delay_alu instid0(TRANS32_DEP_1) | instskip(NEXT) | instid1(VALU_DEP_1)
	v_fma_f64 v[14:15], -v[10:11], v[12:13], 1.0
	v_fmac_f64_e32 v[12:13], v[12:13], v[14:15]
	s_delay_alu instid0(VALU_DEP_1) | instskip(NEXT) | instid1(VALU_DEP_1)
	v_fma_f64 v[14:15], -v[10:11], v[12:13], 1.0
	v_fmac_f64_e32 v[12:13], v[12:13], v[14:15]
	v_div_scale_f64 v[14:15], vcc_lo, 1.0, v[6:7], 1.0
	s_delay_alu instid0(VALU_DEP_1) | instskip(NEXT) | instid1(VALU_DEP_1)
	v_mul_f64_e32 v[16:17], v[14:15], v[12:13]
	v_fma_f64 v[10:11], -v[10:11], v[16:17], v[14:15]
	s_delay_alu instid0(VALU_DEP_1) | instskip(NEXT) | instid1(VALU_DEP_1)
	v_div_fmas_f64 v[10:11], v[10:11], v[12:13], v[16:17]
	v_div_fixup_f64 v[6:7], v[10:11], v[6:7], 1.0
	s_delay_alu instid0(VALU_DEP_1)
	v_mul_f64_e32 v[8:9], v[8:9], v[6:7]
	s_cbranch_execz .LBB64_16
	s_branch .LBB64_17
.LBB64_13:                              ;   in Loop: Header=BB64_9 Depth=1
	v_mov_b64_e32 v[8:9], 0
	v_mov_b64_e32 v[6:7], 1.0
	s_branch .LBB64_19
.LBB64_14:                              ;   in Loop: Header=BB64_9 Depth=1
	v_xor_b32_e32 v5, 0x80000000, v5
                                        ; implicit-def: $vgpr8_vgpr9
                                        ; implicit-def: $vgpr6_vgpr7
	s_delay_alu instid0(VALU_DEP_1)
	v_mov_b64_e32 v[2:3], v[4:5]
	s_cbranch_execnz .LBB64_18
	s_branch .LBB64_19
.LBB64_15:                              ;   in Loop: Header=BB64_9 Depth=1
                                        ; implicit-def: $vgpr8_vgpr9
                                        ; implicit-def: $vgpr6_vgpr7
.LBB64_16:                              ;   in Loop: Header=BB64_9 Depth=1
	v_div_scale_f64 v[6:7], null, v[4:5], v[4:5], -v[2:3]
	v_div_scale_f64 v[12:13], vcc_lo, -v[2:3], v[4:5], -v[2:3]
	s_delay_alu instid0(VALU_DEP_2) | instskip(SKIP_1) | instid1(TRANS32_DEP_1)
	v_rcp_f64_e32 v[8:9], v[6:7]
	v_nop
	v_fma_f64 v[10:11], -v[6:7], v[8:9], 1.0
	s_delay_alu instid0(VALU_DEP_1) | instskip(NEXT) | instid1(VALU_DEP_1)
	v_fmac_f64_e32 v[8:9], v[8:9], v[10:11]
	v_fma_f64 v[10:11], -v[6:7], v[8:9], 1.0
	s_delay_alu instid0(VALU_DEP_1) | instskip(NEXT) | instid1(VALU_DEP_1)
	v_fmac_f64_e32 v[8:9], v[8:9], v[10:11]
	v_mul_f64_e32 v[10:11], v[12:13], v[8:9]
	s_delay_alu instid0(VALU_DEP_1) | instskip(NEXT) | instid1(VALU_DEP_1)
	v_fma_f64 v[6:7], -v[6:7], v[10:11], v[12:13]
	v_div_fmas_f64 v[6:7], v[6:7], v[8:9], v[10:11]
	s_delay_alu instid0(VALU_DEP_1) | instskip(NEXT) | instid1(VALU_DEP_1)
	v_div_fixup_f64 v[6:7], v[6:7], v[4:5], -v[2:3]
	v_fma_f64 v[8:9], v[6:7], v[6:7], 1.0
	s_delay_alu instid0(VALU_DEP_1) | instskip(SKIP_2) | instid1(SALU_CYCLE_1)
	v_cmp_gt_f64_e32 vcc_lo, 0x10000000, v[8:9]
	s_and_b32 s29, vcc_lo, exec_lo
	s_cselect_b32 s29, 0x100, 0
	v_ldexp_f64 v[8:9], v[8:9], s29
	s_cselect_b32 s29, 0xffffff80, 0
	s_delay_alu instid0(VALU_DEP_1) | instskip(SKIP_1) | instid1(TRANS32_DEP_1)
	v_rsq_f64_e32 v[10:11], v[8:9]
	v_cmp_class_f64_e64 vcc_lo, v[8:9], 0x260
	v_mul_f64_e32 v[12:13], v[8:9], v[10:11]
	v_mul_f64_e32 v[10:11], 0.5, v[10:11]
	s_delay_alu instid0(VALU_DEP_1) | instskip(NEXT) | instid1(VALU_DEP_1)
	v_fma_f64 v[14:15], -v[10:11], v[12:13], 0.5
	v_fmac_f64_e32 v[12:13], v[12:13], v[14:15]
	v_fmac_f64_e32 v[10:11], v[10:11], v[14:15]
	s_delay_alu instid0(VALU_DEP_2) | instskip(NEXT) | instid1(VALU_DEP_1)
	v_fma_f64 v[14:15], -v[12:13], v[12:13], v[8:9]
	v_fmac_f64_e32 v[12:13], v[14:15], v[10:11]
	s_delay_alu instid0(VALU_DEP_1) | instskip(NEXT) | instid1(VALU_DEP_1)
	v_fma_f64 v[14:15], -v[12:13], v[12:13], v[8:9]
	v_fmac_f64_e32 v[12:13], v[14:15], v[10:11]
	s_delay_alu instid0(VALU_DEP_1) | instskip(NEXT) | instid1(VALU_DEP_1)
	v_ldexp_f64 v[10:11], v[12:13], s29
	v_dual_cndmask_b32 v9, v11, v9 :: v_dual_cndmask_b32 v8, v10, v8
	s_delay_alu instid0(VALU_DEP_1) | instskip(NEXT) | instid1(VALU_DEP_1)
	v_div_scale_f64 v[10:11], null, v[8:9], v[8:9], 1.0
	v_rcp_f64_e32 v[12:13], v[10:11]
	v_nop
	s_delay_alu instid0(TRANS32_DEP_1) | instskip(NEXT) | instid1(VALU_DEP_1)
	v_fma_f64 v[14:15], -v[10:11], v[12:13], 1.0
	v_fmac_f64_e32 v[12:13], v[12:13], v[14:15]
	s_delay_alu instid0(VALU_DEP_1) | instskip(NEXT) | instid1(VALU_DEP_1)
	v_fma_f64 v[14:15], -v[10:11], v[12:13], 1.0
	v_fmac_f64_e32 v[12:13], v[12:13], v[14:15]
	v_div_scale_f64 v[14:15], vcc_lo, 1.0, v[8:9], 1.0
	s_delay_alu instid0(VALU_DEP_1) | instskip(NEXT) | instid1(VALU_DEP_1)
	v_mul_f64_e32 v[16:17], v[14:15], v[12:13]
	v_fma_f64 v[10:11], -v[10:11], v[16:17], v[14:15]
	s_delay_alu instid0(VALU_DEP_1) | instskip(NEXT) | instid1(VALU_DEP_1)
	v_div_fmas_f64 v[10:11], v[10:11], v[12:13], v[16:17]
	v_div_fixup_f64 v[8:9], v[10:11], v[8:9], 1.0
	s_delay_alu instid0(VALU_DEP_1)
	v_mul_f64_e32 v[6:7], v[6:7], v[8:9]
.LBB64_17:                              ;   in Loop: Header=BB64_9 Depth=1
	s_delay_alu instid0(VALU_DEP_1) | instskip(NEXT) | instid1(VALU_DEP_1)
	v_mul_f64_e32 v[4:5], v[4:5], v[8:9]
	v_fma_f64 v[2:3], v[2:3], v[6:7], -v[4:5]
	s_branch .LBB64_19
.LBB64_18:                              ;   in Loop: Header=BB64_9 Depth=1
	v_mov_b64_e32 v[6:7], 0
	v_mov_b64_e32 v[8:9], 1.0
.LBB64_19:                              ;   in Loop: Header=BB64_9 Depth=1
	s_clause 0x2
	global_load_b64 v[10:11], v1, s[14:15]
	global_store_b64 v1, v[2:3], s[14:15] offset:-8
	global_load_b64 v[4:5], v1, s[24:25]
	s_and_not1_b32 vcc_lo, exec_lo, s28
	s_wait_loadcnt 0x1
	s_wait_xcnt 0x1
	v_mul_f64_e64 v[2:3], v[10:11], -v[8:9]
	s_clause 0x1
	global_store_b64 v1, v[2:3], s[24:25] offset:-8
	global_load_b64 v[2:3], v1, s[14:15]
	s_cbranch_vccnz .LBB64_8
; %bb.20:                               ;   in Loop: Header=BB64_9 Depth=1
	s_add_co_i32 s29, s4, s27
	s_delay_alu instid0(SALU_CYCLE_1)
	v_mov_b32_e32 v10, s29
	global_store_b64 v1, v[6:7], s[12:13]
	global_store_b64 v10, v[8:9], s[10:11] offset:32 scale_offset
	s_branch .LBB64_8
.LBB64_21:
	v_mov_b32_e32 v1, s26
	global_store_b64 v1, v[2:3], s[8:9] scale_offset
.LBB64_22:
	s_wait_xcnt 0x0
	s_or_b32 exec_lo, exec_lo, s20
	s_delay_alu instid0(SALU_CYCLE_1)
	s_mov_b32 s20, exec_lo
	s_wait_storecnt 0x0
	s_barrier_signal -1
	s_barrier_wait -1
	v_cmpx_gt_i32_e64 s5, v0
	s_cbranch_execz .LBB64_28
; %bb.23:
	s_load_b32 s26, s[0:1], 0x8c
	s_add_co_i32 s28, s4, -1
	s_cmp_gt_i32 s4, 1
	v_dual_mov_b32 v1, 0 :: v_dual_mov_b32 v2, v0
	s_cselect_b32 s29, -1, 0
	s_lshl_b64 s[24:25], s[18:19], 3
	s_mov_b32 s14, s7
	s_mov_b32 s9, 0
	;; [unrolled: 1-line block ×3, first 2 shown]
	s_mul_i32 s10, s7, s28
	s_ashr_i32 s15, s7, 31
	s_add_nc_u64 s[24:25], s[16:17], s[24:25]
	s_lshl_b64 s[12:13], s[8:9], 3
	s_ashr_i32 s11, s10, 31
	s_lshl_b64 s[14:15], s[14:15], 3
	s_add_nc_u64 s[24:25], s[24:25], 32
	s_wait_kmcnt 0x0
	s_and_b32 s7, s26, 0xffff
	s_branch .LBB64_25
.LBB64_24:                              ;   in Loop: Header=BB64_25 Depth=1
	s_wait_xcnt 0x0
	v_add_nc_u32_e32 v2, s7, v2
	s_delay_alu instid0(VALU_DEP_2) | instskip(NEXT) | instid1(VALU_DEP_2)
	v_lshl_add_u64 v[6:7], s[10:11], 3, v[6:7]
	v_cmp_le_i32_e32 vcc_lo, s5, v2
	s_wait_loadcnt 0x0
	global_store_b64 v[6:7], v[4:5], off
	s_or_b32 s9, vcc_lo, s9
	s_wait_xcnt 0x0
	s_and_not1_b32 exec_lo, exec_lo, s9
	s_cbranch_execz .LBB64_28
.LBB64_25:                              ; =>This Loop Header: Depth=1
                                        ;     Child Loop BB64_27 Depth 2
	global_load_b64 v[4:5], v2, s[22:23] scale_offset
	v_ashrrev_i32_e32 v3, 31, v2
	s_and_not1_b32 vcc_lo, exec_lo, s29
	s_delay_alu instid0(VALU_DEP_1)
	v_lshl_add_u64 v[6:7], v[2:3], 3, s[22:23]
	s_cbranch_vccnz .LBB64_24
; %bb.26:                               ;   in Loop: Header=BB64_25 Depth=1
	s_delay_alu instid0(VALU_DEP_1)
	v_mov_b64_e32 v[8:9], v[6:7]
	s_mov_b32 s8, s28
	s_mov_b64 s[26:27], s[24:25]
.LBB64_27:                              ;   Parent Loop BB64_25 Depth=1
                                        ; =>  This Inner Loop Header: Depth=2
	s_delay_alu instid0(VALU_DEP_1)
	v_add_nc_u64_e32 v[10:11], s[14:15], v[8:9]
	s_add_nc_u64 s[30:31], s[26:27], s[12:13]
	s_add_co_i32 s8, s8, -1
	s_clause 0x1
	global_load_b64 v[12:13], v1, s[26:27]
	global_load_b64 v[14:15], v1, s[30:31]
	global_load_b64 v[16:17], v[10:11], off
	s_cmp_lg_u32 s8, 0
	s_wait_xcnt 0x2
	s_add_nc_u64 s[26:27], s[26:27], 8
	s_wait_loadcnt 0x0
	v_mul_f64_e32 v[18:19], v[16:17], v[14:15]
	s_delay_alu instid0(VALU_DEP_1)
	v_fma_f64 v[18:19], v[4:5], v[12:13], -v[18:19]
	v_mul_f64_e32 v[4:5], v[4:5], v[14:15]
	global_store_b64 v[8:9], v[18:19], off
	v_fmac_f64_e32 v[4:5], v[16:17], v[12:13]
	s_wait_xcnt 0x0
	v_mov_b64_e32 v[8:9], v[10:11]
	s_cbranch_scc1 .LBB64_27
	s_branch .LBB64_24
.LBB64_28:
	s_or_b32 exec_lo, exec_lo, s20
	s_delay_alu instid0(SALU_CYCLE_1)
	s_mov_b32 s5, exec_lo
	v_cmpx_gt_i32_e64 s6, v0
	s_cbranch_execz .LBB64_34
; %bb.29:
	s_load_b32 s12, s[0:1], 0x8c
	v_mul_lo_u32 v2, v0, s21
	s_wait_xcnt 0x0
	s_add_co_i32 s0, s4, -1
	s_cmp_gt_i32 s4, 1
	v_mov_b32_e32 v1, 0
	s_cselect_b32 s7, -1, 0
	s_lshl_b64 s[10:11], s[18:19], 3
	s_mov_b32 s5, 0
	s_add_nc_u64 s[10:11], s[16:17], s[10:11]
	s_add_nc_u64 s[8:9], s[2:3], 8
	s_ashr_i32 s1, s0, 31
	s_add_nc_u64 s[10:11], s[10:11], 32
	s_wait_kmcnt 0x0
	s_and_b32 s16, s12, 0xffff
	s_lshl_b64 s[12:13], s[4:5], 3
	s_mul_i32 s17, s21, s16
	s_branch .LBB64_31
.LBB64_30:                              ;   in Loop: Header=BB64_31 Depth=1
	v_dual_ashrrev_i32 v7, 31, v6 :: v_dual_add_nc_u32 v0, s16, v0
	v_add_nc_u32_e32 v2, s17, v2
	s_wait_xcnt 0x0
	s_delay_alu instid0(VALU_DEP_2) | instskip(NEXT) | instid1(VALU_DEP_3)
	v_lshl_add_u64 v[6:7], v[6:7], 3, s[2:3]
	v_cmp_le_i32_e32 vcc_lo, s6, v0
	s_delay_alu instid0(VALU_DEP_2)
	v_lshl_add_u64 v[6:7], s[0:1], 3, v[6:7]
	s_or_b32 s5, vcc_lo, s5
	s_wait_loadcnt 0x0
	global_store_b64 v[6:7], v[4:5], off
	s_wait_xcnt 0x0
	s_and_not1_b32 exec_lo, exec_lo, s5
	s_cbranch_execz .LBB64_34
.LBB64_31:                              ; =>This Loop Header: Depth=1
                                        ;     Child Loop BB64_33 Depth 2
	v_mul_lo_u32 v6, v0, s21
	s_and_not1_b32 vcc_lo, exec_lo, s7
	global_load_b64 v[4:5], v6, s[2:3] scale_offset
	s_cbranch_vccnz .LBB64_30
; %bb.32:                               ;   in Loop: Header=BB64_31 Depth=1
	v_ashrrev_i32_e32 v3, 31, v2
	s_mov_b32 s4, s0
	s_mov_b64 s[14:15], s[10:11]
	s_delay_alu instid0(VALU_DEP_1)
	v_lshl_add_u64 v[8:9], v[2:3], 3, s[8:9]
.LBB64_33:                              ;   Parent Loop BB64_31 Depth=1
                                        ; =>  This Inner Loop Header: Depth=2
	s_add_nc_u64 s[18:19], s[14:15], s[12:13]
	global_load_b64 v[10:11], v[8:9], off
	s_clause 0x1
	global_load_b64 v[12:13], v1, s[14:15]
	global_load_b64 v[14:15], v1, s[18:19]
	s_add_co_i32 s4, s4, -1
	s_wait_xcnt 0x1
	s_add_nc_u64 s[14:15], s[14:15], 8
	s_cmp_lg_u32 s4, 0
	s_wait_loadcnt 0x0
	v_mul_f64_e32 v[16:17], v[10:11], v[14:15]
	s_delay_alu instid0(VALU_DEP_1)
	v_fma_f64 v[16:17], v[4:5], v[12:13], -v[16:17]
	v_mul_f64_e32 v[4:5], v[4:5], v[14:15]
	global_store_b64 v[8:9], v[16:17], off offset:-8
	v_fmac_f64_e32 v[4:5], v[10:11], v[12:13]
	s_wait_xcnt 0x0
	v_add_nc_u64_e32 v[8:9], 8, v[8:9]
	s_cbranch_scc1 .LBB64_33
	s_branch .LBB64_30
.LBB64_34:
	s_endpgm
	.section	.rodata,"a",@progbits
	.p2align	6, 0x0
	.amdhsa_kernel _ZN9rocsolver6v33100L17bdsqr_lower2upperIddPdS2_EEviiiPT0_lS4_lT1_iilT2_iilPiS4_lS7_
		.amdhsa_group_segment_fixed_size 0
		.amdhsa_private_segment_fixed_size 0
		.amdhsa_kernarg_size 384
		.amdhsa_user_sgpr_count 2
		.amdhsa_user_sgpr_dispatch_ptr 0
		.amdhsa_user_sgpr_queue_ptr 0
		.amdhsa_user_sgpr_kernarg_segment_ptr 1
		.amdhsa_user_sgpr_dispatch_id 0
		.amdhsa_user_sgpr_kernarg_preload_length 0
		.amdhsa_user_sgpr_kernarg_preload_offset 0
		.amdhsa_user_sgpr_private_segment_size 0
		.amdhsa_wavefront_size32 1
		.amdhsa_uses_dynamic_stack 0
		.amdhsa_enable_private_segment 0
		.amdhsa_system_sgpr_workgroup_id_x 1
		.amdhsa_system_sgpr_workgroup_id_y 1
		.amdhsa_system_sgpr_workgroup_id_z 0
		.amdhsa_system_sgpr_workgroup_info 0
		.amdhsa_system_vgpr_workitem_id 0
		.amdhsa_next_free_vgpr 20
		.amdhsa_next_free_sgpr 32
		.amdhsa_named_barrier_count 0
		.amdhsa_reserve_vcc 1
		.amdhsa_float_round_mode_32 0
		.amdhsa_float_round_mode_16_64 0
		.amdhsa_float_denorm_mode_32 3
		.amdhsa_float_denorm_mode_16_64 3
		.amdhsa_fp16_overflow 0
		.amdhsa_memory_ordered 1
		.amdhsa_forward_progress 1
		.amdhsa_inst_pref_size 17
		.amdhsa_round_robin_scheduling 0
		.amdhsa_exception_fp_ieee_invalid_op 0
		.amdhsa_exception_fp_denorm_src 0
		.amdhsa_exception_fp_ieee_div_zero 0
		.amdhsa_exception_fp_ieee_overflow 0
		.amdhsa_exception_fp_ieee_underflow 0
		.amdhsa_exception_fp_ieee_inexact 0
		.amdhsa_exception_int_div_zero 0
	.end_amdhsa_kernel
	.section	.text._ZN9rocsolver6v33100L17bdsqr_lower2upperIddPdS2_EEviiiPT0_lS4_lT1_iilT2_iilPiS4_lS7_,"axG",@progbits,_ZN9rocsolver6v33100L17bdsqr_lower2upperIddPdS2_EEviiiPT0_lS4_lT1_iilT2_iilPiS4_lS7_,comdat
.Lfunc_end64:
	.size	_ZN9rocsolver6v33100L17bdsqr_lower2upperIddPdS2_EEviiiPT0_lS4_lT1_iilT2_iilPiS4_lS7_, .Lfunc_end64-_ZN9rocsolver6v33100L17bdsqr_lower2upperIddPdS2_EEviiiPT0_lS4_lT1_iilT2_iilPiS4_lS7_
                                        ; -- End function
	.set _ZN9rocsolver6v33100L17bdsqr_lower2upperIddPdS2_EEviiiPT0_lS4_lT1_iilT2_iilPiS4_lS7_.num_vgpr, 20
	.set _ZN9rocsolver6v33100L17bdsqr_lower2upperIddPdS2_EEviiiPT0_lS4_lT1_iilT2_iilPiS4_lS7_.num_agpr, 0
	.set _ZN9rocsolver6v33100L17bdsqr_lower2upperIddPdS2_EEviiiPT0_lS4_lT1_iilT2_iilPiS4_lS7_.numbered_sgpr, 32
	.set _ZN9rocsolver6v33100L17bdsqr_lower2upperIddPdS2_EEviiiPT0_lS4_lT1_iilT2_iilPiS4_lS7_.num_named_barrier, 0
	.set _ZN9rocsolver6v33100L17bdsqr_lower2upperIddPdS2_EEviiiPT0_lS4_lT1_iilT2_iilPiS4_lS7_.private_seg_size, 0
	.set _ZN9rocsolver6v33100L17bdsqr_lower2upperIddPdS2_EEviiiPT0_lS4_lT1_iilT2_iilPiS4_lS7_.uses_vcc, 1
	.set _ZN9rocsolver6v33100L17bdsqr_lower2upperIddPdS2_EEviiiPT0_lS4_lT1_iilT2_iilPiS4_lS7_.uses_flat_scratch, 0
	.set _ZN9rocsolver6v33100L17bdsqr_lower2upperIddPdS2_EEviiiPT0_lS4_lT1_iilT2_iilPiS4_lS7_.has_dyn_sized_stack, 0
	.set _ZN9rocsolver6v33100L17bdsqr_lower2upperIddPdS2_EEviiiPT0_lS4_lT1_iilT2_iilPiS4_lS7_.has_recursion, 0
	.set _ZN9rocsolver6v33100L17bdsqr_lower2upperIddPdS2_EEviiiPT0_lS4_lT1_iilT2_iilPiS4_lS7_.has_indirect_call, 0
	.section	.AMDGPU.csdata,"",@progbits
; Kernel info:
; codeLenInByte = 2108
; TotalNumSgprs: 34
; NumVgprs: 20
; ScratchSize: 0
; MemoryBound: 0
; FloatMode: 240
; IeeeMode: 1
; LDSByteSize: 0 bytes/workgroup (compile time only)
; SGPRBlocks: 0
; VGPRBlocks: 1
; NumSGPRsForWavesPerEU: 34
; NumVGPRsForWavesPerEU: 20
; NamedBarCnt: 0
; Occupancy: 16
; WaveLimiterHint : 0
; COMPUTE_PGM_RSRC2:SCRATCH_EN: 0
; COMPUTE_PGM_RSRC2:USER_SGPR: 2
; COMPUTE_PGM_RSRC2:TRAP_HANDLER: 0
; COMPUTE_PGM_RSRC2:TGID_X_EN: 1
; COMPUTE_PGM_RSRC2:TGID_Y_EN: 1
; COMPUTE_PGM_RSRC2:TGID_Z_EN: 0
; COMPUTE_PGM_RSRC2:TIDIG_COMP_CNT: 0
	.section	.text._ZN9rocsolver6v33100L13bdsqr_computeILi256EddPdS2_S2_EEviiiiPT1_lS4_lT2_iilT3_iilT4_iiliS3_S3_S3_S3_PiS4_ilS8_,"axG",@progbits,_ZN9rocsolver6v33100L13bdsqr_computeILi256EddPdS2_S2_EEviiiiPT1_lS4_lT2_iilT3_iilT4_iiliS3_S3_S3_S3_PiS4_ilS8_,comdat
	.globl	_ZN9rocsolver6v33100L13bdsqr_computeILi256EddPdS2_S2_EEviiiiPT1_lS4_lT2_iilT3_iilT4_iiliS3_S3_S3_S3_PiS4_ilS8_ ; -- Begin function _ZN9rocsolver6v33100L13bdsqr_computeILi256EddPdS2_S2_EEviiiiPT1_lS4_lT2_iilT3_iilT4_iiliS3_S3_S3_S3_PiS4_ilS8_
	.p2align	8
	.type	_ZN9rocsolver6v33100L13bdsqr_computeILi256EddPdS2_S2_EEviiiiPT1_lS4_lT2_iilT3_iilT4_iiliS3_S3_S3_S3_PiS4_ilS8_,@function
_ZN9rocsolver6v33100L13bdsqr_computeILi256EddPdS2_S2_EEviiiiPT1_lS4_lT2_iilT3_iilT4_iiliS3_S3_S3_S3_PiS4_ilS8_: ; @_ZN9rocsolver6v33100L13bdsqr_computeILi256EddPdS2_S2_EEviiiiPT1_lS4_lT2_iilT3_iilT4_iiliS3_S3_S3_S3_PiS4_ilS8_
; %bb.0:
	s_load_b128 s[4:7], s[0:1], 0xb8
	s_bfe_u32 s2, ttmp6, 0x40014
	s_lshr_b32 s3, ttmp7, 16
	s_add_co_i32 s2, s2, 1
	s_bfe_u32 s9, ttmp6, 0x40008
	s_mul_i32 s8, s3, s2
	s_getreg_b32 s2, hwreg(HW_REG_IB_STS2, 6, 4)
	s_add_co_i32 s9, s9, s8
	s_cmp_eq_u32 s2, 0
	s_mov_b32 s45, 0
	s_cselect_b32 s44, s3, s9
	s_wait_kmcnt 0x0
	s_load_b32 s3, s[6:7], s44 offset:0x8 scale_offset
	s_wait_kmcnt 0x0
	s_cmp_lg_u32 s3, 0
	s_cbranch_scc1 .LBB65_171
; %bb.1:
	s_load_b256 s[8:15], s[0:1], 0x30
	s_mov_b64 s[34:35], 0
	s_mov_b64 s[36:37], 0
	s_wait_kmcnt 0x0
	s_cmp_eq_u64 s[8:9], 0
	s_cbranch_scc1 .LBB65_3
; %bb.2:
	s_mul_u64 s[6:7], s[12:13], s[44:45]
	s_ashr_i32 s13, s10, 31
	s_lshl_b64 s[6:7], s[6:7], 3
	s_mov_b32 s12, s10
	s_add_nc_u64 s[6:7], s[8:9], s[6:7]
	s_lshl_b64 s[8:9], s[12:13], 3
	s_delay_alu instid0(SALU_CYCLE_1)
	s_add_nc_u64 s[36:37], s[6:7], s[8:9]
.LBB65_3:
	s_clause 0x1
	s_load_b64 s[8:9], s[0:1], 0x50
	s_load_b128 s[16:19], s[0:1], 0x58
	s_cmp_eq_u64 s[14:15], 0
	s_cbranch_scc1 .LBB65_5
; %bb.4:
	s_wait_kmcnt 0x0
	s_mul_u64 s[6:7], s[16:17], s[44:45]
	s_ashr_i32 s13, s8, 31
	s_lshl_b64 s[6:7], s[6:7], 3
	s_mov_b32 s12, s8
	s_add_nc_u64 s[6:7], s[14:15], s[6:7]
	s_lshl_b64 s[12:13], s[12:13], 3
	s_delay_alu instid0(SALU_CYCLE_1)
	s_add_nc_u64 s[34:35], s[6:7], s[12:13]
.LBB65_5:
	s_load_b64 s[38:39], s[0:1], 0x68
	s_wait_kmcnt 0x0
	s_cmp_eq_u64 s[18:19], 0
	s_mov_b64 s[40:41], 0
	s_cbranch_scc1 .LBB65_7
; %bb.6:
	s_load_b64 s[6:7], s[0:1], 0x70
	s_ashr_i32 s13, s38, 31
	s_mov_b32 s12, s38
	s_delay_alu instid0(SALU_CYCLE_1) | instskip(SKIP_2) | instid1(SALU_CYCLE_1)
	s_lshl_b64 s[12:13], s[12:13], 3
	s_wait_kmcnt 0x0
	s_mul_u64 s[6:7], s[6:7], s[44:45]
	s_lshl_b64 s[6:7], s[6:7], 3
	s_delay_alu instid0(SALU_CYCLE_1) | instskip(NEXT) | instid1(SALU_CYCLE_1)
	s_add_nc_u64 s[6:7], s[18:19], s[6:7]
	s_add_nc_u64 s[40:41], s[6:7], s[12:13]
.LBB65_7:
	s_load_b256 s[12:19], s[0:1], 0x90
	s_bfe_u32 s3, ttmp6, 0x40010
	s_and_b32 s6, ttmp7, 0xffff
	s_add_co_i32 s3, s3, 1
	s_bfe_u32 s7, ttmp6, 0x40004
	s_mul_i32 s3, s6, s3
	s_delay_alu instid0(SALU_CYCLE_1)
	s_add_co_i32 s7, s7, s3
	s_cmp_eq_u32 s2, 0
	s_mul_u64 s[2:3], s[4:5], s[44:45]
	s_cselect_b32 s8, s6, s7
	s_lshl_b64 s[2:3], s[2:3], 3
	s_wait_kmcnt 0x0
	s_add_nc_u64 s[18:19], s[18:19], s[2:3]
	s_load_b64 s[2:3], s[18:19], 0x10
	s_wait_kmcnt 0x0
	v_cvt_i32_f64_e32 v1, s[2:3]
	s_delay_alu instid0(VALU_DEP_1)
	v_cmp_ge_i32_e32 vcc_lo, s8, v1
	s_cbranch_vccnz .LBB65_171
; %bb.8:
	s_clause 0x3
	s_load_b128 s[28:31], s[0:1], 0x0
	s_load_b256 s[20:27], s[0:1], 0x10
	s_load_b32 s10, s[0:1], 0x78
	s_load_b64 s[6:7], s[0:1], 0x80
                                        ; implicit-def: $vgpr34 : SGPR spill to VGPR lane
	s_add_nc_u64 s[42:43], s[0:1], 0xc8
	s_clause 0x1
	s_load_b32 s33, s[0:1], 0xb0
	s_load_b32 s38, s[0:1], 0xcc
	v_dual_mov_b32 v3, 0 :: v_dual_lshlrev_b32 v2, 3, v0
	v_mul_lo_u32 v22, v0, s11
	v_mul_lo_u32 v23, v0, s39
	v_mov_b64_e32 v[4:5], 0
	v_cmp_gt_u32_e64 s2, 0x80, v0
	v_cmp_gt_u32_e64 s3, 64, v0
	;; [unrolled: 1-line block ×3, first 2 shown]
	v_cmp_eq_u32_e64 s5, 0, v0
	v_mov_b32_e32 v24, 1
	s_add_nc_u64 s[46:47], s[18:19], 24
	s_add_nc_u64 s[52:53], s[18:19], 40
	;; [unrolled: 1-line block ×3, first 2 shown]
	s_wait_kmcnt 0x0
	s_mul_u64 s[26:27], s[26:27], s[44:45]
	v_writelane_b32 v34, s6, 0
	s_mul_u64 s[0:1], s[22:23], s[44:45]
	s_add_nc_u64 s[48:49], s[24:25], -8
	s_lshl_b64 s[22:23], s[0:1], 3
	v_cmp_gt_i32_e64 s1, s30, v0
	v_writelane_b32 v34, s7, 1
	s_mul_i32 s6, s44, s28
	s_add_nc_u64 s[20:21], s[20:21], s[22:23]
	s_lshl_b32 s6, s6, 1
	v_add_nc_u64_e32 v[6:7], s[20:21], v[2:3]
	v_writelane_b32 v34, s26, 2
	s_ashr_i32 s7, s6, 31
	s_delay_alu instid0(SALU_CYCLE_1)
	s_lshl_b64 s[44:45], s[6:7], 2
	v_cmp_gt_i32_e64 s6, s31, v0
	v_writelane_b32 v34, s27, 3
	s_lshl_b64 s[26:27], s[26:27], 3
	s_cmp_lg_u32 s29, 0
	s_add_nc_u64 s[24:25], s[24:25], s[26:27]
	s_cselect_b32 s28, -1, 0
	s_or_b32 s0, s31, s30
	v_writelane_b32 v34, s48, 4
	s_cmp_eq_u32 s0, 0
	v_add_nc_u64_e32 v[8:9], s[24:25], v[2:3]
	s_cselect_b32 s104, -1, 0
	s_cmp_lg_u64 s[36:37], 0
	v_writelane_b32 v34, s49, 5
	s_cselect_b32 s7, -1, 0
	v_cmp_gt_i32_e64 s0, s29, v0
	s_and_b32 vcc_hi, s28, s7
	s_cmp_lg_u64 s[34:35], 0
	s_add_nc_u64 s[16:17], s[16:17], s[44:45]
	s_cselect_b32 s7, -1, 0
	s_cmp_lg_u32 s30, 0
	s_cselect_b32 s22, -1, 0
	s_delay_alu instid0(SALU_CYCLE_1) | instskip(SKIP_4) | instid1(SALU_CYCLE_1)
	s_and_b32 s48, s22, s7
	s_cmp_lg_u64 s[40:41], 0
	s_cselect_b32 s7, -1, 0
	s_cmp_lg_u32 s31, 0
	s_cselect_b32 s22, -1, 0
	s_and_b32 s49, s22, s7
	s_add_nc_u64 s[22:23], s[24:25], -8
	s_delay_alu instid0(SALU_CYCLE_1) | instskip(SKIP_2) | instid1(SALU_CYCLE_1)
	v_writelane_b32 v34, s22, 6
	v_writelane_b32 v34, s23, 7
	s_add_nc_u64 s[22:23], s[20:21], -8
	v_writelane_b32 v34, s22, 8
	v_writelane_b32 v34, s23, 9
	s_branch .LBB65_11
.LBB65_9:                               ;   in Loop: Header=BB65_11 Depth=1
	s_or_b32 exec_lo, exec_lo, s7
.LBB65_10:                              ;   in Loop: Header=BB65_11 Depth=1
	s_add_co_i32 s8, s38, s8
	s_delay_alu instid0(SALU_CYCLE_1)
	v_cmp_lt_i32_e32 vcc_lo, s8, v1
	s_cbranch_vccz .LBB65_171
.LBB65_11:                              ; =>This Loop Header: Depth=1
                                        ;     Child Loop BB65_15 Depth 2
                                        ;     Child Loop BB65_40 Depth 2
	;; [unrolled: 1-line block ×5, first 2 shown]
                                        ;       Child Loop BB65_155 Depth 3
                                        ;     Child Loop BB65_160 Depth 2
                                        ;       Child Loop BB65_161 Depth 3
                                        ;     Child Loop BB65_166 Depth 2
                                        ;       Child Loop BB65_167 Depth 3
	s_lshl_b32 s22, s8, 2
	s_delay_alu instid0(SALU_CYCLE_1) | instskip(NEXT) | instid1(SALU_CYCLE_1)
	s_ashr_i32 s23, s22, 31
	s_lshl_b64 s[22:23], s[22:23], 2
	s_wait_xcnt 0x0
	s_add_nc_u64 s[66:67], s[16:17], s[22:23]
	global_load_b64 v[10:11], v3, s[66:67] offset:4
	s_wait_loadcnt 0x0
	v_readfirstlane_b32 s58, v11
	v_readfirstlane_b32 s60, v10
	s_cmp_le_i32 s58, s60
	s_cbranch_scc1 .LBB65_10
; %bb.12:                               ;   in Loop: Header=BB65_11 Depth=1
	global_load_b32 v10, v3, s[66:67] offset:12
	s_wait_loadcnt 0x0
	v_cmp_le_i32_e32 vcc_lo, s10, v10
	s_cbranch_vccnz .LBB65_10
; %bb.13:                               ;   in Loop: Header=BB65_11 Depth=1
	v_mov_b64_e32 v[10:11], 0
	s_sub_co_i32 s56, s58, s60
	s_ashr_i32 s61, s60, 31
	s_mov_b32 s22, exec_lo
	s_wait_xcnt 0x0
	v_cmpx_ge_i32_e64 s56, v0
	s_cbranch_execz .LBB65_17
; %bb.14:                               ;   in Loop: Header=BB65_11 Depth=1
	v_mov_b64_e32 v[10:11], 0
	v_lshl_add_u64 v[12:13], s[60:61], 3, v[6:7]
	v_mov_b32_e32 v14, v0
	s_mov_b32 s23, 0
.LBB65_15:                              ;   Parent Loop BB65_11 Depth=1
                                        ; =>  This Inner Loop Header: Depth=2
	global_load_b64 v[16:17], v[12:13], off
	s_wait_xcnt 0x0
	v_add_nc_u64_e32 v[12:13], 0x800, v[12:13]
	s_wait_loadcnt 0x0
	v_cmp_lt_f64_e64 vcc_lo, v[10:11], |v[16:17]|
	v_and_b32_e32 v15, 0x7fffffff, v17
	s_delay_alu instid0(VALU_DEP_1) | instskip(NEXT) | instid1(VALU_DEP_1)
	v_dual_cndmask_b32 v11, v11, v15 :: v_dual_add_nc_u32 v14, 0x100, v14
	v_cmp_lt_i32_e64 s7, s56, v14
	v_cndmask_b32_e32 v10, v10, v16, vcc_lo
	s_or_b32 s23, s7, s23
	s_delay_alu instid0(SALU_CYCLE_1)
	s_and_not1_b32 exec_lo, exec_lo, s23
	s_cbranch_execnz .LBB65_15
; %bb.16:                               ;   in Loop: Header=BB65_11 Depth=1
	s_or_b32 exec_lo, exec_lo, s23
.LBB65_17:                              ;   in Loop: Header=BB65_11 Depth=1
	s_delay_alu instid0(SALU_CYCLE_1)
	s_or_b32 exec_lo, exec_lo, s22
	ds_store_b64 v2, v[10:11]
	s_wait_dscnt 0x0
	s_barrier_signal -1
	s_barrier_wait -1
	s_and_saveexec_b32 s7, s2
	s_cbranch_execz .LBB65_21
; %bb.18:                               ;   in Loop: Header=BB65_11 Depth=1
	ds_load_b64 v[12:13], v2 offset:1024
	s_mov_b32 s22, exec_lo
	s_wait_dscnt 0x0
	v_cmpx_lt_f64_e32 v[10:11], v[12:13]
; %bb.19:                               ;   in Loop: Header=BB65_11 Depth=1
	v_mov_b64_e32 v[10:11], v[12:13]
	ds_store_b64 v2, v[12:13]
; %bb.20:                               ;   in Loop: Header=BB65_11 Depth=1
	s_or_b32 exec_lo, exec_lo, s22
.LBB65_21:                              ;   in Loop: Header=BB65_11 Depth=1
	s_delay_alu instid0(SALU_CYCLE_1)
	s_or_b32 exec_lo, exec_lo, s7
	s_wait_dscnt 0x0
	s_barrier_signal -1
	s_barrier_wait -1
	s_and_saveexec_b32 s7, s3
	s_cbranch_execz .LBB65_25
; %bb.22:                               ;   in Loop: Header=BB65_11 Depth=1
	ds_load_b64 v[12:13], v2 offset:512
	s_mov_b32 s22, exec_lo
	s_wait_dscnt 0x0
	v_cmpx_lt_f64_e32 v[10:11], v[12:13]
; %bb.23:                               ;   in Loop: Header=BB65_11 Depth=1
	v_mov_b64_e32 v[10:11], v[12:13]
	ds_store_b64 v2, v[12:13]
; %bb.24:                               ;   in Loop: Header=BB65_11 Depth=1
	s_or_b32 exec_lo, exec_lo, s22
.LBB65_25:                              ;   in Loop: Header=BB65_11 Depth=1
	s_delay_alu instid0(SALU_CYCLE_1)
	s_or_b32 exec_lo, exec_lo, s7
	s_wait_dscnt 0x0
	s_barrier_signal -1
	s_barrier_wait -1
	s_and_saveexec_b32 s7, s4
	s_cbranch_execz .LBB65_38
; %bb.26:                               ;   in Loop: Header=BB65_11 Depth=1
	ds_load_b64 v[12:13], v2 offset:256
	s_mov_b32 s22, exec_lo
	s_wait_dscnt 0x0
	v_cmpx_lt_f64_e32 v[10:11], v[12:13]
; %bb.27:                               ;   in Loop: Header=BB65_11 Depth=1
	v_mov_b64_e32 v[10:11], v[12:13]
	ds_store_b64 v2, v[12:13]
; %bb.28:                               ;   in Loop: Header=BB65_11 Depth=1
	s_or_b32 exec_lo, exec_lo, s22
	ds_load_b64 v[12:13], v2 offset:128
	s_mov_b32 s22, exec_lo
	s_wait_dscnt 0x0
	v_cmpx_lt_f64_e32 v[10:11], v[12:13]
; %bb.29:                               ;   in Loop: Header=BB65_11 Depth=1
	v_mov_b64_e32 v[10:11], v[12:13]
	ds_store_b64 v2, v[12:13]
; %bb.30:                               ;   in Loop: Header=BB65_11 Depth=1
	s_or_b32 exec_lo, exec_lo, s22
	;; [unrolled: 9-line block ×5, first 2 shown]
	ds_load_b64 v[12:13], v2 offset:8
	s_wait_dscnt 0x0
	v_cmp_lt_f64_e32 vcc_lo, v[10:11], v[12:13]
	s_and_b32 exec_lo, exec_lo, vcc_lo
; %bb.37:                               ;   in Loop: Header=BB65_11 Depth=1
	ds_store_b64 v2, v[12:13]
.LBB65_38:                              ;   in Loop: Header=BB65_11 Depth=1
	s_or_b32 exec_lo, exec_lo, s7
	v_mov_b64_e32 v[10:11], 0
	s_mov_b32 s22, exec_lo
	s_wait_dscnt 0x0
	s_barrier_signal -1
	s_barrier_wait -1
	v_cmpx_gt_i32_e64 s56, v0
	s_cbranch_execz .LBB65_42
; %bb.39:                               ;   in Loop: Header=BB65_11 Depth=1
	v_mov_b64_e32 v[10:11], 0
	v_lshl_add_u64 v[12:13], s[60:61], 3, v[8:9]
	v_mov_b32_e32 v14, v0
	s_mov_b32 s23, 0
.LBB65_40:                              ;   Parent Loop BB65_11 Depth=1
                                        ; =>  This Inner Loop Header: Depth=2
	global_load_b64 v[16:17], v[12:13], off
	s_wait_xcnt 0x0
	v_add_nc_u64_e32 v[12:13], 0x800, v[12:13]
	s_wait_loadcnt 0x0
	v_cmp_lt_f64_e64 vcc_lo, v[10:11], |v[16:17]|
	v_and_b32_e32 v15, 0x7fffffff, v17
	s_delay_alu instid0(VALU_DEP_1) | instskip(NEXT) | instid1(VALU_DEP_1)
	v_dual_cndmask_b32 v11, v11, v15 :: v_dual_add_nc_u32 v14, 0x100, v14
	v_cmp_le_i32_e64 s7, s56, v14
	v_cndmask_b32_e32 v10, v10, v16, vcc_lo
	s_or_b32 s23, s7, s23
	s_delay_alu instid0(SALU_CYCLE_1)
	s_and_not1_b32 exec_lo, exec_lo, s23
	s_cbranch_execnz .LBB65_40
; %bb.41:                               ;   in Loop: Header=BB65_11 Depth=1
	s_or_b32 exec_lo, exec_lo, s23
.LBB65_42:                              ;   in Loop: Header=BB65_11 Depth=1
	s_delay_alu instid0(SALU_CYCLE_1)
	s_or_b32 exec_lo, exec_lo, s22
	s_cmp_lt_i32 s56, 2
	ds_store_b64 v2, v[10:11] offset:8
	s_wait_dscnt 0x0
	s_barrier_signal -1
	s_barrier_wait -1
	s_cbranch_scc1 .LBB65_65
; %bb.43:                               ;   in Loop: Header=BB65_11 Depth=1
	s_and_saveexec_b32 s7, s2
	s_cbranch_execz .LBB65_47
; %bb.44:                               ;   in Loop: Header=BB65_11 Depth=1
	ds_load_b64 v[12:13], v2 offset:1032
	s_mov_b32 s22, exec_lo
	s_wait_dscnt 0x0
	v_cmpx_lt_f64_e32 v[10:11], v[12:13]
; %bb.45:                               ;   in Loop: Header=BB65_11 Depth=1
	v_mov_b64_e32 v[10:11], v[12:13]
	ds_store_b64 v2, v[12:13] offset:8
; %bb.46:                               ;   in Loop: Header=BB65_11 Depth=1
	s_or_b32 exec_lo, exec_lo, s22
.LBB65_47:                              ;   in Loop: Header=BB65_11 Depth=1
	s_delay_alu instid0(SALU_CYCLE_1)
	s_or_b32 exec_lo, exec_lo, s7
	s_wait_dscnt 0x0
	s_barrier_signal -1
	s_barrier_wait -1
	s_and_saveexec_b32 s7, s3
	s_cbranch_execz .LBB65_51
; %bb.48:                               ;   in Loop: Header=BB65_11 Depth=1
	ds_load_b64 v[12:13], v2 offset:520
	s_mov_b32 s22, exec_lo
	s_wait_dscnt 0x0
	v_cmpx_lt_f64_e32 v[10:11], v[12:13]
; %bb.49:                               ;   in Loop: Header=BB65_11 Depth=1
	v_mov_b64_e32 v[10:11], v[12:13]
	ds_store_b64 v2, v[12:13] offset:8
; %bb.50:                               ;   in Loop: Header=BB65_11 Depth=1
	s_or_b32 exec_lo, exec_lo, s22
.LBB65_51:                              ;   in Loop: Header=BB65_11 Depth=1
	s_delay_alu instid0(SALU_CYCLE_1)
	s_or_b32 exec_lo, exec_lo, s7
	s_wait_dscnt 0x0
	s_barrier_signal -1
	s_barrier_wait -1
	s_and_saveexec_b32 s7, s4
	s_cbranch_execz .LBB65_64
; %bb.52:                               ;   in Loop: Header=BB65_11 Depth=1
	ds_load_b64 v[12:13], v2 offset:264
	s_mov_b32 s22, exec_lo
	s_wait_dscnt 0x0
	v_cmpx_lt_f64_e32 v[10:11], v[12:13]
; %bb.53:                               ;   in Loop: Header=BB65_11 Depth=1
	v_mov_b64_e32 v[10:11], v[12:13]
	ds_store_b64 v2, v[12:13] offset:8
; %bb.54:                               ;   in Loop: Header=BB65_11 Depth=1
	s_or_b32 exec_lo, exec_lo, s22
	ds_load_b64 v[12:13], v2 offset:136
	s_mov_b32 s22, exec_lo
	s_wait_dscnt 0x0
	v_cmpx_lt_f64_e32 v[10:11], v[12:13]
; %bb.55:                               ;   in Loop: Header=BB65_11 Depth=1
	v_mov_b64_e32 v[10:11], v[12:13]
	ds_store_b64 v2, v[12:13] offset:8
; %bb.56:                               ;   in Loop: Header=BB65_11 Depth=1
	s_or_b32 exec_lo, exec_lo, s22
	;; [unrolled: 9-line block ×5, first 2 shown]
	ds_load_b64 v[12:13], v2 offset:16
	s_wait_dscnt 0x0
	v_cmp_lt_f64_e32 vcc_lo, v[10:11], v[12:13]
	s_and_b32 exec_lo, exec_lo, vcc_lo
; %bb.63:                               ;   in Loop: Header=BB65_11 Depth=1
	ds_store_b64 v2, v[12:13] offset:8
.LBB65_64:                              ;   in Loop: Header=BB65_11 Depth=1
	s_or_b32 exec_lo, exec_lo, s7
.LBB65_65:                              ;   in Loop: Header=BB65_11 Depth=1
	s_lshl_b64 s[62:63], s[60:61], 3
	s_wait_dscnt 0x0
	s_add_nc_u64 s[70:71], s[24:25], s[62:63]
	s_add_nc_u64 s[78:79], s[20:21], s[62:63]
	s_barrier_signal -1
	s_barrier_wait -1
	s_and_saveexec_b32 s22, s5
	s_cbranch_execz .LBB65_79
; %bb.66:                               ;   in Loop: Header=BB65_11 Depth=1
	v_mov_b32_e32 v12, s58
	s_ashr_i32 s57, s56, 31
	s_clause 0x1
	global_load_b64 v[10:11], v3, s[78:79]
	global_load_b64 v[12:13], v12, s[20:21] scale_offset
	s_lshl_b64 s[26:27], s[56:57], 3
	s_delay_alu instid0(SALU_CYCLE_1)
	s_add_nc_u64 s[26:27], s[78:79], s[26:27]
	s_wait_loadcnt 0x0
	v_cmp_ge_f64_e64 s7, |v[10:11]|, |v[12:13]|
	v_and_b32_e32 v11, 0x7fffffff, v11
	v_and_b32_e32 v13, 0x7fffffff, v13
	s_and_b32 s23, s7, exec_lo
	s_cselect_b32 s27, s79, s27
	s_cselect_b32 s26, s78, s26
	v_cndmask_b32_e64 v18, 0, 1, s7
	global_load_b64 v[14:15], v3, s[26:27]
	s_not_b32 s23, s60
	s_wait_xcnt 0x0
	s_mov_b32 s27, 0
	s_add_co_i32 s23, s23, s58
	ds_store_b32 v3, v18 offset:2064
	s_wait_loadcnt 0x0
	v_and_b32_e32 v15, 0x7fffffff, v15
	s_delay_alu instid0(VALU_DEP_1)
	v_mov_b64_e32 v[16:17], v[14:15]
	s_branch .LBB65_68
.LBB65_67:                              ;   in Loop: Header=BB65_68 Depth=2
	s_wait_xcnt 0x0
	v_add_f64_e64 v[18:19], v[16:17], |v[18:19]|
	s_add_co_i32 s27, s27, 1
	s_and_b32 s44, s7, exec_lo
	s_cselect_b32 s44, s27, s23
	s_add_co_i32 s23, s23, -1
	s_delay_alu instid0(SALU_CYCLE_1) | instskip(SKIP_1) | instid1(VALU_DEP_1)
	s_cmp_eq_u32 s23, -1
	s_cselect_b32 s45, -1, 0
	v_div_scale_f64 v[20:21], null, v[18:19], v[18:19], v[16:17]
	s_delay_alu instid0(VALU_DEP_1) | instskip(SKIP_1) | instid1(TRANS32_DEP_1)
	v_rcp_f64_e32 v[28:29], v[20:21]
	v_nop
	v_fma_f64 v[30:31], -v[20:21], v[28:29], 1.0
	s_delay_alu instid0(VALU_DEP_1) | instskip(NEXT) | instid1(VALU_DEP_1)
	v_fmac_f64_e32 v[28:29], v[28:29], v[30:31]
	v_fma_f64 v[30:31], -v[20:21], v[28:29], 1.0
	s_delay_alu instid0(VALU_DEP_1) | instskip(SKIP_3) | instid1(VALU_DEP_2)
	v_fmac_f64_e32 v[28:29], v[28:29], v[30:31]
	v_div_scale_f64 v[30:31], vcc_lo, v[16:17], v[18:19], v[16:17]
	v_mov_b32_e32 v25, s44
	s_mov_b32 s44, 0
	v_mul_f64_e32 v[32:33], v[30:31], v[28:29]
	global_load_b64 v[26:27], v25, s[78:79] scale_offset
	v_fma_f64 v[20:21], -v[20:21], v[32:33], v[30:31]
	s_delay_alu instid0(VALU_DEP_1) | instskip(NEXT) | instid1(VALU_DEP_1)
	v_div_fmas_f64 v[20:21], v[20:21], v[28:29], v[32:33]
	v_div_fixup_f64 v[16:17], v[20:21], v[18:19], v[16:17]
	s_wait_loadcnt 0x0
	s_delay_alu instid0(VALU_DEP_1) | instskip(NEXT) | instid1(VALU_DEP_1)
	v_mul_f64_e64 v[16:17], v[16:17], |v[26:27]|
	v_cmp_lt_f64_e32 vcc_lo, v[16:17], v[14:15]
	v_dual_cndmask_b32 v15, v15, v17 :: v_dual_cndmask_b32 v14, v14, v16
	s_and_not1_b32 vcc_lo, exec_lo, s45
	s_cbranch_vccz .LBB65_70
.LBB65_68:                              ;   Parent Loop BB65_11 Depth=1
                                        ; =>  This Inner Loop Header: Depth=2
	s_and_b32 s26, s7, exec_lo
	s_cselect_b32 s26, s27, s23
	s_wait_xcnt 0x0
	s_delay_alu instid0(VALU_DEP_1)
	v_dual_mul_f64 v[20:21], s[12:13], v[16:17] :: v_dual_mov_b32 v18, s26
	global_load_b64 v[18:19], v18, s[70:71] scale_offset
	s_wait_loadcnt 0x0
	v_cmp_nle_f64_e64 s44, |v[18:19]|, v[20:21]
	s_and_b32 vcc_lo, exec_lo, s44
	s_cbranch_vccnz .LBB65_67
; %bb.69:                               ;   in Loop: Header=BB65_11 Depth=1
	s_mov_b32 s44, -1
                                        ; implicit-def: $vgpr16_vgpr17
                                        ; implicit-def: $sgpr23
                                        ; implicit-def: $sgpr27
                                        ; implicit-def: $vgpr14_vgpr15
.LBB65_70:                              ;   in Loop: Header=BB65_11 Depth=1
	s_delay_alu instid0(SALU_CYCLE_1)
	s_and_b32 vcc_lo, exec_lo, s44
	s_cbranch_vccz .LBB65_72
; %bb.71:                               ;   in Loop: Header=BB65_11 Depth=1
	v_mov_b64_e32 v[14:15], -1.0
	s_ashr_i32 s27, s26, 31
	s_delay_alu instid0(SALU_CYCLE_1) | instskip(NEXT) | instid1(SALU_CYCLE_1)
	s_lshl_b64 s[26:27], s[26:27], 3
	s_add_nc_u64 s[26:27], s[70:71], s[26:27]
	global_store_b64 v3, v[4:5], s[26:27]
.LBB65_72:                              ;   in Loop: Header=BB65_11 Depth=1
	v_cmp_nle_f64_e32 vcc_lo, 0, v[14:15]
	ds_store_b64 v3, v[14:15] offset:2056
	ds_store_b8 v3, v3 offset:2068
	s_cbranch_vccnz .LBB65_79
; %bb.73:                               ;   in Loop: Header=BB65_11 Depth=1
	s_wait_xcnt 0x0
	ds_load_b128 v[16:19], v3
	s_mov_b32 s23, -1
	s_wait_dscnt 0x0
	v_cmp_lt_f64_e32 vcc_lo, v[16:17], v[18:19]
	v_dual_cndmask_b32 v17, v17, v19 :: v_dual_cndmask_b32 v16, v16, v18
	s_delay_alu instid0(VALU_DEP_1) | instskip(NEXT) | instid1(VALU_DEP_1)
	v_div_scale_f64 v[18:19], null, v[16:17], v[16:17], v[14:15]
	v_rcp_f64_e32 v[20:21], v[18:19]
	v_nop
	s_delay_alu instid0(TRANS32_DEP_1) | instskip(NEXT) | instid1(VALU_DEP_1)
	v_fma_f64 v[26:27], -v[18:19], v[20:21], 1.0
	v_fmac_f64_e32 v[20:21], v[20:21], v[26:27]
	s_delay_alu instid0(VALU_DEP_1) | instskip(NEXT) | instid1(VALU_DEP_1)
	v_fma_f64 v[26:27], -v[18:19], v[20:21], 1.0
	v_fmac_f64_e32 v[20:21], v[20:21], v[26:27]
	v_div_scale_f64 v[26:27], vcc_lo, v[14:15], v[16:17], v[14:15]
	s_delay_alu instid0(VALU_DEP_1) | instskip(NEXT) | instid1(VALU_DEP_1)
	v_mul_f64_e32 v[28:29], v[26:27], v[20:21]
	v_fma_f64 v[18:19], -v[18:19], v[28:29], v[26:27]
	s_delay_alu instid0(VALU_DEP_1) | instskip(NEXT) | instid1(VALU_DEP_1)
	v_div_fmas_f64 v[18:19], v[18:19], v[20:21], v[28:29]
	v_div_fixup_f64 v[16:17], v[18:19], v[16:17], v[14:15]
	s_delay_alu instid0(VALU_DEP_1)
	v_cmp_ge_f64_e32 vcc_lo, s[14:15], v[16:17]
	s_cbranch_vccnz .LBB65_76
; %bb.74:                               ;   in Loop: Header=BB65_11 Depth=1
	v_dual_cndmask_b32 v11, v13, v11, s7 :: v_dual_cndmask_b32 v10, v12, v10, s7
	s_mov_b32 s23, 0
	s_delay_alu instid0(VALU_DEP_1)
	v_cmp_lt_f64_e32 vcc_lo, 0, v[10:11]
	s_cbranch_vccz .LBB65_76
; %bb.75:                               ;   in Loop: Header=BB65_11 Depth=1
	v_mul_f64_e32 v[12:13], v[14:15], v[14:15]
	s_wait_xcnt 0x0
	v_readlane_b32 s26, v34, 0
	v_readlane_b32 s27, v34, 1
	s_delay_alu instid0(VALU_DEP_3) | instskip(SKIP_1) | instid1(VALU_DEP_2)
	v_div_scale_f64 v[14:15], null, v[10:11], v[10:11], v[12:13]
	v_div_scale_f64 v[20:21], vcc_lo, v[12:13], v[10:11], v[12:13]
	v_rcp_f64_e32 v[16:17], v[14:15]
	v_nop
	s_delay_alu instid0(TRANS32_DEP_1) | instskip(NEXT) | instid1(VALU_DEP_1)
	v_fma_f64 v[18:19], -v[14:15], v[16:17], 1.0
	v_fmac_f64_e32 v[16:17], v[16:17], v[18:19]
	s_delay_alu instid0(VALU_DEP_1) | instskip(NEXT) | instid1(VALU_DEP_1)
	v_fma_f64 v[18:19], -v[14:15], v[16:17], 1.0
	v_fmac_f64_e32 v[16:17], v[16:17], v[18:19]
	s_delay_alu instid0(VALU_DEP_1) | instskip(NEXT) | instid1(VALU_DEP_1)
	v_mul_f64_e32 v[18:19], v[20:21], v[16:17]
	v_fma_f64 v[14:15], -v[14:15], v[18:19], v[20:21]
	s_delay_alu instid0(VALU_DEP_1) | instskip(NEXT) | instid1(VALU_DEP_1)
	v_div_fmas_f64 v[14:15], v[14:15], v[16:17], v[18:19]
	v_div_fixup_f64 v[12:13], v[14:15], v[10:11], v[12:13]
	s_delay_alu instid0(VALU_DEP_1) | instskip(NEXT) | instid1(VALU_DEP_1)
	v_div_scale_f64 v[14:15], null, v[10:11], v[10:11], v[12:13]
	v_rcp_f64_e32 v[16:17], v[14:15]
	v_nop
	s_delay_alu instid0(TRANS32_DEP_1) | instskip(NEXT) | instid1(VALU_DEP_1)
	v_fma_f64 v[18:19], -v[14:15], v[16:17], 1.0
	v_fmac_f64_e32 v[16:17], v[16:17], v[18:19]
	s_delay_alu instid0(VALU_DEP_1) | instskip(NEXT) | instid1(VALU_DEP_1)
	v_fma_f64 v[18:19], -v[14:15], v[16:17], 1.0
	v_fmac_f64_e32 v[16:17], v[16:17], v[18:19]
	v_div_scale_f64 v[18:19], vcc_lo, v[12:13], v[10:11], v[12:13]
	s_delay_alu instid0(VALU_DEP_1) | instskip(NEXT) | instid1(VALU_DEP_1)
	v_mul_f64_e32 v[20:21], v[18:19], v[16:17]
	v_fma_f64 v[14:15], -v[14:15], v[20:21], v[18:19]
	s_delay_alu instid0(VALU_DEP_1) | instskip(NEXT) | instid1(VALU_DEP_1)
	v_div_fmas_f64 v[14:15], v[14:15], v[16:17], v[20:21]
	v_div_fixup_f64 v[10:11], v[14:15], v[10:11], v[12:13]
	s_delay_alu instid0(VALU_DEP_1)
	v_cmp_gt_f64_e64 s23, s[26:27], v[10:11]
.LBB65_76:                              ;   in Loop: Header=BB65_11 Depth=1
	s_delay_alu instid0(VALU_DEP_1)
	s_and_b32 vcc_lo, exec_lo, s23
	s_cbranch_vccz .LBB65_78
; %bb.77:                               ;   in Loop: Header=BB65_11 Depth=1
	ds_store_b64 v3, v[4:5] offset:2056
.LBB65_78:                              ;   in Loop: Header=BB65_11 Depth=1
	ds_store_b8 v3, v24 offset:2068
.LBB65_79:                              ;   in Loop: Header=BB65_11 Depth=1
	s_wait_xcnt 0x0
	s_or_b32 exec_lo, exec_lo, s22
	s_wait_storecnt_dscnt 0x0
	s_barrier_signal -1
	s_barrier_wait -1
	ds_load_u8 v10, v3 offset:2068
	s_mov_b32 s7, -1
	s_wait_dscnt 0x0
	v_cmp_eq_u32_e32 vcc_lo, 0, v10
	s_cbranch_vccz .LBB65_83
; %bb.80:                               ;   in Loop: Header=BB65_11 Depth=1
	s_and_saveexec_b32 s7, s5
	s_cbranch_execz .LBB65_82
; %bb.81:                               ;   in Loop: Header=BB65_11 Depth=1
	global_store_b32 v3, v3, s[66:67]
.LBB65_82:                              ;   in Loop: Header=BB65_11 Depth=1
	s_wait_xcnt 0x0
	s_or_b32 exec_lo, exec_lo, s7
	s_mov_b32 s7, 0
.LBB65_83:                              ;   in Loop: Header=BB65_11 Depth=1
	s_delay_alu instid0(SALU_CYCLE_1)
	s_and_not1_b32 vcc_lo, exec_lo, s7
	s_cbranch_vccnz .LBB65_10
; %bb.84:                               ;   in Loop: Header=BB65_11 Depth=1
	ds_load_b32 v10, v3 offset:2064
	s_wait_dscnt 0x0
	v_readfirstlane_b32 s64, v10
	s_and_saveexec_b32 s7, s5
	s_cbranch_execz .LBB65_86
; %bb.85:                               ;   in Loop: Header=BB65_11 Depth=1
	s_cmp_eq_u32 s64, 0
	s_cselect_b32 s22, -1, 1
	s_delay_alu instid0(SALU_CYCLE_1)
	v_mov_b32_e32 v10, s22
	global_store_b32 v3, v10, s[66:67]
.LBB65_86:                              ;   in Loop: Header=BB65_11 Depth=1
	s_wait_xcnt 0x0
	s_or_b32 exec_lo, exec_lo, s7
	s_add_co_i32 s74, s56, 1
	s_mul_i32 s66, s60, s33
	s_sub_co_i32 s72, 1, s64
	s_ashr_i32 s67, s66, 31
	s_sub_co_i32 s7, s64, s72
	s_lshl_b32 s22, s74, 1
	s_and_b32 s23, s28, exec_lo
	s_cselect_b32 s68, s22, 0
	s_and_saveexec_b32 s57, s5
	s_cbranch_execz .LBB65_149
; %bb.87:                               ;   in Loop: Header=BB65_11 Depth=1
	s_cmp_lg_u32 s64, 0
	v_mov_b64_e32 v[16:17], 0
	s_cselect_b32 s59, -1, 0
	s_delay_alu instid0(SALU_CYCLE_1) | instskip(SKIP_1) | instid1(SALU_CYCLE_1)
	s_and_b32 s22, s59, exec_lo
	s_cselect_b32 s76, 0, s56
	v_mov_b32_e32 v10, s76
	global_load_b64 v[12:13], v10, s[78:79] scale_offset
	s_wait_xcnt 0x0
	v_mov_b64_e32 v[10:11], 0
	s_wait_loadcnt 0x0
	v_cmp_eq_f64_e32 vcc_lo, 0, v[12:13]
	s_cbranch_vccnz .LBB65_89
; %bb.88:                               ;   in Loop: Header=BB65_11 Depth=1
	ds_load_b64 v[10:11], v3 offset:2056
	s_wait_dscnt 0x0
	v_div_scale_f64 v[14:15], null, v[12:13], v[12:13], v[10:11]
	s_delay_alu instid0(VALU_DEP_1) | instskip(SKIP_1) | instid1(TRANS32_DEP_1)
	v_rcp_f64_e32 v[18:19], v[14:15]
	v_nop
	v_fma_f64 v[20:21], -v[14:15], v[18:19], 1.0
	s_delay_alu instid0(VALU_DEP_1) | instskip(NEXT) | instid1(VALU_DEP_1)
	v_fmac_f64_e32 v[18:19], v[18:19], v[20:21]
	v_fma_f64 v[20:21], -v[14:15], v[18:19], 1.0
	s_delay_alu instid0(VALU_DEP_1) | instskip(SKIP_1) | instid1(VALU_DEP_1)
	v_fmac_f64_e32 v[18:19], v[18:19], v[20:21]
	v_div_scale_f64 v[20:21], vcc_lo, v[10:11], v[12:13], v[10:11]
	v_mul_f64_e32 v[26:27], v[20:21], v[18:19]
	s_delay_alu instid0(VALU_DEP_1) | instskip(NEXT) | instid1(VALU_DEP_1)
	v_fma_f64 v[14:15], -v[14:15], v[26:27], v[20:21]
	v_div_fmas_f64 v[14:15], v[14:15], v[18:19], v[26:27]
	v_cmp_lt_f64_e32 vcc_lo, 0, v[12:13]
	s_delay_alu instid0(VALU_DEP_2) | instskip(SKIP_3) | instid1(VALU_DEP_3)
	v_div_fixup_f64 v[14:15], v[14:15], v[12:13], v[10:11]
	v_cndmask_b32_e64 v18, 0, 1, vcc_lo
	v_cmp_gt_f64_e32 vcc_lo, 0, v[12:13]
	v_add_f64_e64 v[10:11], |v[12:13]|, -v[10:11]
	v_subrev_co_ci_u32_e64 v18, null, 0, v18, vcc_lo
	s_delay_alu instid0(VALU_DEP_1) | instskip(NEXT) | instid1(VALU_DEP_1)
	v_cvt_f64_i32_e32 v[18:19], v18
	v_add_f64_e32 v[14:15], v[14:15], v[18:19]
	s_delay_alu instid0(VALU_DEP_1)
	v_mul_f64_e32 v[10:11], v[10:11], v[14:15]
.LBB65_89:                              ;   in Loop: Header=BB65_11 Depth=1
	s_ashr_i32 s77, s76, 31
	s_ashr_i32 s65, s64, 31
	s_delay_alu instid0(SALU_CYCLE_1) | instskip(NEXT) | instid1(SALU_CYCLE_1)
	s_add_nc_u64 s[80:81], s[76:77], s[64:65]
	s_lshl_b64 s[26:27], s[80:81], 3
	s_delay_alu instid0(SALU_CYCLE_1)
	s_add_nc_u64 s[82:83], s[70:71], s[26:27]
	global_load_b64 v[14:15], v3, s[82:83] offset:-8
	s_wait_loadcnt 0x0
	v_cmp_eq_f64_e32 vcc_lo, 0, v[14:15]
	s_cbranch_vccnz .LBB65_93
; %bb.90:                               ;   in Loop: Header=BB65_11 Depth=1
	v_cmp_eq_f64_e32 vcc_lo, 0, v[10:11]
	s_cbranch_vccnz .LBB65_94
; %bb.91:                               ;   in Loop: Header=BB65_11 Depth=1
	v_cmp_gt_f64_e64 s22, |v[14:15]|, |v[10:11]|
	s_and_b32 vcc_lo, exec_lo, s22
	s_cbranch_vccnz .LBB65_95
; %bb.92:                               ;   in Loop: Header=BB65_11 Depth=1
	v_div_scale_f64 v[16:17], null, v[10:11], v[10:11], -v[14:15]
	v_div_scale_f64 v[26:27], vcc_lo, -v[14:15], v[10:11], -v[14:15]
	s_delay_alu instid0(VALU_DEP_2) | instskip(SKIP_1) | instid1(TRANS32_DEP_1)
	v_rcp_f64_e32 v[18:19], v[16:17]
	v_nop
	v_fma_f64 v[20:21], -v[16:17], v[18:19], 1.0
	s_delay_alu instid0(VALU_DEP_1) | instskip(NEXT) | instid1(VALU_DEP_1)
	v_fmac_f64_e32 v[18:19], v[18:19], v[20:21]
	v_fma_f64 v[20:21], -v[16:17], v[18:19], 1.0
	s_delay_alu instid0(VALU_DEP_1) | instskip(NEXT) | instid1(VALU_DEP_1)
	v_fmac_f64_e32 v[18:19], v[18:19], v[20:21]
	v_mul_f64_e32 v[20:21], v[26:27], v[18:19]
	s_delay_alu instid0(VALU_DEP_1) | instskip(NEXT) | instid1(VALU_DEP_1)
	v_fma_f64 v[16:17], -v[16:17], v[20:21], v[26:27]
	v_div_fmas_f64 v[16:17], v[16:17], v[18:19], v[20:21]
	s_delay_alu instid0(VALU_DEP_1) | instskip(NEXT) | instid1(VALU_DEP_1)
	v_div_fixup_f64 v[16:17], v[16:17], v[10:11], -v[14:15]
	v_fma_f64 v[18:19], v[16:17], v[16:17], 1.0
	s_delay_alu instid0(VALU_DEP_1) | instskip(SKIP_2) | instid1(SALU_CYCLE_1)
	v_cmp_gt_f64_e32 vcc_lo, 0x10000000, v[18:19]
	s_and_b32 s22, vcc_lo, exec_lo
	s_cselect_b32 s22, 0x100, 0
	v_ldexp_f64 v[18:19], v[18:19], s22
	s_cselect_b32 s22, 0xffffff80, 0
	s_delay_alu instid0(VALU_DEP_1) | instskip(SKIP_1) | instid1(TRANS32_DEP_1)
	v_rsq_f64_e32 v[20:21], v[18:19]
	v_cmp_class_f64_e64 vcc_lo, v[18:19], 0x260
	v_mul_f64_e32 v[26:27], v[18:19], v[20:21]
	v_mul_f64_e32 v[20:21], 0.5, v[20:21]
	s_delay_alu instid0(VALU_DEP_1) | instskip(NEXT) | instid1(VALU_DEP_1)
	v_fma_f64 v[28:29], -v[20:21], v[26:27], 0.5
	v_fmac_f64_e32 v[26:27], v[26:27], v[28:29]
	v_fmac_f64_e32 v[20:21], v[20:21], v[28:29]
	s_delay_alu instid0(VALU_DEP_2) | instskip(NEXT) | instid1(VALU_DEP_1)
	v_fma_f64 v[28:29], -v[26:27], v[26:27], v[18:19]
	v_fmac_f64_e32 v[26:27], v[28:29], v[20:21]
	s_delay_alu instid0(VALU_DEP_1) | instskip(NEXT) | instid1(VALU_DEP_1)
	v_fma_f64 v[28:29], -v[26:27], v[26:27], v[18:19]
	v_fmac_f64_e32 v[26:27], v[28:29], v[20:21]
	s_delay_alu instid0(VALU_DEP_1) | instskip(NEXT) | instid1(VALU_DEP_1)
	v_ldexp_f64 v[20:21], v[26:27], s22
	v_dual_cndmask_b32 v19, v21, v19 :: v_dual_cndmask_b32 v18, v20, v18
	s_delay_alu instid0(VALU_DEP_1) | instskip(NEXT) | instid1(VALU_DEP_1)
	v_div_scale_f64 v[20:21], null, v[18:19], v[18:19], 1.0
	v_rcp_f64_e32 v[26:27], v[20:21]
	v_nop
	s_delay_alu instid0(TRANS32_DEP_1) | instskip(NEXT) | instid1(VALU_DEP_1)
	v_fma_f64 v[28:29], -v[20:21], v[26:27], 1.0
	v_fmac_f64_e32 v[26:27], v[26:27], v[28:29]
	s_delay_alu instid0(VALU_DEP_1) | instskip(NEXT) | instid1(VALU_DEP_1)
	v_fma_f64 v[28:29], -v[20:21], v[26:27], 1.0
	v_fmac_f64_e32 v[26:27], v[26:27], v[28:29]
	v_div_scale_f64 v[28:29], vcc_lo, 1.0, v[18:19], 1.0
	s_delay_alu instid0(VALU_DEP_1) | instskip(NEXT) | instid1(VALU_DEP_1)
	v_mul_f64_e32 v[30:31], v[28:29], v[26:27]
	v_fma_f64 v[20:21], -v[20:21], v[30:31], v[28:29]
	s_delay_alu instid0(VALU_DEP_1) | instskip(NEXT) | instid1(VALU_DEP_1)
	v_div_fmas_f64 v[20:21], v[20:21], v[26:27], v[30:31]
	v_div_fixup_f64 v[18:19], v[20:21], v[18:19], 1.0
	s_delay_alu instid0(VALU_DEP_1)
	v_mul_f64_e32 v[16:17], v[16:17], v[18:19]
	s_cbranch_execz .LBB65_96
	s_branch .LBB65_97
.LBB65_93:                              ;   in Loop: Header=BB65_11 Depth=1
	v_mov_b64_e32 v[18:19], 1.0
	s_branch .LBB65_97
.LBB65_94:                              ;   in Loop: Header=BB65_11 Depth=1
	v_mov_b64_e32 v[18:19], 0
	v_mov_b64_e32 v[16:17], 1.0
	s_branch .LBB65_97
.LBB65_95:                              ;   in Loop: Header=BB65_11 Depth=1
                                        ; implicit-def: $vgpr16_vgpr17
                                        ; implicit-def: $vgpr18_vgpr19
.LBB65_96:                              ;   in Loop: Header=BB65_11 Depth=1
	v_div_scale_f64 v[16:17], null, v[14:15], v[14:15], -v[10:11]
	v_div_scale_f64 v[26:27], vcc_lo, -v[10:11], v[14:15], -v[10:11]
	s_delay_alu instid0(VALU_DEP_2) | instskip(SKIP_1) | instid1(TRANS32_DEP_1)
	v_rcp_f64_e32 v[18:19], v[16:17]
	v_nop
	v_fma_f64 v[20:21], -v[16:17], v[18:19], 1.0
	s_delay_alu instid0(VALU_DEP_1) | instskip(NEXT) | instid1(VALU_DEP_1)
	v_fmac_f64_e32 v[18:19], v[18:19], v[20:21]
	v_fma_f64 v[20:21], -v[16:17], v[18:19], 1.0
	s_delay_alu instid0(VALU_DEP_1) | instskip(NEXT) | instid1(VALU_DEP_1)
	v_fmac_f64_e32 v[18:19], v[18:19], v[20:21]
	v_mul_f64_e32 v[20:21], v[26:27], v[18:19]
	s_delay_alu instid0(VALU_DEP_1) | instskip(NEXT) | instid1(VALU_DEP_1)
	v_fma_f64 v[16:17], -v[16:17], v[20:21], v[26:27]
	v_div_fmas_f64 v[16:17], v[16:17], v[18:19], v[20:21]
	s_delay_alu instid0(VALU_DEP_1) | instskip(NEXT) | instid1(VALU_DEP_1)
	v_div_fixup_f64 v[10:11], v[16:17], v[14:15], -v[10:11]
	v_fma_f64 v[16:17], v[10:11], v[10:11], 1.0
	s_delay_alu instid0(VALU_DEP_1) | instskip(SKIP_2) | instid1(SALU_CYCLE_1)
	v_cmp_gt_f64_e32 vcc_lo, 0x10000000, v[16:17]
	s_and_b32 s22, vcc_lo, exec_lo
	s_cselect_b32 s22, 0x100, 0
	v_ldexp_f64 v[16:17], v[16:17], s22
	s_cselect_b32 s22, 0xffffff80, 0
	s_delay_alu instid0(VALU_DEP_1) | instskip(SKIP_1) | instid1(TRANS32_DEP_1)
	v_rsq_f64_e32 v[18:19], v[16:17]
	v_cmp_class_f64_e64 vcc_lo, v[16:17], 0x260
	v_mul_f64_e32 v[20:21], v[16:17], v[18:19]
	v_mul_f64_e32 v[18:19], 0.5, v[18:19]
	s_delay_alu instid0(VALU_DEP_1) | instskip(NEXT) | instid1(VALU_DEP_1)
	v_fma_f64 v[26:27], -v[18:19], v[20:21], 0.5
	v_fmac_f64_e32 v[20:21], v[20:21], v[26:27]
	v_fmac_f64_e32 v[18:19], v[18:19], v[26:27]
	s_delay_alu instid0(VALU_DEP_2) | instskip(NEXT) | instid1(VALU_DEP_1)
	v_fma_f64 v[26:27], -v[20:21], v[20:21], v[16:17]
	v_fmac_f64_e32 v[20:21], v[26:27], v[18:19]
	s_delay_alu instid0(VALU_DEP_1) | instskip(NEXT) | instid1(VALU_DEP_1)
	v_fma_f64 v[26:27], -v[20:21], v[20:21], v[16:17]
	v_fmac_f64_e32 v[20:21], v[26:27], v[18:19]
	s_delay_alu instid0(VALU_DEP_1) | instskip(NEXT) | instid1(VALU_DEP_1)
	v_ldexp_f64 v[18:19], v[20:21], s22
	v_dual_cndmask_b32 v17, v19, v17 :: v_dual_cndmask_b32 v16, v18, v16
	s_delay_alu instid0(VALU_DEP_1) | instskip(NEXT) | instid1(VALU_DEP_1)
	v_div_scale_f64 v[18:19], null, v[16:17], v[16:17], 1.0
	v_rcp_f64_e32 v[20:21], v[18:19]
	v_nop
	s_delay_alu instid0(TRANS32_DEP_1) | instskip(NEXT) | instid1(VALU_DEP_1)
	v_fma_f64 v[26:27], -v[18:19], v[20:21], 1.0
	v_fmac_f64_e32 v[20:21], v[20:21], v[26:27]
	s_delay_alu instid0(VALU_DEP_1) | instskip(NEXT) | instid1(VALU_DEP_1)
	v_fma_f64 v[26:27], -v[18:19], v[20:21], 1.0
	v_fmac_f64_e32 v[20:21], v[20:21], v[26:27]
	v_div_scale_f64 v[26:27], vcc_lo, 1.0, v[16:17], 1.0
	s_delay_alu instid0(VALU_DEP_1) | instskip(NEXT) | instid1(VALU_DEP_1)
	v_mul_f64_e32 v[28:29], v[26:27], v[20:21]
	v_fma_f64 v[18:19], -v[18:19], v[28:29], v[26:27]
	s_delay_alu instid0(VALU_DEP_1) | instskip(NEXT) | instid1(VALU_DEP_1)
	v_div_fmas_f64 v[18:19], v[18:19], v[20:21], v[28:29]
	v_div_fixup_f64 v[16:17], v[18:19], v[16:17], 1.0
	s_delay_alu instid0(VALU_DEP_1)
	v_mul_f64_e32 v[18:19], v[10:11], v[16:17]
.LBB65_97:                              ;   in Loop: Header=BB65_11 Depth=1
	s_delay_alu instid0(VALU_DEP_1)
	v_mul_f64_e32 v[10:11], v[12:13], v[16:17]
	s_sub_nc_u64 s[22:23], 0, s[64:65]
	s_lshl_b64 s[44:45], s[76:77], 3
	s_sub_nc_u64 s[84:85], s[64:65], s[22:23]
	s_add_nc_u64 s[92:93], s[78:79], s[44:45]
	s_lshl_b64 s[22:23], s[84:85], 3
	s_lshl_b64 s[78:79], s[66:67], 3
	s_add_nc_u64 s[90:91], s[92:93], s[22:23]
	s_and_b32 s22, s28, s59
	s_add_nc_u64 s[86:87], s[18:19], s[78:79]
	v_cndmask_b32_e64 v20, 0, 1, s22
	s_and_not1_b32 vcc_lo, exec_lo, s22
	s_add_nc_u64 s[88:89], s[86:87], s[26:27]
	s_delay_alu instid0(VALU_DEP_2)
	v_fmac_f64_e32 v[10:11], v[14:15], v[18:19]
	s_clause 0x1
	global_store_b64 v3, v[10:11], s[82:83] offset:-8
	global_load_b64 v[10:11], v3, s[90:91] offset:-8
	s_wait_loadcnt 0x0
	v_mul_f64_e32 v[26:27], v[18:19], v[10:11]
	global_store_b64 v3, v[26:27], s[90:91] offset:-8
	s_cbranch_vccnz .LBB65_99
; %bb.98:                               ;   in Loop: Header=BB65_11 Depth=1
	v_mov_b32_e32 v21, s74
	s_clause 0x1
	global_store_b64 v3, v[18:19], s[88:89] offset:24
	global_store_b64 v21, v[16:17], s[88:89] offset:24 scale_offset
.LBB65_99:                              ;   in Loop: Header=BB65_11 Depth=1
	s_cmp_lg_u32 s64, 1
	s_cselect_b32 s23, -1, 0
	s_cmp_eq_u32 s64, 1
	s_cselect_b32 s22, -1, 0
	s_delay_alu instid0(SALU_CYCLE_1) | instskip(NEXT) | instid1(SALU_CYCLE_1)
	s_or_b32 s22, s104, s22
	s_and_b32 vcc_lo, exec_lo, s22
	s_cbranch_vccnz .LBB65_101
; %bb.100:                              ;   in Loop: Header=BB65_11 Depth=1
	s_ashr_i32 s69, s68, 31
	s_wait_xcnt 0x0
	v_mov_b32_e32 v21, s74
	s_add_nc_u64 s[26:27], s[80:81], s[68:69]
	s_delay_alu instid0(SALU_CYCLE_1) | instskip(NEXT) | instid1(SALU_CYCLE_1)
	s_lshl_b64 s[26:27], s[26:27], 3
	s_add_nc_u64 s[26:27], s[86:87], s[26:27]
	s_clause 0x1
	global_store_b64 v3, v[18:19], s[26:27] offset:24
	global_store_b64 v21, v[16:17], s[26:27] offset:24 scale_offset
.LBB65_101:                             ;   in Loop: Header=BB65_11 Depth=1
	v_mul_f64_e64 v[10:11], v[10:11], -v[16:17]
	v_mul_f64_e32 v[14:15], v[14:15], v[16:17]
	s_delay_alu instid0(VALU_DEP_2) | instskip(NEXT) | instid1(VALU_DEP_2)
	v_cmp_eq_f64_e32 vcc_lo, 0, v[10:11]
	v_fma_f64 v[12:13], v[12:13], v[18:19], -v[14:15]
	s_cbranch_vccnz .LBB65_105
; %bb.102:                              ;   in Loop: Header=BB65_11 Depth=1
	s_delay_alu instid0(VALU_DEP_1)
	v_cmp_eq_f64_e32 vcc_lo, 0, v[12:13]
	s_cbranch_vccnz .LBB65_106
; %bb.103:                              ;   in Loop: Header=BB65_11 Depth=1
	s_wait_xcnt 0x0
	v_cmp_gt_f64_e64 s26, |v[10:11]|, |v[12:13]|
	s_and_b32 vcc_lo, exec_lo, s26
	s_cbranch_vccnz .LBB65_107
; %bb.104:                              ;   in Loop: Header=BB65_11 Depth=1
	v_div_scale_f64 v[14:15], null, v[12:13], v[12:13], -v[10:11]
	v_div_scale_f64 v[26:27], vcc_lo, -v[10:11], v[12:13], -v[10:11]
	s_delay_alu instid0(VALU_DEP_2) | instskip(SKIP_1) | instid1(TRANS32_DEP_1)
	v_rcp_f64_e32 v[16:17], v[14:15]
	v_nop
	v_fma_f64 v[18:19], -v[14:15], v[16:17], 1.0
	s_delay_alu instid0(VALU_DEP_1) | instskip(NEXT) | instid1(VALU_DEP_1)
	v_fmac_f64_e32 v[16:17], v[16:17], v[18:19]
	v_fma_f64 v[18:19], -v[14:15], v[16:17], 1.0
	s_delay_alu instid0(VALU_DEP_1) | instskip(NEXT) | instid1(VALU_DEP_1)
	v_fmac_f64_e32 v[16:17], v[16:17], v[18:19]
	v_mul_f64_e32 v[18:19], v[26:27], v[16:17]
	s_delay_alu instid0(VALU_DEP_1) | instskip(NEXT) | instid1(VALU_DEP_1)
	v_fma_f64 v[14:15], -v[14:15], v[18:19], v[26:27]
	v_div_fmas_f64 v[14:15], v[14:15], v[16:17], v[18:19]
	s_delay_alu instid0(VALU_DEP_1) | instskip(NEXT) | instid1(VALU_DEP_1)
	v_div_fixup_f64 v[16:17], v[14:15], v[12:13], -v[10:11]
	v_fma_f64 v[14:15], v[16:17], v[16:17], 1.0
	s_delay_alu instid0(VALU_DEP_1) | instskip(SKIP_2) | instid1(SALU_CYCLE_1)
	v_cmp_gt_f64_e32 vcc_lo, 0x10000000, v[14:15]
	s_and_b32 s26, vcc_lo, exec_lo
	s_cselect_b32 s26, 0x100, 0
	v_ldexp_f64 v[14:15], v[14:15], s26
	s_cselect_b32 s26, 0xffffff80, 0
	s_delay_alu instid0(VALU_DEP_1) | instskip(SKIP_1) | instid1(TRANS32_DEP_1)
	v_rsq_f64_e32 v[18:19], v[14:15]
	v_cmp_class_f64_e64 vcc_lo, v[14:15], 0x260
	v_mul_f64_e32 v[26:27], v[14:15], v[18:19]
	v_mul_f64_e32 v[18:19], 0.5, v[18:19]
	s_delay_alu instid0(VALU_DEP_1) | instskip(NEXT) | instid1(VALU_DEP_1)
	v_fma_f64 v[28:29], -v[18:19], v[26:27], 0.5
	v_fmac_f64_e32 v[26:27], v[26:27], v[28:29]
	v_fmac_f64_e32 v[18:19], v[18:19], v[28:29]
	s_delay_alu instid0(VALU_DEP_2) | instskip(NEXT) | instid1(VALU_DEP_1)
	v_fma_f64 v[28:29], -v[26:27], v[26:27], v[14:15]
	v_fmac_f64_e32 v[26:27], v[28:29], v[18:19]
	s_delay_alu instid0(VALU_DEP_1) | instskip(NEXT) | instid1(VALU_DEP_1)
	v_fma_f64 v[28:29], -v[26:27], v[26:27], v[14:15]
	v_fmac_f64_e32 v[26:27], v[28:29], v[18:19]
	s_delay_alu instid0(VALU_DEP_1) | instskip(NEXT) | instid1(VALU_DEP_1)
	v_ldexp_f64 v[18:19], v[26:27], s26
	v_dual_cndmask_b32 v15, v19, v15 :: v_dual_cndmask_b32 v14, v18, v14
	s_delay_alu instid0(VALU_DEP_1) | instskip(NEXT) | instid1(VALU_DEP_1)
	v_div_scale_f64 v[18:19], null, v[14:15], v[14:15], 1.0
	v_rcp_f64_e32 v[26:27], v[18:19]
	v_nop
	s_delay_alu instid0(TRANS32_DEP_1) | instskip(NEXT) | instid1(VALU_DEP_1)
	v_fma_f64 v[28:29], -v[18:19], v[26:27], 1.0
	v_fmac_f64_e32 v[26:27], v[26:27], v[28:29]
	s_delay_alu instid0(VALU_DEP_1) | instskip(NEXT) | instid1(VALU_DEP_1)
	v_fma_f64 v[28:29], -v[18:19], v[26:27], 1.0
	v_fmac_f64_e32 v[26:27], v[26:27], v[28:29]
	v_div_scale_f64 v[28:29], vcc_lo, 1.0, v[14:15], 1.0
	s_delay_alu instid0(VALU_DEP_1) | instskip(NEXT) | instid1(VALU_DEP_1)
	v_mul_f64_e32 v[30:31], v[28:29], v[26:27]
	v_fma_f64 v[18:19], -v[18:19], v[30:31], v[28:29]
	s_delay_alu instid0(VALU_DEP_1) | instskip(NEXT) | instid1(VALU_DEP_1)
	v_div_fmas_f64 v[18:19], v[18:19], v[26:27], v[30:31]
	v_div_fixup_f64 v[14:15], v[18:19], v[14:15], 1.0
	s_delay_alu instid0(VALU_DEP_1)
	v_mul_f64_e32 v[16:17], v[16:17], v[14:15]
	s_cbranch_execz .LBB65_108
	s_branch .LBB65_109
.LBB65_105:                             ;   in Loop: Header=BB65_11 Depth=1
	v_mov_b64_e32 v[14:15], 1.0
	s_wait_xcnt 0x0
	v_mov_b64_e32 v[16:17], 0
	s_branch .LBB65_111
.LBB65_106:                             ;   in Loop: Header=BB65_11 Depth=1
	v_xor_b32_e32 v13, 0x80000000, v11
	v_mov_b32_e32 v12, v10
	s_wait_xcnt 0x0
                                        ; implicit-def: $vgpr16_vgpr17
                                        ; implicit-def: $vgpr14_vgpr15
	s_cbranch_execnz .LBB65_110
	s_branch .LBB65_111
.LBB65_107:                             ;   in Loop: Header=BB65_11 Depth=1
                                        ; implicit-def: $vgpr16_vgpr17
                                        ; implicit-def: $vgpr14_vgpr15
.LBB65_108:                             ;   in Loop: Header=BB65_11 Depth=1
	v_div_scale_f64 v[14:15], null, v[10:11], v[10:11], -v[12:13]
	v_div_scale_f64 v[26:27], vcc_lo, -v[12:13], v[10:11], -v[12:13]
	s_delay_alu instid0(VALU_DEP_2) | instskip(SKIP_1) | instid1(TRANS32_DEP_1)
	v_rcp_f64_e32 v[16:17], v[14:15]
	v_nop
	v_fma_f64 v[18:19], -v[14:15], v[16:17], 1.0
	s_delay_alu instid0(VALU_DEP_1) | instskip(NEXT) | instid1(VALU_DEP_1)
	v_fmac_f64_e32 v[16:17], v[16:17], v[18:19]
	v_fma_f64 v[18:19], -v[14:15], v[16:17], 1.0
	s_delay_alu instid0(VALU_DEP_1) | instskip(NEXT) | instid1(VALU_DEP_1)
	v_fmac_f64_e32 v[16:17], v[16:17], v[18:19]
	v_mul_f64_e32 v[18:19], v[26:27], v[16:17]
	s_delay_alu instid0(VALU_DEP_1) | instskip(NEXT) | instid1(VALU_DEP_1)
	v_fma_f64 v[14:15], -v[14:15], v[18:19], v[26:27]
	v_div_fmas_f64 v[14:15], v[14:15], v[16:17], v[18:19]
	s_delay_alu instid0(VALU_DEP_1) | instskip(NEXT) | instid1(VALU_DEP_1)
	v_div_fixup_f64 v[14:15], v[14:15], v[10:11], -v[12:13]
	v_fma_f64 v[16:17], v[14:15], v[14:15], 1.0
	s_delay_alu instid0(VALU_DEP_1) | instskip(SKIP_2) | instid1(SALU_CYCLE_1)
	v_cmp_gt_f64_e32 vcc_lo, 0x10000000, v[16:17]
	s_and_b32 s26, vcc_lo, exec_lo
	s_cselect_b32 s26, 0x100, 0
	v_ldexp_f64 v[16:17], v[16:17], s26
	s_cselect_b32 s26, 0xffffff80, 0
	s_delay_alu instid0(VALU_DEP_1) | instskip(SKIP_1) | instid1(TRANS32_DEP_1)
	v_rsq_f64_e32 v[18:19], v[16:17]
	v_cmp_class_f64_e64 vcc_lo, v[16:17], 0x260
	v_mul_f64_e32 v[26:27], v[16:17], v[18:19]
	v_mul_f64_e32 v[18:19], 0.5, v[18:19]
	s_delay_alu instid0(VALU_DEP_1) | instskip(NEXT) | instid1(VALU_DEP_1)
	v_fma_f64 v[28:29], -v[18:19], v[26:27], 0.5
	v_fmac_f64_e32 v[26:27], v[26:27], v[28:29]
	v_fmac_f64_e32 v[18:19], v[18:19], v[28:29]
	s_delay_alu instid0(VALU_DEP_2) | instskip(NEXT) | instid1(VALU_DEP_1)
	v_fma_f64 v[28:29], -v[26:27], v[26:27], v[16:17]
	v_fmac_f64_e32 v[26:27], v[28:29], v[18:19]
	s_delay_alu instid0(VALU_DEP_1) | instskip(NEXT) | instid1(VALU_DEP_1)
	v_fma_f64 v[28:29], -v[26:27], v[26:27], v[16:17]
	v_fmac_f64_e32 v[26:27], v[28:29], v[18:19]
	s_delay_alu instid0(VALU_DEP_1) | instskip(NEXT) | instid1(VALU_DEP_1)
	v_ldexp_f64 v[18:19], v[26:27], s26
	v_dual_cndmask_b32 v17, v19, v17 :: v_dual_cndmask_b32 v16, v18, v16
	s_delay_alu instid0(VALU_DEP_1) | instskip(NEXT) | instid1(VALU_DEP_1)
	v_div_scale_f64 v[18:19], null, v[16:17], v[16:17], 1.0
	v_rcp_f64_e32 v[26:27], v[18:19]
	v_nop
	s_delay_alu instid0(TRANS32_DEP_1) | instskip(NEXT) | instid1(VALU_DEP_1)
	v_fma_f64 v[28:29], -v[18:19], v[26:27], 1.0
	v_fmac_f64_e32 v[26:27], v[26:27], v[28:29]
	s_delay_alu instid0(VALU_DEP_1) | instskip(NEXT) | instid1(VALU_DEP_1)
	v_fma_f64 v[28:29], -v[18:19], v[26:27], 1.0
	v_fmac_f64_e32 v[26:27], v[26:27], v[28:29]
	v_div_scale_f64 v[28:29], vcc_lo, 1.0, v[16:17], 1.0
	s_delay_alu instid0(VALU_DEP_1) | instskip(NEXT) | instid1(VALU_DEP_1)
	v_mul_f64_e32 v[30:31], v[28:29], v[26:27]
	v_fma_f64 v[18:19], -v[18:19], v[30:31], v[28:29]
	s_delay_alu instid0(VALU_DEP_1) | instskip(NEXT) | instid1(VALU_DEP_1)
	v_div_fmas_f64 v[18:19], v[18:19], v[26:27], v[30:31]
	v_div_fixup_f64 v[16:17], v[18:19], v[16:17], 1.0
	s_delay_alu instid0(VALU_DEP_1)
	v_mul_f64_e32 v[14:15], v[14:15], v[16:17]
.LBB65_109:                             ;   in Loop: Header=BB65_11 Depth=1
	s_delay_alu instid0(VALU_DEP_1) | instskip(NEXT) | instid1(VALU_DEP_1)
	v_mul_f64_e32 v[18:19], v[10:11], v[16:17]
	v_fma_f64 v[12:13], v[12:13], v[14:15], -v[18:19]
	s_branch .LBB65_111
.LBB65_110:                             ;   in Loop: Header=BB65_11 Depth=1
	v_mov_b64_e32 v[14:15], 0
	v_mov_b64_e32 v[16:17], 1.0
.LBB65_111:                             ;   in Loop: Header=BB65_11 Depth=1
	s_clause 0x2
	global_store_b64 v3, v[12:13], s[92:93]
	global_load_b64 v[18:19], v3, s[90:91] offset:-8
	global_load_b64 v[12:13], v3, s[82:83] offset:-8
	s_cmp_eq_u32 s74, 2
	s_wait_loadcnt 0x1
	v_mul_f64_e32 v[26:27], v[14:15], v[18:19]
	s_wait_loadcnt 0x0
	s_delay_alu instid0(VALU_DEP_1)
	v_fmac_f64_e32 v[26:27], v[16:17], v[12:13]
	global_store_b64 v3, v[26:27], s[90:91] offset:-8
	s_cbranch_scc0 .LBB65_169
; %bb.112:                              ;   in Loop: Header=BB65_11 Depth=1
	s_and_b32 s23, s28, s23
	s_delay_alu instid0(SALU_CYCLE_1)
	v_cndmask_b32_e64 v21, 0, 1, s23
	s_and_not1_b32 vcc_lo, exec_lo, s23
	s_cbranch_vccz .LBB65_170
.LBB65_113:                             ;   in Loop: Header=BB65_11 Depth=1
	s_xor_b32 s23, s59, -1
	s_delay_alu instid0(SALU_CYCLE_1) | instskip(NEXT) | instid1(SALU_CYCLE_1)
	s_or_b32 s23, s104, s23
	s_and_b32 vcc_lo, exec_lo, s23
	s_cbranch_vccnz .LBB65_115
.LBB65_114:                             ;   in Loop: Header=BB65_11 Depth=1
	s_ashr_i32 s69, s68, 31
	s_wait_xcnt 0x0
	v_mov_b32_e32 v25, s74
	s_add_nc_u64 s[26:27], s[80:81], s[68:69]
	s_delay_alu instid0(SALU_CYCLE_1) | instskip(NEXT) | instid1(SALU_CYCLE_1)
	s_lshl_b64 s[26:27], s[26:27], 3
	s_add_nc_u64 s[26:27], s[86:87], s[26:27]
	s_clause 0x1
	global_store_b64 v3, v[14:15], s[26:27] offset:24
	global_store_b64 v25, v[16:17], s[26:27] offset:24 scale_offset
.LBB65_115:                             ;   in Loop: Header=BB65_11 Depth=1
	s_wait_xcnt 0x0
	v_mul_f64_e32 v[16:17], v[16:17], v[18:19]
	s_cmp_eq_u32 s56, 1
	s_mov_b32 s69, 0
	s_delay_alu instid0(VALU_DEP_1)
	v_fma_f64 v[12:13], v[14:15], v[12:13], -v[16:17]
	s_cbranch_scc1 .LBB65_148
; %bb.116:                              ;   in Loop: Header=BB65_11 Depth=1
	s_ashr_i32 s69, s68, 31
	s_sub_co_i32 s26, s76, s72
	s_add_nc_u64 s[44:45], s[84:85], s[68:69]
	s_ashr_i32 s27, s26, 31
	s_xor_b32 s50, s22, -1
	s_add_nc_u64 s[44:45], s[44:45], s[26:27]
	s_xor_b32 s51, s23, -1
	s_lshl_b64 s[22:23], s[44:45], 3
	s_ashr_i32 s75, s74, 31
	s_lshl_b64 s[84:85], s[64:65], 4
	s_add_nc_u64 s[44:45], s[22:23], s[78:79]
	s_lshl_b64 s[80:81], s[74:75], 3
	s_add_nc_u64 s[78:79], s[84:85], s[78:79]
	;; [unrolled: 2-line block ×3, first 2 shown]
	s_add_nc_u64 s[82:83], s[78:79], s[88:89]
	s_add_nc_u64 s[78:79], s[46:47], s[44:45]
	v_readlane_b32 s44, v34, 2
	v_readlane_b32 s45, v34, 3
	s_ashr_i32 s73, s72, 31
	s_add_nc_u64 s[90:91], s[84:85], s[62:63]
	s_add_co_i32 s86, s76, s7
	s_add_nc_u64 s[74:75], s[46:47], s[22:23]
	s_add_nc_u64 s[44:45], s[44:45], s[60:61]
	s_lshl_b32 s23, s64, 1
	s_add_nc_u64 s[26:27], s[44:45], s[26:27]
	s_mul_u64 s[44:45], s[64:65], 24
	s_lshl_b64 s[26:27], s[26:27], 3
	s_add_co_i32 s76, s23, -2
	s_add_nc_u64 s[26:27], s[44:45], s[26:27]
	s_lshl_b64 s[44:45], s[72:73], 3
	v_readlane_b32 s72, v34, 4
	v_readlane_b32 s73, v34, 5
	s_sub_nc_u64 s[26:27], s[26:27], s[44:45]
	s_add_nc_u64 s[44:45], s[90:91], s[88:89]
	s_ashr_i32 s87, s86, 31
	s_ashr_i32 s77, s76, 31
	s_add_nc_u64 s[72:73], s[72:73], s[26:27]
	v_readlane_b32 s26, v34, 6
	v_readlane_b32 s27, v34, 7
	s_lshl_b64 s[76:77], s[76:77], 3
	s_add_nc_u64 s[80:81], s[82:83], s[80:81]
	s_add_co_i32 s69, s56, -1
	s_mov_b32 s22, 1
	s_add_nc_u64 s[84:85], s[26:27], s[44:45]
	s_add_nc_u64 s[26:27], s[62:63], s[88:89]
	v_readlane_b32 s88, v34, 8
	v_readlane_b32 s89, v34, 9
	s_lshl_b64 s[44:45], s[86:87], 3
	s_add_nc_u64 s[86:87], s[24:25], s[26:27]
	s_add_nc_u64 s[26:27], s[90:91], s[44:45]
	s_add_nc_u64 s[44:45], s[62:63], s[44:45]
	s_or_b64 s[76:77], s[76:77], 8
	s_add_nc_u64 s[80:81], s[46:47], s[80:81]
	s_add_nc_u64 s[82:83], s[46:47], s[82:83]
	;; [unrolled: 1-line block ×4, first 2 shown]
	s_mov_b64 s[92:93], 0
	s_branch .LBB65_118
.LBB65_117:                             ;   in Loop: Header=BB65_118 Depth=2
	s_wait_xcnt 0x0
	v_mul_f64_e32 v[16:17], v[16:17], v[18:19]
	s_add_co_i32 s22, s22, 1
	s_add_nc_u64 s[92:93], s[92:93], s[76:77]
	s_cmp_eq_u32 s56, s22
	s_delay_alu instid0(VALU_DEP_1)
	v_fma_f64 v[12:13], v[14:15], v[12:13], -v[16:17]
	s_cbranch_scc1 .LBB65_148
.LBB65_118:                             ;   Parent Loop BB65_11 Depth=1
                                        ; =>  This Inner Loop Header: Depth=2
	v_cmp_eq_f64_e32 vcc_lo, 0, v[10:11]
	s_cbranch_vccnz .LBB65_122
; %bb.119:                              ;   in Loop: Header=BB65_118 Depth=2
	s_delay_alu instid0(VALU_DEP_2)
	v_cmp_neq_f64_e32 vcc_lo, 0, v[12:13]
	s_cbranch_vccz .LBB65_123
; %bb.120:                              ;   in Loop: Header=BB65_118 Depth=2
	v_cmp_ngt_f64_e64 s23, |v[10:11]|, |v[12:13]|
	s_and_b32 vcc_lo, exec_lo, s23
	s_cbranch_vccz .LBB65_124
; %bb.121:                              ;   in Loop: Header=BB65_118 Depth=2
	v_div_scale_f64 v[14:15], null, v[12:13], v[12:13], -v[10:11]
	v_div_scale_f64 v[26:27], vcc_lo, -v[10:11], v[12:13], -v[10:11]
	s_delay_alu instid0(VALU_DEP_2) | instskip(SKIP_1) | instid1(TRANS32_DEP_1)
	v_rcp_f64_e32 v[16:17], v[14:15]
	v_nop
	v_fma_f64 v[18:19], -v[14:15], v[16:17], 1.0
	s_delay_alu instid0(VALU_DEP_1) | instskip(NEXT) | instid1(VALU_DEP_1)
	v_fmac_f64_e32 v[16:17], v[16:17], v[18:19]
	v_fma_f64 v[18:19], -v[14:15], v[16:17], 1.0
	s_delay_alu instid0(VALU_DEP_1) | instskip(NEXT) | instid1(VALU_DEP_1)
	v_fmac_f64_e32 v[16:17], v[16:17], v[18:19]
	v_mul_f64_e32 v[18:19], v[26:27], v[16:17]
	s_delay_alu instid0(VALU_DEP_1) | instskip(NEXT) | instid1(VALU_DEP_1)
	v_fma_f64 v[14:15], -v[14:15], v[18:19], v[26:27]
	v_div_fmas_f64 v[14:15], v[14:15], v[16:17], v[18:19]
	s_delay_alu instid0(VALU_DEP_1) | instskip(NEXT) | instid1(VALU_DEP_1)
	v_div_fixup_f64 v[16:17], v[14:15], v[12:13], -v[10:11]
	v_fma_f64 v[14:15], v[16:17], v[16:17], 1.0
	s_delay_alu instid0(VALU_DEP_1) | instskip(SKIP_2) | instid1(SALU_CYCLE_1)
	v_cmp_gt_f64_e32 vcc_lo, 0x10000000, v[14:15]
	s_and_b32 s23, vcc_lo, exec_lo
	s_cselect_b32 s23, 0x100, 0
	v_ldexp_f64 v[14:15], v[14:15], s23
	s_cselect_b32 s23, 0xffffff80, 0
	s_delay_alu instid0(VALU_DEP_1) | instskip(SKIP_1) | instid1(TRANS32_DEP_1)
	v_rsq_f64_e32 v[18:19], v[14:15]
	v_cmp_class_f64_e64 vcc_lo, v[14:15], 0x260
	v_mul_f64_e32 v[26:27], v[14:15], v[18:19]
	v_mul_f64_e32 v[18:19], 0.5, v[18:19]
	s_delay_alu instid0(VALU_DEP_1) | instskip(NEXT) | instid1(VALU_DEP_1)
	v_fma_f64 v[28:29], -v[18:19], v[26:27], 0.5
	v_fmac_f64_e32 v[26:27], v[26:27], v[28:29]
	v_fmac_f64_e32 v[18:19], v[18:19], v[28:29]
	s_delay_alu instid0(VALU_DEP_2) | instskip(NEXT) | instid1(VALU_DEP_1)
	v_fma_f64 v[28:29], -v[26:27], v[26:27], v[14:15]
	v_fmac_f64_e32 v[26:27], v[28:29], v[18:19]
	s_delay_alu instid0(VALU_DEP_1) | instskip(NEXT) | instid1(VALU_DEP_1)
	v_fma_f64 v[28:29], -v[26:27], v[26:27], v[14:15]
	v_fmac_f64_e32 v[26:27], v[28:29], v[18:19]
	s_delay_alu instid0(VALU_DEP_1) | instskip(NEXT) | instid1(VALU_DEP_1)
	v_ldexp_f64 v[18:19], v[26:27], s23
	v_dual_cndmask_b32 v15, v19, v15 :: v_dual_cndmask_b32 v14, v18, v14
	s_delay_alu instid0(VALU_DEP_1) | instskip(NEXT) | instid1(VALU_DEP_1)
	v_div_scale_f64 v[18:19], null, v[14:15], v[14:15], 1.0
	v_rcp_f64_e32 v[26:27], v[18:19]
	v_nop
	s_delay_alu instid0(TRANS32_DEP_1) | instskip(NEXT) | instid1(VALU_DEP_1)
	v_fma_f64 v[28:29], -v[18:19], v[26:27], 1.0
	v_fmac_f64_e32 v[26:27], v[26:27], v[28:29]
	s_delay_alu instid0(VALU_DEP_1) | instskip(NEXT) | instid1(VALU_DEP_1)
	v_fma_f64 v[28:29], -v[18:19], v[26:27], 1.0
	v_fmac_f64_e32 v[26:27], v[26:27], v[28:29]
	v_div_scale_f64 v[28:29], vcc_lo, 1.0, v[14:15], 1.0
	s_delay_alu instid0(VALU_DEP_1) | instskip(NEXT) | instid1(VALU_DEP_1)
	v_mul_f64_e32 v[30:31], v[28:29], v[26:27]
	v_fma_f64 v[18:19], -v[18:19], v[30:31], v[28:29]
	s_delay_alu instid0(VALU_DEP_1) | instskip(NEXT) | instid1(VALU_DEP_1)
	v_div_fmas_f64 v[18:19], v[18:19], v[26:27], v[30:31]
	v_div_fixup_f64 v[14:15], v[18:19], v[14:15], 1.0
	s_delay_alu instid0(VALU_DEP_1)
	v_mul_f64_e32 v[16:17], v[16:17], v[14:15]
	s_cbranch_execz .LBB65_125
	s_branch .LBB65_126
.LBB65_122:                             ;   in Loop: Header=BB65_118 Depth=2
	v_mov_b64_e32 v[14:15], 1.0
	v_mov_b64_e32 v[16:17], 0
	s_branch .LBB65_128
.LBB65_123:                             ;   in Loop: Header=BB65_118 Depth=2
	v_xor_b32_e32 v11, 0x80000000, v11
                                        ; implicit-def: $vgpr16_vgpr17
                                        ; implicit-def: $vgpr14_vgpr15
	s_delay_alu instid0(VALU_DEP_1)
	v_mov_b64_e32 v[12:13], v[10:11]
	s_cbranch_execnz .LBB65_127
	s_branch .LBB65_128
.LBB65_124:                             ;   in Loop: Header=BB65_118 Depth=2
                                        ; implicit-def: $vgpr16_vgpr17
                                        ; implicit-def: $vgpr14_vgpr15
.LBB65_125:                             ;   in Loop: Header=BB65_118 Depth=2
	v_div_scale_f64 v[14:15], null, v[10:11], v[10:11], -v[12:13]
	v_div_scale_f64 v[26:27], vcc_lo, -v[12:13], v[10:11], -v[12:13]
	s_delay_alu instid0(VALU_DEP_2) | instskip(SKIP_1) | instid1(TRANS32_DEP_1)
	v_rcp_f64_e32 v[16:17], v[14:15]
	v_nop
	v_fma_f64 v[18:19], -v[14:15], v[16:17], 1.0
	s_delay_alu instid0(VALU_DEP_1) | instskip(NEXT) | instid1(VALU_DEP_1)
	v_fmac_f64_e32 v[16:17], v[16:17], v[18:19]
	v_fma_f64 v[18:19], -v[14:15], v[16:17], 1.0
	s_delay_alu instid0(VALU_DEP_1) | instskip(NEXT) | instid1(VALU_DEP_1)
	v_fmac_f64_e32 v[16:17], v[16:17], v[18:19]
	v_mul_f64_e32 v[18:19], v[26:27], v[16:17]
	s_delay_alu instid0(VALU_DEP_1) | instskip(NEXT) | instid1(VALU_DEP_1)
	v_fma_f64 v[14:15], -v[14:15], v[18:19], v[26:27]
	v_div_fmas_f64 v[14:15], v[14:15], v[16:17], v[18:19]
	s_delay_alu instid0(VALU_DEP_1) | instskip(NEXT) | instid1(VALU_DEP_1)
	v_div_fixup_f64 v[14:15], v[14:15], v[10:11], -v[12:13]
	v_fma_f64 v[16:17], v[14:15], v[14:15], 1.0
	s_delay_alu instid0(VALU_DEP_1) | instskip(SKIP_2) | instid1(SALU_CYCLE_1)
	v_cmp_gt_f64_e32 vcc_lo, 0x10000000, v[16:17]
	s_and_b32 s23, vcc_lo, exec_lo
	s_cselect_b32 s23, 0x100, 0
	v_ldexp_f64 v[16:17], v[16:17], s23
	s_cselect_b32 s23, 0xffffff80, 0
	s_delay_alu instid0(VALU_DEP_1) | instskip(SKIP_1) | instid1(TRANS32_DEP_1)
	v_rsq_f64_e32 v[18:19], v[16:17]
	v_cmp_class_f64_e64 vcc_lo, v[16:17], 0x260
	v_mul_f64_e32 v[26:27], v[16:17], v[18:19]
	v_mul_f64_e32 v[18:19], 0.5, v[18:19]
	s_delay_alu instid0(VALU_DEP_1) | instskip(NEXT) | instid1(VALU_DEP_1)
	v_fma_f64 v[28:29], -v[18:19], v[26:27], 0.5
	v_fmac_f64_e32 v[26:27], v[26:27], v[28:29]
	v_fmac_f64_e32 v[18:19], v[18:19], v[28:29]
	s_delay_alu instid0(VALU_DEP_2) | instskip(NEXT) | instid1(VALU_DEP_1)
	v_fma_f64 v[28:29], -v[26:27], v[26:27], v[16:17]
	v_fmac_f64_e32 v[26:27], v[28:29], v[18:19]
	s_delay_alu instid0(VALU_DEP_1) | instskip(NEXT) | instid1(VALU_DEP_1)
	v_fma_f64 v[28:29], -v[26:27], v[26:27], v[16:17]
	v_fmac_f64_e32 v[26:27], v[28:29], v[18:19]
	s_delay_alu instid0(VALU_DEP_1) | instskip(NEXT) | instid1(VALU_DEP_1)
	v_ldexp_f64 v[18:19], v[26:27], s23
	v_dual_cndmask_b32 v17, v19, v17 :: v_dual_cndmask_b32 v16, v18, v16
	s_delay_alu instid0(VALU_DEP_1) | instskip(NEXT) | instid1(VALU_DEP_1)
	v_div_scale_f64 v[18:19], null, v[16:17], v[16:17], 1.0
	v_rcp_f64_e32 v[26:27], v[18:19]
	v_nop
	s_delay_alu instid0(TRANS32_DEP_1) | instskip(NEXT) | instid1(VALU_DEP_1)
	v_fma_f64 v[28:29], -v[18:19], v[26:27], 1.0
	v_fmac_f64_e32 v[26:27], v[26:27], v[28:29]
	s_delay_alu instid0(VALU_DEP_1) | instskip(NEXT) | instid1(VALU_DEP_1)
	v_fma_f64 v[28:29], -v[18:19], v[26:27], 1.0
	v_fmac_f64_e32 v[26:27], v[26:27], v[28:29]
	v_div_scale_f64 v[28:29], vcc_lo, 1.0, v[16:17], 1.0
	s_delay_alu instid0(VALU_DEP_1) | instskip(NEXT) | instid1(VALU_DEP_1)
	v_mul_f64_e32 v[30:31], v[28:29], v[26:27]
	v_fma_f64 v[18:19], -v[18:19], v[30:31], v[28:29]
	s_delay_alu instid0(VALU_DEP_1) | instskip(NEXT) | instid1(VALU_DEP_1)
	v_div_fmas_f64 v[18:19], v[18:19], v[26:27], v[30:31]
	v_div_fixup_f64 v[16:17], v[18:19], v[16:17], 1.0
	s_delay_alu instid0(VALU_DEP_1)
	v_mul_f64_e32 v[14:15], v[14:15], v[16:17]
.LBB65_126:                             ;   in Loop: Header=BB65_118 Depth=2
	s_delay_alu instid0(VALU_DEP_1) | instskip(NEXT) | instid1(VALU_DEP_1)
	v_mul_f64_e32 v[10:11], v[10:11], v[16:17]
	v_fma_f64 v[12:13], v[12:13], v[14:15], -v[10:11]
	s_branch .LBB65_128
.LBB65_127:                             ;   in Loop: Header=BB65_118 Depth=2
	v_mov_b64_e32 v[14:15], 0
	v_mov_b64_e32 v[16:17], 1.0
.LBB65_128:                             ;   in Loop: Header=BB65_118 Depth=2
	s_add_nc_u64 s[26:27], s[86:87], s[92:93]
	s_add_nc_u64 s[102:103], s[84:85], s[92:93]
	s_clause 0x1
	global_store_b64 v3, v[12:13], s[26:27]
	global_load_b64 v[18:19], v3, s[102:103]
	s_wait_xcnt 0x1
	s_add_nc_u64 s[26:27], s[90:91], s[92:93]
	s_add_nc_u64 s[44:45], s[88:89], s[92:93]
	global_load_b64 v[12:13], v3, s[26:27]
	v_cmp_ne_u32_e32 vcc_lo, 1, v20
	s_add_nc_u64 s[94:95], s[82:83], s[92:93]
	s_add_nc_u64 s[96:97], s[80:81], s[92:93]
	s_and_b32 vcc_lo, exec_lo, vcc_lo
	s_wait_loadcnt 0x1
	v_mul_f64_e32 v[10:11], v[14:15], v[18:19]
	s_wait_loadcnt 0x0
	s_delay_alu instid0(VALU_DEP_1)
	v_fmac_f64_e32 v[10:11], v[16:17], v[12:13]
	s_clause 0x1
	global_store_b64 v3, v[10:11], s[102:103]
	global_load_b64 v[10:11], v3, s[44:45]
	s_wait_loadcnt 0x0
	v_mul_f64_e32 v[26:27], v[14:15], v[10:11]
	global_store_b64 v3, v[26:27], s[44:45]
	s_cbranch_vccnz .LBB65_130
; %bb.129:                              ;   in Loop: Header=BB65_118 Depth=2
	s_clause 0x1
	global_store_b64 v3, v[14:15], s[94:95]
	global_store_b64 v3, v[16:17], s[96:97]
.LBB65_130:                             ;   in Loop: Header=BB65_118 Depth=2
	s_and_not1_b32 vcc_lo, exec_lo, s50
	s_add_nc_u64 s[98:99], s[78:79], s[92:93]
	s_add_nc_u64 s[100:101], s[74:75], s[92:93]
	s_cbranch_vccnz .LBB65_132
; %bb.131:                              ;   in Loop: Header=BB65_118 Depth=2
	s_clause 0x1
	global_store_b64 v3, v[14:15], s[98:99]
	global_store_b64 v3, v[16:17], s[100:101]
.LBB65_132:                             ;   in Loop: Header=BB65_118 Depth=2
	v_mul_f64_e64 v[10:11], v[10:11], -v[16:17]
	s_wait_xcnt 0x0
	v_mul_f64_e32 v[16:17], v[16:17], v[18:19]
	s_delay_alu instid0(VALU_DEP_2) | instskip(NEXT) | instid1(VALU_DEP_2)
	v_cmp_eq_f64_e32 vcc_lo, 0, v[10:11]
	v_fma_f64 v[12:13], v[14:15], v[12:13], -v[16:17]
	s_cbranch_vccnz .LBB65_136
; %bb.133:                              ;   in Loop: Header=BB65_118 Depth=2
	s_delay_alu instid0(VALU_DEP_1)
	v_cmp_neq_f64_e32 vcc_lo, 0, v[12:13]
	s_cbranch_vccz .LBB65_137
; %bb.134:                              ;   in Loop: Header=BB65_118 Depth=2
	v_cmp_ngt_f64_e64 s23, |v[10:11]|, |v[12:13]|
	s_and_b32 vcc_lo, exec_lo, s23
	s_cbranch_vccz .LBB65_138
; %bb.135:                              ;   in Loop: Header=BB65_118 Depth=2
	v_div_scale_f64 v[14:15], null, v[12:13], v[12:13], -v[10:11]
	v_div_scale_f64 v[26:27], vcc_lo, -v[10:11], v[12:13], -v[10:11]
	s_delay_alu instid0(VALU_DEP_2) | instskip(SKIP_1) | instid1(TRANS32_DEP_1)
	v_rcp_f64_e32 v[16:17], v[14:15]
	v_nop
	v_fma_f64 v[18:19], -v[14:15], v[16:17], 1.0
	s_delay_alu instid0(VALU_DEP_1) | instskip(NEXT) | instid1(VALU_DEP_1)
	v_fmac_f64_e32 v[16:17], v[16:17], v[18:19]
	v_fma_f64 v[18:19], -v[14:15], v[16:17], 1.0
	s_delay_alu instid0(VALU_DEP_1) | instskip(NEXT) | instid1(VALU_DEP_1)
	v_fmac_f64_e32 v[16:17], v[16:17], v[18:19]
	v_mul_f64_e32 v[18:19], v[26:27], v[16:17]
	s_delay_alu instid0(VALU_DEP_1) | instskip(NEXT) | instid1(VALU_DEP_1)
	v_fma_f64 v[14:15], -v[14:15], v[18:19], v[26:27]
	v_div_fmas_f64 v[14:15], v[14:15], v[16:17], v[18:19]
	s_delay_alu instid0(VALU_DEP_1) | instskip(NEXT) | instid1(VALU_DEP_1)
	v_div_fixup_f64 v[16:17], v[14:15], v[12:13], -v[10:11]
	v_fma_f64 v[14:15], v[16:17], v[16:17], 1.0
	s_delay_alu instid0(VALU_DEP_1) | instskip(SKIP_2) | instid1(SALU_CYCLE_1)
	v_cmp_gt_f64_e32 vcc_lo, 0x10000000, v[14:15]
	s_and_b32 s23, vcc_lo, exec_lo
	s_cselect_b32 s23, 0x100, 0
	v_ldexp_f64 v[14:15], v[14:15], s23
	s_cselect_b32 s23, 0xffffff80, 0
	s_delay_alu instid0(VALU_DEP_1) | instskip(SKIP_1) | instid1(TRANS32_DEP_1)
	v_rsq_f64_e32 v[18:19], v[14:15]
	v_cmp_class_f64_e64 vcc_lo, v[14:15], 0x260
	v_mul_f64_e32 v[26:27], v[14:15], v[18:19]
	v_mul_f64_e32 v[18:19], 0.5, v[18:19]
	s_delay_alu instid0(VALU_DEP_1) | instskip(NEXT) | instid1(VALU_DEP_1)
	v_fma_f64 v[28:29], -v[18:19], v[26:27], 0.5
	v_fmac_f64_e32 v[26:27], v[26:27], v[28:29]
	v_fmac_f64_e32 v[18:19], v[18:19], v[28:29]
	s_delay_alu instid0(VALU_DEP_2) | instskip(NEXT) | instid1(VALU_DEP_1)
	v_fma_f64 v[28:29], -v[26:27], v[26:27], v[14:15]
	v_fmac_f64_e32 v[26:27], v[28:29], v[18:19]
	s_delay_alu instid0(VALU_DEP_1) | instskip(NEXT) | instid1(VALU_DEP_1)
	v_fma_f64 v[28:29], -v[26:27], v[26:27], v[14:15]
	v_fmac_f64_e32 v[26:27], v[28:29], v[18:19]
	s_delay_alu instid0(VALU_DEP_1) | instskip(NEXT) | instid1(VALU_DEP_1)
	v_ldexp_f64 v[18:19], v[26:27], s23
	v_dual_cndmask_b32 v15, v19, v15 :: v_dual_cndmask_b32 v14, v18, v14
	s_delay_alu instid0(VALU_DEP_1) | instskip(NEXT) | instid1(VALU_DEP_1)
	v_div_scale_f64 v[18:19], null, v[14:15], v[14:15], 1.0
	v_rcp_f64_e32 v[26:27], v[18:19]
	v_nop
	s_delay_alu instid0(TRANS32_DEP_1) | instskip(NEXT) | instid1(VALU_DEP_1)
	v_fma_f64 v[28:29], -v[18:19], v[26:27], 1.0
	v_fmac_f64_e32 v[26:27], v[26:27], v[28:29]
	s_delay_alu instid0(VALU_DEP_1) | instskip(NEXT) | instid1(VALU_DEP_1)
	v_fma_f64 v[28:29], -v[18:19], v[26:27], 1.0
	v_fmac_f64_e32 v[26:27], v[26:27], v[28:29]
	v_div_scale_f64 v[28:29], vcc_lo, 1.0, v[14:15], 1.0
	s_delay_alu instid0(VALU_DEP_1) | instskip(NEXT) | instid1(VALU_DEP_1)
	v_mul_f64_e32 v[30:31], v[28:29], v[26:27]
	v_fma_f64 v[18:19], -v[18:19], v[30:31], v[28:29]
	s_delay_alu instid0(VALU_DEP_1) | instskip(NEXT) | instid1(VALU_DEP_1)
	v_div_fmas_f64 v[18:19], v[18:19], v[26:27], v[30:31]
	v_div_fixup_f64 v[14:15], v[18:19], v[14:15], 1.0
	s_delay_alu instid0(VALU_DEP_1)
	v_mul_f64_e32 v[16:17], v[16:17], v[14:15]
	s_cbranch_execz .LBB65_139
	s_branch .LBB65_140
.LBB65_136:                             ;   in Loop: Header=BB65_118 Depth=2
	v_mov_b64_e32 v[14:15], 1.0
	v_mov_b64_e32 v[16:17], 0
	s_branch .LBB65_142
.LBB65_137:                             ;   in Loop: Header=BB65_118 Depth=2
	v_xor_b32_e32 v13, 0x80000000, v11
	v_mov_b32_e32 v12, v10
                                        ; implicit-def: $vgpr16_vgpr17
                                        ; implicit-def: $vgpr14_vgpr15
	s_cbranch_execnz .LBB65_141
	s_branch .LBB65_142
.LBB65_138:                             ;   in Loop: Header=BB65_118 Depth=2
                                        ; implicit-def: $vgpr16_vgpr17
                                        ; implicit-def: $vgpr14_vgpr15
.LBB65_139:                             ;   in Loop: Header=BB65_118 Depth=2
	v_div_scale_f64 v[14:15], null, v[10:11], v[10:11], -v[12:13]
	v_div_scale_f64 v[26:27], vcc_lo, -v[12:13], v[10:11], -v[12:13]
	s_delay_alu instid0(VALU_DEP_2) | instskip(SKIP_1) | instid1(TRANS32_DEP_1)
	v_rcp_f64_e32 v[16:17], v[14:15]
	v_nop
	v_fma_f64 v[18:19], -v[14:15], v[16:17], 1.0
	s_delay_alu instid0(VALU_DEP_1) | instskip(NEXT) | instid1(VALU_DEP_1)
	v_fmac_f64_e32 v[16:17], v[16:17], v[18:19]
	v_fma_f64 v[18:19], -v[14:15], v[16:17], 1.0
	s_delay_alu instid0(VALU_DEP_1) | instskip(NEXT) | instid1(VALU_DEP_1)
	v_fmac_f64_e32 v[16:17], v[16:17], v[18:19]
	v_mul_f64_e32 v[18:19], v[26:27], v[16:17]
	s_delay_alu instid0(VALU_DEP_1) | instskip(NEXT) | instid1(VALU_DEP_1)
	v_fma_f64 v[14:15], -v[14:15], v[18:19], v[26:27]
	v_div_fmas_f64 v[14:15], v[14:15], v[16:17], v[18:19]
	s_delay_alu instid0(VALU_DEP_1) | instskip(NEXT) | instid1(VALU_DEP_1)
	v_div_fixup_f64 v[14:15], v[14:15], v[10:11], -v[12:13]
	v_fma_f64 v[16:17], v[14:15], v[14:15], 1.0
	s_delay_alu instid0(VALU_DEP_1) | instskip(SKIP_2) | instid1(SALU_CYCLE_1)
	v_cmp_gt_f64_e32 vcc_lo, 0x10000000, v[16:17]
	s_and_b32 s23, vcc_lo, exec_lo
	s_cselect_b32 s23, 0x100, 0
	v_ldexp_f64 v[16:17], v[16:17], s23
	s_cselect_b32 s23, 0xffffff80, 0
	s_delay_alu instid0(VALU_DEP_1) | instskip(SKIP_1) | instid1(TRANS32_DEP_1)
	v_rsq_f64_e32 v[18:19], v[16:17]
	v_cmp_class_f64_e64 vcc_lo, v[16:17], 0x260
	v_mul_f64_e32 v[26:27], v[16:17], v[18:19]
	v_mul_f64_e32 v[18:19], 0.5, v[18:19]
	s_delay_alu instid0(VALU_DEP_1) | instskip(NEXT) | instid1(VALU_DEP_1)
	v_fma_f64 v[28:29], -v[18:19], v[26:27], 0.5
	v_fmac_f64_e32 v[26:27], v[26:27], v[28:29]
	v_fmac_f64_e32 v[18:19], v[18:19], v[28:29]
	s_delay_alu instid0(VALU_DEP_2) | instskip(NEXT) | instid1(VALU_DEP_1)
	v_fma_f64 v[28:29], -v[26:27], v[26:27], v[16:17]
	v_fmac_f64_e32 v[26:27], v[28:29], v[18:19]
	s_delay_alu instid0(VALU_DEP_1) | instskip(NEXT) | instid1(VALU_DEP_1)
	v_fma_f64 v[28:29], -v[26:27], v[26:27], v[16:17]
	v_fmac_f64_e32 v[26:27], v[28:29], v[18:19]
	s_delay_alu instid0(VALU_DEP_1) | instskip(NEXT) | instid1(VALU_DEP_1)
	v_ldexp_f64 v[18:19], v[26:27], s23
	v_dual_cndmask_b32 v17, v19, v17 :: v_dual_cndmask_b32 v16, v18, v16
	s_delay_alu instid0(VALU_DEP_1) | instskip(NEXT) | instid1(VALU_DEP_1)
	v_div_scale_f64 v[18:19], null, v[16:17], v[16:17], 1.0
	v_rcp_f64_e32 v[26:27], v[18:19]
	v_nop
	s_delay_alu instid0(TRANS32_DEP_1) | instskip(NEXT) | instid1(VALU_DEP_1)
	v_fma_f64 v[28:29], -v[18:19], v[26:27], 1.0
	v_fmac_f64_e32 v[26:27], v[26:27], v[28:29]
	s_delay_alu instid0(VALU_DEP_1) | instskip(NEXT) | instid1(VALU_DEP_1)
	v_fma_f64 v[28:29], -v[18:19], v[26:27], 1.0
	v_fmac_f64_e32 v[26:27], v[26:27], v[28:29]
	v_div_scale_f64 v[28:29], vcc_lo, 1.0, v[16:17], 1.0
	s_delay_alu instid0(VALU_DEP_1) | instskip(NEXT) | instid1(VALU_DEP_1)
	v_mul_f64_e32 v[30:31], v[28:29], v[26:27]
	v_fma_f64 v[18:19], -v[18:19], v[30:31], v[28:29]
	s_delay_alu instid0(VALU_DEP_1) | instskip(NEXT) | instid1(VALU_DEP_1)
	v_div_fmas_f64 v[18:19], v[18:19], v[26:27], v[30:31]
	v_div_fixup_f64 v[16:17], v[18:19], v[16:17], 1.0
	s_delay_alu instid0(VALU_DEP_1)
	v_mul_f64_e32 v[14:15], v[14:15], v[16:17]
.LBB65_140:                             ;   in Loop: Header=BB65_118 Depth=2
	s_delay_alu instid0(VALU_DEP_1) | instskip(NEXT) | instid1(VALU_DEP_1)
	v_mul_f64_e32 v[18:19], v[10:11], v[16:17]
	v_fma_f64 v[12:13], v[12:13], v[14:15], -v[18:19]
	s_branch .LBB65_142
.LBB65_141:                             ;   in Loop: Header=BB65_118 Depth=2
	v_mov_b64_e32 v[14:15], 0
	v_mov_b64_e32 v[16:17], 1.0
.LBB65_142:                             ;   in Loop: Header=BB65_118 Depth=2
	s_clause 0x2
	global_store_b64 v3, v[12:13], s[26:27]
	global_load_b64 v[18:19], v3, s[44:45]
	global_load_b64 v[12:13], v3, s[102:103]
	s_cmp_ge_i32 s22, s69
	s_wait_loadcnt 0x1
	v_mul_f64_e32 v[26:27], v[14:15], v[18:19]
	s_wait_loadcnt 0x0
	s_delay_alu instid0(VALU_DEP_1)
	v_fmac_f64_e32 v[26:27], v[16:17], v[12:13]
	global_store_b64 v3, v[26:27], s[44:45]
	s_cbranch_scc0 .LBB65_145
; %bb.143:                              ;   in Loop: Header=BB65_118 Depth=2
	v_cmp_ne_u32_e32 vcc_lo, 1, v21
	s_cbranch_vccz .LBB65_146
.LBB65_144:                             ;   in Loop: Header=BB65_118 Depth=2
	s_and_not1_b32 vcc_lo, exec_lo, s51
	s_cbranch_vccnz .LBB65_117
	s_branch .LBB65_147
.LBB65_145:                             ;   in Loop: Header=BB65_118 Depth=2
	s_add_nc_u64 s[26:27], s[72:73], s[92:93]
	global_load_b64 v[10:11], v3, s[26:27]
	s_wait_loadcnt 0x0
	s_wait_xcnt 0x1
	v_mul_f64_e32 v[26:27], v[14:15], v[10:11]
	v_mul_f64_e64 v[10:11], v[10:11], -v[16:17]
	global_store_b64 v3, v[26:27], s[26:27]
	v_cmp_ne_u32_e32 vcc_lo, 1, v21
	s_cbranch_vccnz .LBB65_144
.LBB65_146:                             ;   in Loop: Header=BB65_118 Depth=2
	s_clause 0x1
	global_store_b64 v3, v[14:15], s[94:95]
	global_store_b64 v3, v[16:17], s[96:97]
	s_and_not1_b32 vcc_lo, exec_lo, s51
	s_cbranch_vccnz .LBB65_117
.LBB65_147:                             ;   in Loop: Header=BB65_118 Depth=2
	s_clause 0x1
	global_store_b64 v3, v[14:15], s[98:99]
	global_store_b64 v3, v[16:17], s[100:101]
	s_branch .LBB65_117
.LBB65_148:                             ;   in Loop: Header=BB65_11 Depth=1
	s_and_b32 s22, s59, exec_lo
	s_cselect_b32 s22, s69, 0
	s_delay_alu instid0(SALU_CYCLE_1)
	v_mov_b32_e32 v10, s22
	global_store_b64 v10, v[12:13], s[70:71] scale_offset
.LBB65_149:                             ;   in Loop: Header=BB65_11 Depth=1
	s_wait_xcnt 0x0
	s_or_b32 exec_lo, exec_lo, s57
	s_delay_alu instid0(SALU_CYCLE_1)
	s_and_not1_b32 vcc_lo, exec_lo, vcc_hi
	s_wait_storecnt 0x0
	s_barrier_signal -1
	s_barrier_wait -1
	s_cbranch_vccz .LBB65_152
; %bb.150:                              ;   in Loop: Header=BB65_11 Depth=1
	s_and_not1_b32 vcc_lo, exec_lo, s48
	s_cbranch_vccz .LBB65_158
.LBB65_151:                             ;   in Loop: Header=BB65_11 Depth=1
	s_and_not1_b32 vcc_lo, exec_lo, s49
	s_cbranch_vccnz .LBB65_10
	s_branch .LBB65_164
.LBB65_152:                             ;   in Loop: Header=BB65_11 Depth=1
	s_and_saveexec_b32 s22, s0
	s_cbranch_execz .LBB65_157
; %bb.153:                              ;   in Loop: Header=BB65_11 Depth=1
	s_load_b32 s45, s[42:43], 0xc
	s_add_co_i32 s50, s56, -1
	s_cmp_eq_u32 s64, 0
	v_mov_b32_e32 v25, v0
	s_cselect_b32 s50, s50, 0
	s_cselect_b32 s44, s56, 0
	s_ashr_i32 s51, s50, 31
	s_ashr_i32 s59, s58, 31
	s_lshl_b64 s[70:71], s[66:67], 3
	s_lshl_b32 s57, s64, 1
	s_lshl_b64 s[50:51], s[50:51], 3
	s_lshl_b64 s[72:73], s[58:59], 3
	s_add_co_i32 s78, s57, -2
	s_add_nc_u64 s[74:75], s[50:51], s[70:71]
	s_ashr_i32 s65, s64, 31
	s_ashr_i32 s79, s78, 31
	s_add_nc_u64 s[50:51], s[74:75], s[72:73]
	v_dual_add_nc_u32 v10, s44, v22 :: v_dual_mov_b32 v12, v22
	s_lshl_b64 s[72:73], s[78:79], 3
	s_sub_nc_u64 s[70:71], s[50:51], s[62:63]
	s_wait_kmcnt 0x0
	s_and_b32 s50, s45, 0xffff
	s_lshl_b64 s[76:77], s[64:65], 1
	s_ashr_i32 s45, s44, 31
	s_add_nc_u64 s[26:27], s[36:37], s[62:63]
	s_mov_b32 s23, 0
	s_add_nc_u64 s[70:71], s[52:53], s[70:71]
	s_or_b64 s[72:73], s[72:73], 8
	s_add_nc_u64 s[74:75], s[54:55], s[74:75]
	s_add_nc_u64 s[76:77], s[76:77], s[44:45]
	s_mul_i32 s45, s11, s50
	s_or_b64 s[78:79], s[78:79], 1
.LBB65_154:                             ;   Parent Loop BB65_11 Depth=1
                                        ; =>  This Loop Header: Depth=2
                                        ;       Child Loop BB65_155 Depth 3
	v_mad_u32 v11, v25, s11, s44
	v_ashrrev_i32_e32 v13, 31, v12
	s_mov_b64 s[80:81], 0
	s_mov_b32 s51, s56
	global_load_b64 v[14:15], v11, s[26:27] scale_offset
	s_wait_xcnt 0x0
	v_ashrrev_i32_e32 v11, 31, v10
	v_add_nc_u64_e32 v[16:17], s[76:77], v[12:13]
	s_delay_alu instid0(VALU_DEP_2)
	v_lshl_add_u64 v[18:19], v[10:11], 3, s[26:27]
.LBB65_155:                             ;   Parent Loop BB65_11 Depth=1
                                        ;     Parent Loop BB65_154 Depth=2
                                        ; =>    This Inner Loop Header: Depth=3
	s_wait_xcnt 0x1
	s_delay_alu instid0(VALU_DEP_2)
	v_lshl_add_u64 v[20:21], v[16:17], 3, s[26:27]
	s_add_nc_u64 s[82:83], s[74:75], s[80:81]
	s_add_nc_u64 s[84:85], s[70:71], s[80:81]
	s_clause 0x1
	global_load_b64 v[26:27], v3, s[82:83]
	global_load_b64 v[28:29], v3, s[84:85]
	global_load_b64 v[30:31], v[20:21], off offset:-8
	v_add_nc_u64_e32 v[16:17], s[78:79], v[16:17]
	s_add_co_i32 s51, s51, -1
	s_delay_alu instid0(SALU_CYCLE_1) | instskip(SKIP_2) | instid1(VALU_DEP_1)
	s_cmp_eq_u32 s51, 0
	s_wait_loadcnt 0x0
	v_mul_f64_e32 v[32:33], v[30:31], v[28:29]
	v_fma_f64 v[32:33], v[14:15], v[26:27], -v[32:33]
	v_mul_f64_e32 v[14:15], v[14:15], v[28:29]
	s_delay_alu instid0(VALU_DEP_1)
	v_fmac_f64_e32 v[14:15], v[30:31], v[26:27]
	v_add_nc_u64_e32 v[26:27], s[80:81], v[18:19]
	s_add_nc_u64 s[80:81], s[80:81], s[72:73]
	global_store_b64 v[26:27], v[32:33], off
	s_cbranch_scc0 .LBB65_155
; %bb.156:                              ;   in Loop: Header=BB65_154 Depth=2
	v_dual_add_nc_u32 v25, s50, v25 :: v_dual_add_nc_u32 v12, s45, v12
	v_add_nc_u32_e32 v10, s45, v10
	global_store_b64 v[20:21], v[14:15], off offset:-8
	v_cmp_le_i32_e32 vcc_lo, s29, v25
	s_or_b32 s23, vcc_lo, s23
	s_wait_xcnt 0x0
	s_and_not1_b32 exec_lo, exec_lo, s23
	s_cbranch_execnz .LBB65_154
.LBB65_157:                             ;   in Loop: Header=BB65_11 Depth=1
	s_or_b32 exec_lo, exec_lo, s22
	s_delay_alu instid0(SALU_CYCLE_1)
	s_and_not1_b32 vcc_lo, exec_lo, s48
	s_cbranch_vccnz .LBB65_151
.LBB65_158:                             ;   in Loop: Header=BB65_11 Depth=1
	s_and_saveexec_b32 s22, s1
	s_cbranch_execz .LBB65_163
; %bb.159:                              ;   in Loop: Header=BB65_11 Depth=1
	s_mul_i32 s26, s60, s9
	s_load_b32 s51, s[42:43], 0xc
	s_ashr_i32 s27, s26, 31
	s_add_co_i32 s44, s56, -1
	s_lshl_b64 s[26:27], s[26:27], 3
	s_cmp_eq_u32 s64, 0
	s_mov_b32 s23, 0
	s_cselect_b32 s57, s56, 0
	s_cselect_b32 s44, s44, 0
	s_lshl_b32 s65, s64, 1
	s_mul_i32 s50, s57, s9
	s_add_co_i32 s57, s57, s65
	s_add_co_i32 s70, s44, s68
	s_add_co_i32 s57, s57, -1
	s_ashr_i32 s59, s58, 31
	v_mad_u32 v14, s9, s57, v0
	s_ashr_i32 s71, s70, 31
	s_add_co_i32 s72, s65, -2
	s_lshl_b64 s[60:61], s[66:67], 3
	s_lshl_b64 s[44:45], s[58:59], 3
	;; [unrolled: 1-line block ×3, first 2 shown]
	s_ashr_i32 s73, s72, 31
	v_dual_mov_b32 v16, v0 :: v_dual_add_nc_u32 v15, s50, v0
	s_sub_nc_u64 s[44:45], s[44:45], s[62:63]
	s_add_nc_u64 s[60:61], s[60:61], s[70:71]
	s_lshl_b64 s[70:71], s[72:73], 3
	s_add_nc_u64 s[26:27], s[34:35], s[26:27]
	s_add_nc_u64 s[44:45], s[44:45], 40
	s_wait_kmcnt 0x0
	s_and_b32 s51, s51, 0xffff
	s_add_nc_u64 s[60:61], s[18:19], s[60:61]
	s_or_b64 s[70:71], s[70:71], 8
	s_mul_i32 s7, s9, s7
.LBB65_160:                             ;   Parent Loop BB65_11 Depth=1
                                        ; =>  This Loop Header: Depth=2
                                        ;       Child Loop BB65_161 Depth 3
	v_add_nc_u32_e32 v10, s50, v16
	s_mov_b32 s57, 0
	s_mov_b64 s[72:73], s[60:61]
	s_mov_b32 s59, s56
	global_load_b64 v[10:11], v10, s[26:27] scale_offset
.LBB65_161:                             ;   Parent Loop BB65_11 Depth=1
                                        ;     Parent Loop BB65_160 Depth=2
                                        ; =>    This Inner Loop Header: Depth=3
	s_wait_xcnt 0x1
	v_add_nc_u32_e32 v12, s57, v14
	s_add_nc_u64 s[74:75], s[72:73], s[44:45]
	s_add_co_i32 s59, s59, -1
	s_clause 0x1
	global_load_b64 v[18:19], v3, s[72:73] offset:32
	global_load_b64 v[20:21], v3, s[74:75]
	global_load_b64 v[26:27], v12, s[26:27] scale_offset
	s_wait_xcnt 0x2
	s_add_nc_u64 s[72:73], s[72:73], s[70:71]
	v_add_nc_u32_e32 v13, s57, v15
	s_add_co_i32 s57, s57, s7
	s_cmp_eq_u32 s59, 0
	s_wait_loadcnt 0x0
	v_mul_f64_e32 v[28:29], v[26:27], v[20:21]
	s_delay_alu instid0(VALU_DEP_1)
	v_fma_f64 v[28:29], v[10:11], v[18:19], -v[28:29]
	v_mul_f64_e32 v[10:11], v[10:11], v[20:21]
	global_store_b64 v13, v[28:29], s[26:27] scale_offset
	v_fmac_f64_e32 v[10:11], v[26:27], v[18:19]
	s_cbranch_scc0 .LBB65_161
; %bb.162:                              ;   in Loop: Header=BB65_160 Depth=2
	v_dual_add_nc_u32 v16, s51, v16 :: v_dual_add_nc_u32 v15, s51, v15
	s_wait_xcnt 0x0
	v_dual_ashrrev_i32 v13, 31, v12 :: v_dual_add_nc_u32 v14, s51, v14
	s_delay_alu instid0(VALU_DEP_2) | instskip(NEXT) | instid1(VALU_DEP_2)
	v_cmp_le_i32_e32 vcc_lo, s30, v16
	v_lshl_add_u64 v[12:13], v[12:13], 3, s[26:27]
	s_or_b32 s23, vcc_lo, s23
	global_store_b64 v[12:13], v[10:11], off
	s_wait_xcnt 0x0
	s_and_not1_b32 exec_lo, exec_lo, s23
	s_cbranch_execnz .LBB65_160
.LBB65_163:                             ;   in Loop: Header=BB65_11 Depth=1
	s_or_b32 exec_lo, exec_lo, s22
	s_delay_alu instid0(SALU_CYCLE_1)
	s_and_not1_b32 vcc_lo, exec_lo, s49
	s_cbranch_vccnz .LBB65_10
.LBB65_164:                             ;   in Loop: Header=BB65_11 Depth=1
	s_and_saveexec_b32 s7, s6
	s_cbranch_execz .LBB65_9
; %bb.165:                              ;   in Loop: Header=BB65_11 Depth=1
	s_load_b32 s23, s[42:43], 0xc
	s_add_co_i32 s45, s56, -1
	s_cmp_eq_u32 s64, 0
	v_mov_b32_e32 v25, v0
	s_cselect_b32 s45, s45, 0
	s_cselect_b32 s44, s56, 0
	s_add_co_i32 s50, s45, s68
	s_ashr_i32 s59, s58, 31
	s_ashr_i32 s51, s50, 31
	s_lshl_b64 s[60:61], s[66:67], 3
	s_lshl_b32 s45, s64, 1
	s_lshl_b64 s[50:51], s[50:51], 3
	s_lshl_b64 s[58:59], s[58:59], 3
	s_add_nc_u64 s[50:51], s[60:61], s[50:51]
	s_add_co_i32 s66, s45, -2
	s_ashr_i32 s65, s64, 31
	s_add_nc_u64 s[58:59], s[50:51], s[58:59]
	s_ashr_i32 s67, s66, 31
	v_dual_add_nc_u32 v10, s44, v23 :: v_dual_mov_b32 v12, v23
	s_add_nc_u64 s[26:27], s[40:41], s[62:63]
	s_sub_nc_u64 s[58:59], s[58:59], s[62:63]
	s_wait_kmcnt 0x0
	s_and_b32 s23, s23, 0xffff
	s_lshl_b64 s[60:61], s[66:67], 3
	s_add_nc_u64 s[62:63], s[54:55], s[50:51]
	s_lshl_b64 s[50:51], s[64:65], 1
	s_ashr_i32 s45, s44, 31
	s_mov_b32 s22, 0
	s_add_nc_u64 s[58:59], s[52:53], s[58:59]
	s_or_b64 s[60:61], s[60:61], 8
	s_add_nc_u64 s[64:65], s[50:51], s[44:45]
	s_mul_i32 s45, s39, s23
	s_or_b64 s[66:67], s[66:67], 1
.LBB65_166:                             ;   Parent Loop BB65_11 Depth=1
                                        ; =>  This Loop Header: Depth=2
                                        ;       Child Loop BB65_167 Depth 3
	v_mad_u32 v11, v25, s39, s44
	v_ashrrev_i32_e32 v13, 31, v12
	s_mov_b64 s[68:69], 0
	s_mov_b32 s50, s56
	global_load_b64 v[14:15], v11, s[26:27] scale_offset
	s_wait_xcnt 0x0
	v_ashrrev_i32_e32 v11, 31, v10
	v_add_nc_u64_e32 v[16:17], s[64:65], v[12:13]
	s_delay_alu instid0(VALU_DEP_2)
	v_lshl_add_u64 v[18:19], v[10:11], 3, s[26:27]
.LBB65_167:                             ;   Parent Loop BB65_11 Depth=1
                                        ;     Parent Loop BB65_166 Depth=2
                                        ; =>    This Inner Loop Header: Depth=3
	s_wait_xcnt 0x1
	s_delay_alu instid0(VALU_DEP_2)
	v_lshl_add_u64 v[20:21], v[16:17], 3, s[26:27]
	s_add_nc_u64 s[70:71], s[62:63], s[68:69]
	s_add_nc_u64 s[72:73], s[58:59], s[68:69]
	s_clause 0x1
	global_load_b64 v[26:27], v3, s[70:71]
	global_load_b64 v[28:29], v3, s[72:73]
	global_load_b64 v[30:31], v[20:21], off offset:-8
	v_add_nc_u64_e32 v[16:17], s[66:67], v[16:17]
	s_add_co_i32 s50, s50, -1
	s_delay_alu instid0(SALU_CYCLE_1) | instskip(SKIP_2) | instid1(VALU_DEP_1)
	s_cmp_eq_u32 s50, 0
	s_wait_loadcnt 0x0
	v_mul_f64_e32 v[32:33], v[30:31], v[28:29]
	v_fma_f64 v[32:33], v[14:15], v[26:27], -v[32:33]
	v_mul_f64_e32 v[14:15], v[14:15], v[28:29]
	s_delay_alu instid0(VALU_DEP_1)
	v_fmac_f64_e32 v[14:15], v[30:31], v[26:27]
	v_add_nc_u64_e32 v[26:27], s[68:69], v[18:19]
	s_add_nc_u64 s[68:69], s[68:69], s[60:61]
	global_store_b64 v[26:27], v[32:33], off
	s_cbranch_scc0 .LBB65_167
; %bb.168:                              ;   in Loop: Header=BB65_166 Depth=2
	v_dual_add_nc_u32 v25, s23, v25 :: v_dual_add_nc_u32 v12, s45, v12
	v_add_nc_u32_e32 v10, s45, v10
	global_store_b64 v[20:21], v[14:15], off offset:-8
	v_cmp_le_i32_e32 vcc_lo, s31, v25
	s_or_b32 s22, vcc_lo, s22
	s_wait_xcnt 0x0
	s_and_not1_b32 exec_lo, exec_lo, s22
	s_cbranch_execnz .LBB65_166
	s_branch .LBB65_9
.LBB65_169:                             ;   in Loop: Header=BB65_11 Depth=1
	v_mov_b32_e32 v21, s7
	global_load_b64 v[10:11], v21, s[82:83] offset:-8 scale_offset
	s_wait_loadcnt 0x0
	s_wait_xcnt 0x1
	v_mul_f64_e32 v[26:27], v[14:15], v[10:11]
	v_mul_f64_e64 v[10:11], v[10:11], -v[16:17]
	global_store_b64 v21, v[26:27], s[82:83] offset:-8 scale_offset
	s_and_b32 s23, s28, s23
	s_wait_xcnt 0x0
	v_cndmask_b32_e64 v21, 0, 1, s23
	s_and_not1_b32 vcc_lo, exec_lo, s23
	s_cbranch_vccnz .LBB65_113
.LBB65_170:                             ;   in Loop: Header=BB65_11 Depth=1
	v_mov_b32_e32 v25, s74
	s_clause 0x1
	global_store_b64 v3, v[14:15], s[88:89] offset:24
	global_store_b64 v25, v[16:17], s[88:89] offset:24 scale_offset
	s_xor_b32 s23, s59, -1
	s_delay_alu instid0(SALU_CYCLE_1) | instskip(NEXT) | instid1(SALU_CYCLE_1)
	s_or_b32 s23, s104, s23
	s_and_b32 vcc_lo, exec_lo, s23
	s_cbranch_vccz .LBB65_114
	s_branch .LBB65_115
.LBB65_171:
	s_endpgm
	.section	.rodata,"a",@progbits
	.p2align	6, 0x0
	.amdhsa_kernel _ZN9rocsolver6v33100L13bdsqr_computeILi256EddPdS2_S2_EEviiiiPT1_lS4_lT2_iilT3_iilT4_iiliS3_S3_S3_S3_PiS4_ilS8_
		.amdhsa_group_segment_fixed_size 2072
		.amdhsa_private_segment_fixed_size 0
		.amdhsa_kernarg_size 456
		.amdhsa_user_sgpr_count 2
		.amdhsa_user_sgpr_dispatch_ptr 0
		.amdhsa_user_sgpr_queue_ptr 0
		.amdhsa_user_sgpr_kernarg_segment_ptr 1
		.amdhsa_user_sgpr_dispatch_id 0
		.amdhsa_user_sgpr_kernarg_preload_length 0
		.amdhsa_user_sgpr_kernarg_preload_offset 0
		.amdhsa_user_sgpr_private_segment_size 0
		.amdhsa_wavefront_size32 1
		.amdhsa_uses_dynamic_stack 0
		.amdhsa_enable_private_segment 0
		.amdhsa_system_sgpr_workgroup_id_x 1
		.amdhsa_system_sgpr_workgroup_id_y 1
		.amdhsa_system_sgpr_workgroup_id_z 1
		.amdhsa_system_sgpr_workgroup_info 0
		.amdhsa_system_vgpr_workitem_id 0
		.amdhsa_next_free_vgpr 35
		.amdhsa_next_free_sgpr 105
		.amdhsa_named_barrier_count 0
		.amdhsa_reserve_vcc 1
		.amdhsa_float_round_mode_32 0
		.amdhsa_float_round_mode_16_64 0
		.amdhsa_float_denorm_mode_32 3
		.amdhsa_float_denorm_mode_16_64 3
		.amdhsa_fp16_overflow 0
		.amdhsa_memory_ordered 1
		.amdhsa_forward_progress 1
		.amdhsa_inst_pref_size 72
		.amdhsa_round_robin_scheduling 0
		.amdhsa_exception_fp_ieee_invalid_op 0
		.amdhsa_exception_fp_denorm_src 0
		.amdhsa_exception_fp_ieee_div_zero 0
		.amdhsa_exception_fp_ieee_overflow 0
		.amdhsa_exception_fp_ieee_underflow 0
		.amdhsa_exception_fp_ieee_inexact 0
		.amdhsa_exception_int_div_zero 0
	.end_amdhsa_kernel
	.section	.text._ZN9rocsolver6v33100L13bdsqr_computeILi256EddPdS2_S2_EEviiiiPT1_lS4_lT2_iilT3_iilT4_iiliS3_S3_S3_S3_PiS4_ilS8_,"axG",@progbits,_ZN9rocsolver6v33100L13bdsqr_computeILi256EddPdS2_S2_EEviiiiPT1_lS4_lT2_iilT3_iilT4_iiliS3_S3_S3_S3_PiS4_ilS8_,comdat
.Lfunc_end65:
	.size	_ZN9rocsolver6v33100L13bdsqr_computeILi256EddPdS2_S2_EEviiiiPT1_lS4_lT2_iilT3_iilT4_iiliS3_S3_S3_S3_PiS4_ilS8_, .Lfunc_end65-_ZN9rocsolver6v33100L13bdsqr_computeILi256EddPdS2_S2_EEviiiiPT1_lS4_lT2_iilT3_iilT4_iiliS3_S3_S3_S3_PiS4_ilS8_
                                        ; -- End function
	.set _ZN9rocsolver6v33100L13bdsqr_computeILi256EddPdS2_S2_EEviiiiPT1_lS4_lT2_iilT3_iilT4_iiliS3_S3_S3_S3_PiS4_ilS8_.num_vgpr, 35
	.set _ZN9rocsolver6v33100L13bdsqr_computeILi256EddPdS2_S2_EEviiiiPT1_lS4_lT2_iilT3_iilT4_iiliS3_S3_S3_S3_PiS4_ilS8_.num_agpr, 0
	.set _ZN9rocsolver6v33100L13bdsqr_computeILi256EddPdS2_S2_EEviiiiPT1_lS4_lT2_iilT3_iilT4_iiliS3_S3_S3_S3_PiS4_ilS8_.numbered_sgpr, 105
	.set _ZN9rocsolver6v33100L13bdsqr_computeILi256EddPdS2_S2_EEviiiiPT1_lS4_lT2_iilT3_iilT4_iiliS3_S3_S3_S3_PiS4_ilS8_.num_named_barrier, 0
	.set _ZN9rocsolver6v33100L13bdsqr_computeILi256EddPdS2_S2_EEviiiiPT1_lS4_lT2_iilT3_iilT4_iiliS3_S3_S3_S3_PiS4_ilS8_.private_seg_size, 0
	.set _ZN9rocsolver6v33100L13bdsqr_computeILi256EddPdS2_S2_EEviiiiPT1_lS4_lT2_iilT3_iilT4_iiliS3_S3_S3_S3_PiS4_ilS8_.uses_vcc, 1
	.set _ZN9rocsolver6v33100L13bdsqr_computeILi256EddPdS2_S2_EEviiiiPT1_lS4_lT2_iilT3_iilT4_iiliS3_S3_S3_S3_PiS4_ilS8_.uses_flat_scratch, 0
	.set _ZN9rocsolver6v33100L13bdsqr_computeILi256EddPdS2_S2_EEviiiiPT1_lS4_lT2_iilT3_iilT4_iiliS3_S3_S3_S3_PiS4_ilS8_.has_dyn_sized_stack, 0
	.set _ZN9rocsolver6v33100L13bdsqr_computeILi256EddPdS2_S2_EEviiiiPT1_lS4_lT2_iilT3_iilT4_iiliS3_S3_S3_S3_PiS4_ilS8_.has_recursion, 0
	.set _ZN9rocsolver6v33100L13bdsqr_computeILi256EddPdS2_S2_EEviiiiPT1_lS4_lT2_iilT3_iilT4_iiliS3_S3_S3_S3_PiS4_ilS8_.has_indirect_call, 0
	.section	.AMDGPU.csdata,"",@progbits
; Kernel info:
; codeLenInByte = 9140
; TotalNumSgprs: 107
; NumVgprs: 35
; ScratchSize: 0
; MemoryBound: 0
; FloatMode: 240
; IeeeMode: 1
; LDSByteSize: 2072 bytes/workgroup (compile time only)
; SGPRBlocks: 0
; VGPRBlocks: 2
; NumSGPRsForWavesPerEU: 107
; NumVGPRsForWavesPerEU: 35
; NamedBarCnt: 0
; Occupancy: 16
; WaveLimiterHint : 1
; COMPUTE_PGM_RSRC2:SCRATCH_EN: 0
; COMPUTE_PGM_RSRC2:USER_SGPR: 2
; COMPUTE_PGM_RSRC2:TRAP_HANDLER: 0
; COMPUTE_PGM_RSRC2:TGID_X_EN: 1
; COMPUTE_PGM_RSRC2:TGID_Y_EN: 1
; COMPUTE_PGM_RSRC2:TGID_Z_EN: 1
; COMPUTE_PGM_RSRC2:TIDIG_COMP_CNT: 0
	.section	.text._ZN9rocsolver6v33100L12bdsqr_rotateIddPdS2_S2_EEviiiiT1_iilT2_iilT3_iiliPiPT0_ilS6_,"axG",@progbits,_ZN9rocsolver6v33100L12bdsqr_rotateIddPdS2_S2_EEviiiiT1_iilT2_iilT3_iiliPiPT0_ilS6_,comdat
	.globl	_ZN9rocsolver6v33100L12bdsqr_rotateIddPdS2_S2_EEviiiiT1_iilT2_iilT3_iiliPiPT0_ilS6_ ; -- Begin function _ZN9rocsolver6v33100L12bdsqr_rotateIddPdS2_S2_EEviiiiT1_iilT2_iilT3_iiliPiPT0_ilS6_
	.p2align	8
	.type	_ZN9rocsolver6v33100L12bdsqr_rotateIddPdS2_S2_EEviiiiT1_iilT2_iilT3_iiliPiPT0_ilS6_,@function
_ZN9rocsolver6v33100L12bdsqr_rotateIddPdS2_S2_EEviiiiT1_iilT2_iilT3_iiliPiPT0_ilS6_: ; @_ZN9rocsolver6v33100L12bdsqr_rotateIddPdS2_S2_EEviiiiT1_iilT2_iilT3_iiliPiPT0_ilS6_
; %bb.0:
	s_load_b128 s[12:15], s[0:1], 0x78
	s_bfe_u32 s2, ttmp6, 0x40014
	s_lshr_b32 s3, ttmp7, 16
	s_add_co_i32 s2, s2, 1
	s_bfe_u32 s4, ttmp6, 0x40008
	s_mul_i32 s2, s3, s2
	s_getreg_b32 s26, hwreg(HW_REG_IB_STS2, 6, 4)
	s_add_co_i32 s4, s4, s2
	s_cmp_eq_u32 s26, 0
	s_mov_b32 s25, 0
	s_cselect_b32 s24, s3, s4
	s_wait_kmcnt 0x0
	s_load_b32 s2, s[14:15], s24 offset:0x8 scale_offset
	s_wait_kmcnt 0x0
	s_cmp_lg_u32 s2, 0
	s_cbranch_scc1 .LBB66_25
; %bb.1:
	s_load_b256 s[4:11], s[0:1], 0x10
	s_mov_b64 s[20:21], 0
	s_mov_b64 s[22:23], 0
	s_wait_kmcnt 0x0
	s_cmp_eq_u64 s[4:5], 0
	s_cbranch_scc1 .LBB66_3
; %bb.2:
	s_mul_u64 s[2:3], s[8:9], s[24:25]
	s_ashr_i32 s9, s6, 31
	s_lshl_b64 s[2:3], s[2:3], 3
	s_mov_b32 s8, s6
	s_add_nc_u64 s[2:3], s[4:5], s[2:3]
	s_lshl_b64 s[4:5], s[8:9], 3
	s_delay_alu instid0(SALU_CYCLE_1)
	s_add_nc_u64 s[22:23], s[2:3], s[4:5]
.LBB66_3:
	s_clause 0x1
	s_load_b64 s[2:3], s[0:1], 0x30
	s_load_b128 s[16:19], s[0:1], 0x38
	s_cmp_eq_u64 s[10:11], 0
	s_cbranch_scc1 .LBB66_5
; %bb.4:
	s_wait_kmcnt 0x0
	s_mul_u64 s[4:5], s[16:17], s[24:25]
	s_ashr_i32 s9, s2, 31
	s_lshl_b64 s[4:5], s[4:5], 3
	s_mov_b32 s8, s2
	s_add_nc_u64 s[4:5], s[10:11], s[4:5]
	s_lshl_b64 s[8:9], s[8:9], 3
	s_delay_alu instid0(SALU_CYCLE_1)
	s_add_nc_u64 s[20:21], s[4:5], s[8:9]
.LBB66_5:
	s_wait_kmcnt 0x0
	s_load_b64 s[16:17], s[0:1], 0x48
	s_cmp_eq_u64 s[18:19], 0
	s_mov_b64 s[4:5], 0
	s_cbranch_scc1 .LBB66_7
; %bb.6:
	s_load_b64 s[4:5], s[0:1], 0x50
	s_wait_kmcnt 0x0
	s_ashr_i32 s9, s16, 31
	s_mov_b32 s8, s16
	s_delay_alu instid0(SALU_CYCLE_1) | instskip(SKIP_1) | instid1(SALU_CYCLE_1)
	s_lshl_b64 s[8:9], s[8:9], 3
	s_mul_u64 s[4:5], s[4:5], s[24:25]
	s_lshl_b64 s[4:5], s[4:5], 3
	s_delay_alu instid0(SALU_CYCLE_1) | instskip(NEXT) | instid1(SALU_CYCLE_1)
	s_add_nc_u64 s[4:5], s[18:19], s[4:5]
	s_add_nc_u64 s[4:5], s[4:5], s[8:9]
.LBB66_7:
	s_load_b128 s[8:11], s[0:1], 0x60
	s_bfe_u32 s2, ttmp6, 0x40010
	s_and_b32 s6, ttmp7, 0xffff
	s_add_co_i32 s2, s2, 1
	s_bfe_u32 s14, ttmp6, 0x40004
	s_mul_i32 s2, s6, s2
	s_mul_u64 s[12:13], s[12:13], s[24:25]
	s_add_co_i32 s14, s14, s2
	s_cmp_eq_u32 s26, 0
	s_cselect_b32 s30, s6, s14
	s_lshl_b64 s[12:13], s[12:13], 3
	s_wait_kmcnt 0x0
	s_add_nc_u64 s[10:11], s[10:11], s[12:13]
	s_load_b64 s[12:13], s[10:11], 0x10
	s_wait_kmcnt 0x0
	v_cvt_i32_f64_e32 v8, s[12:13]
	s_delay_alu instid0(VALU_DEP_1)
	v_cmp_ge_i32_e32 vcc_lo, s30, v8
	s_cbranch_vccnz .LBB66_25
; %bb.8:
	s_clause 0x3
	s_load_b128 s[12:15], s[0:1], 0x0
	s_load_b32 s2, s[0:1], 0x94
	s_load_b32 s31, s[0:1], 0x58
	;; [unrolled: 1-line block ×3, first 2 shown]
	s_bfe_u32 s6, ttmp6, 0x4000c
	s_and_b32 s16, ttmp6, 15
	s_add_co_i32 s6, s6, 1
	s_wait_xcnt 0x0
	s_add_nc_u64 s[0:1], s[0:1], 0x88
	s_mul_i32 s6, ttmp9, s6
	s_load_b32 s34, s[0:1], 0x4
	s_add_co_i32 s16, s16, s6
	v_mov_b32_e32 v12, 0
	s_wait_kmcnt 0x0
	s_mul_i32 s12, s24, s12
	s_and_b32 s2, 0xffff, s2
	s_lshl_b32 s18, s12, 1
	s_delay_alu instid0(SALU_CYCLE_1) | instskip(NEXT) | instid1(SALU_CYCLE_1)
	s_ashr_i32 s19, s18, 31
	s_lshl_b64 s[18:19], s[18:19], 2
	s_cmp_eq_u32 s26, 0
	s_cselect_b32 s6, ttmp9, s16
	s_cmp_eq_u32 s13, 0
	v_mad_u32 v9, s6, s2, v0
	s_cselect_b32 s35, -1, 0
	s_cmp_lg_u64 s[22:23], 0
	s_cselect_b32 s1, -1, 0
	s_delay_alu instid0(VALU_DEP_1)
	v_cmp_gt_i32_e32 vcc_lo, s13, v9
	v_cmp_gt_i32_e64 s0, s14, v9
	v_mul_lo_u32 v10, v9, s7
	v_mul_lo_u32 v11, v9, s17
	s_add_nc_u64 s[12:13], s[10:11], 40
	s_and_b32 s36, vcc_lo, s1
	s_cmp_lg_u64 s[20:21], 0
	v_cmp_gt_i32_e32 vcc_lo, s15, v9
	s_cselect_b32 s1, -1, 0
	s_add_nc_u64 s[6:7], s[8:9], s[18:19]
	s_and_b32 s37, s0, s1
	s_cmp_lg_u64 s[4:5], 0
	s_add_nc_u64 s[8:9], s[10:11], 32
	s_cselect_b32 s0, -1, 0
	s_delay_alu instid0(SALU_CYCLE_1)
	s_and_b32 s38, vcc_lo, s0
	s_branch .LBB66_12
.LBB66_9:                               ;   in Loop: Header=BB66_12 Depth=1
	v_sub_nc_u64_e64 v[2:3], v[2:3], s[0:1]
	s_delay_alu instid0(VALU_DEP_1) | instskip(NEXT) | instid1(VALU_DEP_1)
	v_add_nc_u64_e32 v[2:3], s[4:5], v[2:3]
	v_add_nc_u64_e32 v[2:3], s[16:17], v[2:3]
	global_store_b64 v[2:3], v[0:1], off
.LBB66_10:                              ;   in Loop: Header=BB66_12 Depth=1
	s_wait_xcnt 0x0
	s_or_b32 exec_lo, exec_lo, s26
.LBB66_11:                              ;   in Loop: Header=BB66_12 Depth=1
	s_add_co_i32 s30, s34, s30
	s_delay_alu instid0(SALU_CYCLE_1)
	v_cmp_lt_i32_e32 vcc_lo, s30, v8
	s_cbranch_vccz .LBB66_25
.LBB66_12:                              ; =>This Loop Header: Depth=1
                                        ;     Child Loop BB66_16 Depth 2
                                        ;     Child Loop BB66_20 Depth 2
                                        ;     Child Loop BB66_24 Depth 2
	s_lshl_b32 s0, s30, 2
	s_delay_alu instid0(SALU_CYCLE_1) | instskip(NEXT) | instid1(SALU_CYCLE_1)
	s_ashr_i32 s1, s0, 31
	s_lshl_b64 s[0:1], s[0:1], 2
	s_wait_xcnt 0x0
	s_add_nc_u64 s[14:15], s[6:7], s[0:1]
	s_load_b96 s[0:2], s[14:15], 0x0
	s_wait_kmcnt 0x0
	s_cmp_le_i32 s2, s1
	s_cbranch_scc1 .LBB66_11
; %bb.13:                               ;   in Loop: Header=BB66_12 Depth=1
	s_wait_xcnt 0x0
	s_load_b32 s14, s[14:15], 0xc
	s_wait_kmcnt 0x0
	s_cmp_lt_i32 s14, s31
	s_wait_xcnt 0x0
	s_cselect_b32 s14, -1, 0
	s_cmp_lg_u32 s0, 0
	s_cselect_b32 s15, -1, 0
	s_delay_alu instid0(SALU_CYCLE_1) | instskip(NEXT) | instid1(SALU_CYCLE_1)
	s_and_b32 s14, s14, s15
	s_and_not1_b32 vcc_lo, exec_lo, s14
	s_cbranch_vccnz .LBB66_11
; %bb.14:                               ;   in Loop: Header=BB66_12 Depth=1
	s_mul_i32 s16, s1, s33
	s_delay_alu instid0(SALU_CYCLE_1)
	s_ashr_i32 s17, s16, 31
	s_cmp_gt_i32 s0, 0
	s_cselect_b32 s39, -1, 0
	s_sub_co_i32 s14, s2, s1
	s_and_saveexec_b32 s15, s36
	s_cbranch_execz .LBB66_18
; %bb.15:                               ;   in Loop: Header=BB66_12 Depth=1
	s_and_b32 s18, s39, exec_lo
	s_cselect_b32 s18, s1, s2
	s_mov_b32 s24, s2
	v_add_nc_u32_e32 v4, s18, v10
	s_add_co_i32 s18, s14, -1
	s_and_b32 s19, s39, exec_lo
	s_cselect_b32 s18, 0, s18
	s_ashr_i32 s25, s2, 31
	global_load_b64 v[0:1], v4, s[22:23] scale_offset
	v_dual_ashrrev_i32 v5, 31, v4 :: v_dual_add_nc_u32 v2, s0, v4
	s_ashr_i32 s19, s18, 31
	s_lshl_b64 s[26:27], s[16:17], 3
	s_lshl_b64 s[18:19], s[18:19], 3
	;; [unrolled: 1-line block ×3, first 2 shown]
	v_ashrrev_i32_e32 v3, 31, v2
	s_add_nc_u64 s[28:29], s[18:19], s[26:27]
	s_ashr_i32 s19, s1, 31
	s_mov_b32 s18, s1
	s_add_nc_u64 s[24:25], s[28:29], s[24:25]
	v_lshlrev_b64_e32 v[2:3], 3, v[2:3]
	s_lshl_b64 s[18:19], s[18:19], 3
	s_wait_xcnt 0x0
	v_lshl_add_u64 v[4:5], v[4:5], 3, s[22:23]
	s_sub_nc_u64 s[18:19], s[24:25], s[18:19]
	s_ashr_i32 s25, s0, 31
	s_mov_b32 s24, s0
	s_add_nc_u64 s[26:27], s[12:13], s[18:19]
	v_add_nc_u64_e32 v[6:7], s[22:23], v[2:3]
	s_lshl_b64 s[18:19], s[24:25], 3
	s_add_nc_u64 s[28:29], s[8:9], s[28:29]
	s_mov_b64 s[24:25], 0
	s_mov_b32 s40, s14
.LBB66_16:                              ;   Parent Loop BB66_12 Depth=1
                                        ; =>  This Inner Loop Header: Depth=2
	s_wait_xcnt 0x0
	s_delay_alu instid0(VALU_DEP_1)
	v_add_nc_u64_e32 v[14:15], s[24:25], v[6:7]
	s_add_nc_u64 s[42:43], s[28:29], s[24:25]
	s_add_nc_u64 s[44:45], s[26:27], s[24:25]
	s_add_co_i32 s40, s40, -1
	s_clause 0x1
	global_load_b64 v[16:17], v12, s[42:43]
	global_load_b64 v[18:19], v12, s[44:45]
	global_load_b64 v[20:21], v[14:15], off
	s_cmp_eq_u32 s40, 0
	s_wait_loadcnt 0x0
	s_wait_xcnt 0x0
	v_mul_f64_e32 v[14:15], v[20:21], v[18:19]
	s_delay_alu instid0(VALU_DEP_1) | instskip(SKIP_1) | instid1(VALU_DEP_1)
	v_fma_f64 v[14:15], v[0:1], v[16:17], -v[14:15]
	v_mul_f64_e32 v[0:1], v[0:1], v[18:19]
	v_fmac_f64_e32 v[0:1], v[20:21], v[16:17]
	v_add_nc_u64_e32 v[16:17], s[24:25], v[4:5]
	s_add_nc_u64 s[24:25], s[24:25], s[18:19]
	global_store_b64 v[16:17], v[14:15], off
	s_cbranch_scc0 .LBB66_16
; %bb.17:                               ;   in Loop: Header=BB66_12 Depth=1
	v_sub_nc_u64_e64 v[2:3], v[2:3], s[18:19]
	s_delay_alu instid0(VALU_DEP_1) | instskip(NEXT) | instid1(VALU_DEP_1)
	v_add_nc_u64_e32 v[2:3], s[22:23], v[2:3]
	v_add_nc_u64_e32 v[2:3], s[24:25], v[2:3]
	global_store_b64 v[2:3], v[0:1], off
.LBB66_18:                              ;   in Loop: Header=BB66_12 Depth=1
	s_wait_xcnt 0x0
	s_or_b32 exec_lo, exec_lo, s15
	s_lshl_b32 s15, s14, 1
	s_delay_alu instid0(SALU_CYCLE_1)
	s_add_co_i32 s15, s15, 2
	s_and_b32 s18, s35, exec_lo
	s_cselect_b32 s28, 0, s15
	s_and_saveexec_b32 s29, s37
	s_cbranch_execz .LBB66_22
; %bb.19:                               ;   in Loop: Header=BB66_12 Depth=1
	s_and_b32 s15, s39, exec_lo
	s_cselect_b32 s41, s1, s2
	s_add_co_i32 s15, s14, -1
	s_mul_i32 s40, s41, s3
	s_and_b32 s18, s39, exec_lo
	v_dual_mov_b32 v3, v9 :: v_dual_add_nc_u32 v0, s40, v9
	s_cselect_b32 s18, 0, s15
	s_ashr_i32 s15, s14, 31
	s_add_co_i32 s18, s28, s18
	global_load_b64 v[0:1], v0, s[20:21] scale_offset
	s_ashr_i32 s19, s18, 31
	s_lshl_b64 s[24:25], s[14:15], 3
	s_lshl_b64 s[26:27], s[16:17], 3
	;; [unrolled: 1-line block ×3, first 2 shown]
	s_add_nc_u64 s[18:19], s[24:25], 40
	s_add_nc_u64 s[24:25], s[26:27], s[42:43]
	s_ashr_i32 s27, s0, 31
	s_mov_b32 s26, s0
	s_add_co_i32 s41, s41, s0
	s_add_nc_u64 s[24:25], s[10:11], s[24:25]
	s_lshl_b64 s[26:27], s[26:27], 3
	s_mul_i32 s15, s3, s41
	s_mul_i32 s41, s3, s0
	s_mov_b32 s42, s14
.LBB66_20:                              ;   Parent Loop BB66_12 Depth=1
                                        ; =>  This Inner Loop Header: Depth=2
	s_wait_xcnt 0x1
	v_add_nc_u32_e32 v2, s15, v3
	s_add_nc_u64 s[44:45], s[24:25], s[18:19]
	s_add_co_i32 s42, s42, -1
	s_clause 0x1
	global_load_b64 v[4:5], v12, s[24:25] offset:32
	global_load_b64 v[6:7], v12, s[44:45]
	global_load_b64 v[14:15], v2, s[20:21] scale_offset
	s_cmp_eq_u32 s42, 0
	s_wait_xcnt 0x2
	s_add_nc_u64 s[24:25], s[24:25], s[26:27]
	s_wait_loadcnt 0x0
	v_mul_f64_e32 v[16:17], v[14:15], v[6:7]
	s_delay_alu instid0(VALU_DEP_1) | instskip(SKIP_1) | instid1(VALU_DEP_1)
	v_fma_f64 v[16:17], v[0:1], v[4:5], -v[16:17]
	v_mul_f64_e32 v[0:1], v[0:1], v[6:7]
	v_fmac_f64_e32 v[0:1], v[14:15], v[4:5]
	v_dual_add_nc_u32 v4, s40, v3 :: v_dual_add_nc_u32 v3, s41, v3
	global_store_b64 v4, v[16:17], s[20:21] scale_offset
	s_cbranch_scc0 .LBB66_20
; %bb.21:                               ;   in Loop: Header=BB66_12 Depth=1
	v_ashrrev_i32_e32 v3, 31, v2
	s_wait_xcnt 0x1
	s_delay_alu instid0(VALU_DEP_1)
	v_lshl_add_u64 v[2:3], v[2:3], 3, s[20:21]
	global_store_b64 v[2:3], v[0:1], off
.LBB66_22:                              ;   in Loop: Header=BB66_12 Depth=1
	s_wait_xcnt 0x0
	s_or_b32 exec_lo, exec_lo, s29
	s_and_saveexec_b32 s26, s38
	s_cbranch_execz .LBB66_10
; %bb.23:                               ;   in Loop: Header=BB66_12 Depth=1
	s_and_b32 s15, s39, exec_lo
	s_cselect_b32 s1, s1, s2
	s_delay_alu instid0(SALU_CYCLE_1)
	v_add_nc_u32_e32 v4, s1, v11
	s_add_co_i32 s1, s14, -1
	s_and_b32 s2, s39, exec_lo
	s_cselect_b32 s1, 0, s1
	s_lshl_b64 s[16:17], s[16:17], 3
	v_add_nc_u32_e32 v2, s0, v4
	s_add_co_i32 s18, s28, s1
	s_ashr_i32 s15, s14, 31
	s_ashr_i32 s19, s18, 31
	;; [unrolled: 1-line block ×3, first 2 shown]
	v_ashrrev_i32_e32 v3, 31, v2
	global_load_b64 v[0:1], v4, s[4:5] scale_offset
	v_ashrrev_i32_e32 v5, 31, v4
	s_lshl_b64 s[18:19], s[18:19], 3
	s_lshl_b64 s[0:1], s[0:1], 3
	v_lshlrev_b64_e32 v[2:3], 3, v[2:3]
	s_add_nc_u64 s[16:17], s[16:17], s[18:19]
	s_lshl_b64 s[18:19], s[14:15], 3
	s_wait_xcnt 0x0
	v_lshl_add_u64 v[4:5], v[4:5], 3, s[4:5]
	s_add_nc_u64 s[18:19], s[16:17], s[18:19]
	s_add_nc_u64 s[24:25], s[8:9], s[16:17]
	;; [unrolled: 1-line block ×3, first 2 shown]
	v_add_nc_u64_e32 v[6:7], s[4:5], v[2:3]
	s_mov_b64 s[16:17], 0
.LBB66_24:                              ;   Parent Loop BB66_12 Depth=1
                                        ; =>  This Inner Loop Header: Depth=2
	s_wait_xcnt 0x0
	s_delay_alu instid0(VALU_DEP_1)
	v_add_nc_u64_e32 v[14:15], s[16:17], v[6:7]
	s_add_nc_u64 s[28:29], s[24:25], s[16:17]
	s_add_nc_u64 s[40:41], s[18:19], s[16:17]
	s_add_co_i32 s14, s14, -1
	s_clause 0x1
	global_load_b64 v[16:17], v12, s[28:29]
	global_load_b64 v[18:19], v12, s[40:41]
	global_load_b64 v[20:21], v[14:15], off
	s_cmp_eq_u32 s14, 0
	s_wait_loadcnt 0x0
	s_wait_xcnt 0x0
	v_mul_f64_e32 v[14:15], v[20:21], v[18:19]
	s_delay_alu instid0(VALU_DEP_1) | instskip(SKIP_1) | instid1(VALU_DEP_1)
	v_fma_f64 v[14:15], v[0:1], v[16:17], -v[14:15]
	v_mul_f64_e32 v[0:1], v[0:1], v[18:19]
	v_fmac_f64_e32 v[0:1], v[20:21], v[16:17]
	v_add_nc_u64_e32 v[16:17], s[16:17], v[4:5]
	s_add_nc_u64 s[16:17], s[16:17], s[0:1]
	global_store_b64 v[16:17], v[14:15], off
	s_cbranch_scc0 .LBB66_24
	s_branch .LBB66_9
.LBB66_25:
	s_endpgm
	.section	.rodata,"a",@progbits
	.p2align	6, 0x0
	.amdhsa_kernel _ZN9rocsolver6v33100L12bdsqr_rotateIddPdS2_S2_EEviiiiT1_iilT2_iilT3_iiliPiPT0_ilS6_
		.amdhsa_group_segment_fixed_size 0
		.amdhsa_private_segment_fixed_size 0
		.amdhsa_kernarg_size 392
		.amdhsa_user_sgpr_count 2
		.amdhsa_user_sgpr_dispatch_ptr 0
		.amdhsa_user_sgpr_queue_ptr 0
		.amdhsa_user_sgpr_kernarg_segment_ptr 1
		.amdhsa_user_sgpr_dispatch_id 0
		.amdhsa_user_sgpr_kernarg_preload_length 0
		.amdhsa_user_sgpr_kernarg_preload_offset 0
		.amdhsa_user_sgpr_private_segment_size 0
		.amdhsa_wavefront_size32 1
		.amdhsa_uses_dynamic_stack 0
		.amdhsa_enable_private_segment 0
		.amdhsa_system_sgpr_workgroup_id_x 1
		.amdhsa_system_sgpr_workgroup_id_y 1
		.amdhsa_system_sgpr_workgroup_id_z 1
		.amdhsa_system_sgpr_workgroup_info 0
		.amdhsa_system_vgpr_workitem_id 0
		.amdhsa_next_free_vgpr 22
		.amdhsa_next_free_sgpr 46
		.amdhsa_named_barrier_count 0
		.amdhsa_reserve_vcc 1
		.amdhsa_float_round_mode_32 0
		.amdhsa_float_round_mode_16_64 0
		.amdhsa_float_denorm_mode_32 3
		.amdhsa_float_denorm_mode_16_64 3
		.amdhsa_fp16_overflow 0
		.amdhsa_memory_ordered 1
		.amdhsa_forward_progress 1
		.amdhsa_inst_pref_size 13
		.amdhsa_round_robin_scheduling 0
		.amdhsa_exception_fp_ieee_invalid_op 0
		.amdhsa_exception_fp_denorm_src 0
		.amdhsa_exception_fp_ieee_div_zero 0
		.amdhsa_exception_fp_ieee_overflow 0
		.amdhsa_exception_fp_ieee_underflow 0
		.amdhsa_exception_fp_ieee_inexact 0
		.amdhsa_exception_int_div_zero 0
	.end_amdhsa_kernel
	.section	.text._ZN9rocsolver6v33100L12bdsqr_rotateIddPdS2_S2_EEviiiiT1_iilT2_iilT3_iiliPiPT0_ilS6_,"axG",@progbits,_ZN9rocsolver6v33100L12bdsqr_rotateIddPdS2_S2_EEviiiiT1_iilT2_iilT3_iiliPiPT0_ilS6_,comdat
.Lfunc_end66:
	.size	_ZN9rocsolver6v33100L12bdsqr_rotateIddPdS2_S2_EEviiiiT1_iilT2_iilT3_iiliPiPT0_ilS6_, .Lfunc_end66-_ZN9rocsolver6v33100L12bdsqr_rotateIddPdS2_S2_EEviiiiT1_iilT2_iilT3_iiliPiPT0_ilS6_
                                        ; -- End function
	.set _ZN9rocsolver6v33100L12bdsqr_rotateIddPdS2_S2_EEviiiiT1_iilT2_iilT3_iiliPiPT0_ilS6_.num_vgpr, 22
	.set _ZN9rocsolver6v33100L12bdsqr_rotateIddPdS2_S2_EEviiiiT1_iilT2_iilT3_iiliPiPT0_ilS6_.num_agpr, 0
	.set _ZN9rocsolver6v33100L12bdsqr_rotateIddPdS2_S2_EEviiiiT1_iilT2_iilT3_iiliPiPT0_ilS6_.numbered_sgpr, 46
	.set _ZN9rocsolver6v33100L12bdsqr_rotateIddPdS2_S2_EEviiiiT1_iilT2_iilT3_iiliPiPT0_ilS6_.num_named_barrier, 0
	.set _ZN9rocsolver6v33100L12bdsqr_rotateIddPdS2_S2_EEviiiiT1_iilT2_iilT3_iiliPiPT0_ilS6_.private_seg_size, 0
	.set _ZN9rocsolver6v33100L12bdsqr_rotateIddPdS2_S2_EEviiiiT1_iilT2_iilT3_iiliPiPT0_ilS6_.uses_vcc, 1
	.set _ZN9rocsolver6v33100L12bdsqr_rotateIddPdS2_S2_EEviiiiT1_iilT2_iilT3_iiliPiPT0_ilS6_.uses_flat_scratch, 0
	.set _ZN9rocsolver6v33100L12bdsqr_rotateIddPdS2_S2_EEviiiiT1_iilT2_iilT3_iiliPiPT0_ilS6_.has_dyn_sized_stack, 0
	.set _ZN9rocsolver6v33100L12bdsqr_rotateIddPdS2_S2_EEviiiiT1_iilT2_iilT3_iiliPiPT0_ilS6_.has_recursion, 0
	.set _ZN9rocsolver6v33100L12bdsqr_rotateIddPdS2_S2_EEviiiiT1_iilT2_iilT3_iiliPiPT0_ilS6_.has_indirect_call, 0
	.section	.AMDGPU.csdata,"",@progbits
; Kernel info:
; codeLenInByte = 1664
; TotalNumSgprs: 48
; NumVgprs: 22
; ScratchSize: 0
; MemoryBound: 0
; FloatMode: 240
; IeeeMode: 1
; LDSByteSize: 0 bytes/workgroup (compile time only)
; SGPRBlocks: 0
; VGPRBlocks: 1
; NumSGPRsForWavesPerEU: 48
; NumVGPRsForWavesPerEU: 22
; NamedBarCnt: 0
; Occupancy: 16
; WaveLimiterHint : 1
; COMPUTE_PGM_RSRC2:SCRATCH_EN: 0
; COMPUTE_PGM_RSRC2:USER_SGPR: 2
; COMPUTE_PGM_RSRC2:TRAP_HANDLER: 0
; COMPUTE_PGM_RSRC2:TGID_X_EN: 1
; COMPUTE_PGM_RSRC2:TGID_Y_EN: 1
; COMPUTE_PGM_RSRC2:TGID_Z_EN: 1
; COMPUTE_PGM_RSRC2:TIDIG_COMP_CNT: 0
	.section	.text._ZN9rocsolver6v33100L22bdsqr_update_endpointsIddEEviPT0_lPiS3_lS4_,"axG",@progbits,_ZN9rocsolver6v33100L22bdsqr_update_endpointsIddEEviPT0_lPiS3_lS4_,comdat
	.globl	_ZN9rocsolver6v33100L22bdsqr_update_endpointsIddEEviPT0_lPiS3_lS4_ ; -- Begin function _ZN9rocsolver6v33100L22bdsqr_update_endpointsIddEEviPT0_lPiS3_lS4_
	.p2align	8
	.type	_ZN9rocsolver6v33100L22bdsqr_update_endpointsIddEEviPT0_lPiS3_lS4_,@function
_ZN9rocsolver6v33100L22bdsqr_update_endpointsIddEEviPT0_lPiS3_lS4_: ; @_ZN9rocsolver6v33100L22bdsqr_update_endpointsIddEEviPT0_lPiS3_lS4_
; %bb.0:
	s_load_b128 s[12:15], s[0:1], 0x28
	s_bfe_u32 s2, ttmp6, 0x40014
	s_lshr_b32 s3, ttmp7, 16
	s_add_co_i32 s2, s2, 1
	s_bfe_u32 s5, ttmp6, 0x40008
	s_mul_i32 s4, s3, s2
	s_getreg_b32 s2, hwreg(HW_REG_IB_STS2, 6, 4)
	s_add_co_i32 s5, s5, s4
	s_cmp_eq_u32 s2, 0
	s_mov_b32 s17, 0
	s_cselect_b32 s16, s3, s5
	s_wait_kmcnt 0x0
	s_load_b32 s3, s[14:15], s16 offset:0x8 scale_offset
	s_wait_kmcnt 0x0
	s_cmp_lg_u32 s3, 0
	s_cbranch_scc1 .LBB67_28
; %bb.1:
	s_load_b256 s[4:11], s[0:1], 0x8
	s_bfe_u32 s3, ttmp6, 0x40010
	s_and_b32 s14, ttmp7, 0xffff
	s_add_co_i32 s3, s3, 1
	s_bfe_u32 s15, ttmp6, 0x40004
	s_mul_i32 s3, s14, s3
	s_delay_alu instid0(SALU_CYCLE_1)
	s_add_co_i32 s15, s15, s3
	s_cmp_eq_u32 s2, 0
	s_mul_u64 s[2:3], s[12:13], s[16:17]
	s_cselect_b32 s20, s14, s15
	s_lshl_b64 s[2:3], s[2:3], 3
	s_wait_kmcnt 0x0
	s_add_nc_u64 s[2:3], s[10:11], s[2:3]
	s_load_b128 s[12:15], s[2:3], 0x8
	s_wait_kmcnt 0x0
	v_cvt_i32_f64_e32 v8, s[14:15]
	s_delay_alu instid0(VALU_DEP_1)
	v_cmp_ge_i32_e32 vcc_lo, s20, v8
	s_cbranch_vccnz .LBB67_28
; %bb.2:
	v_cvt_f64_i32_e32 v[4:5], v8
	s_clause 0x1
	s_load_b32 s10, s[0:1], 0x0
	s_load_b32 s21, s[0:1], 0x3c
	s_wait_xcnt 0x0
	s_mul_u64 s[0:1], s[6:7], s[16:17]
	v_mov_b64_e32 v[6:7], 0
	s_lshl_b64 s[0:1], s[0:1], 3
	v_mov_b32_e32 v9, 0
	s_add_nc_u64 s[4:5], s[4:5], s[0:1]
	s_wait_kmcnt 0x0
	s_mul_i32 s10, s16, s10
	s_delay_alu instid0(SALU_CYCLE_1) | instskip(NEXT) | instid1(SALU_CYCLE_1)
	s_lshl_b32 s6, s10, 1
	s_ashr_i32 s7, s6, 31
	s_delay_alu instid0(SALU_CYCLE_1) | instskip(NEXT) | instid1(SALU_CYCLE_1)
	s_lshl_b64 s[6:7], s[6:7], 2
	s_add_nc_u64 s[6:7], s[8:9], s[6:7]
	s_add_nc_u64 s[8:9], s[4:5], -8
	s_branch .LBB67_4
.LBB67_3:                               ;   in Loop: Header=BB67_4 Depth=1
	s_add_co_i32 s20, s21, s20
	s_wait_xcnt 0x0
	v_dual_mov_b32 v0, s22 :: v_dual_mov_b32 v1, s15
	v_cmp_lt_i32_e32 vcc_lo, s20, v8
	global_store_b64 v9, v[0:1], s[10:11] offset:4
	s_cbranch_vccz .LBB67_28
.LBB67_4:                               ; =>This Loop Header: Depth=1
                                        ;     Child Loop BB67_9 Depth 2
                                        ;     Child Loop BB67_14 Depth 2
	;; [unrolled: 1-line block ×3, first 2 shown]
	s_lshl_b32 s0, s20, 2
	s_delay_alu instid0(SALU_CYCLE_1) | instskip(NEXT) | instid1(SALU_CYCLE_1)
	s_ashr_i32 s1, s0, 31
	s_lshl_b64 s[0:1], s[0:1], 2
	s_wait_xcnt 0x0
	s_add_nc_u64 s[10:11], s[6:7], s[0:1]
	global_load_b128 v[0:3], v9, s[10:11]
	s_wait_loadcnt 0x0
	v_cmp_eq_u32_e64 s0, 0, v0
	v_readfirstlane_b32 s16, v1
	v_readfirstlane_b32 s14, v2
	v_mov_b32_e32 v2, v3
	s_and_b32 vcc_lo, exec_lo, s0
	s_cbranch_vccnz .LBB67_6
; %bb.5:                                ;   in Loop: Header=BB67_4 Depth=1
	s_sub_co_i32 s1, s14, s16
	s_delay_alu instid0(SALU_CYCLE_1)
	v_add_nc_u32_e32 v2, s1, v3
	global_store_b32 v9, v2, s[10:11] offset:12
.LBB67_6:                               ;   in Loop: Header=BB67_4 Depth=1
	s_cmp_le_i32 s14, s16
	s_cbranch_scc1 .LBB67_16
; %bb.7:                                ;   in Loop: Header=BB67_4 Depth=1
	s_ashr_i32 s17, s16, 31
	s_delay_alu instid0(SALU_CYCLE_1) | instskip(NEXT) | instid1(SALU_CYCLE_1)
	s_lshl_b64 s[18:19], s[16:17], 3
	s_add_nc_u64 s[18:19], s[4:5], s[18:19]
	s_branch .LBB67_9
.LBB67_8:                               ;   in Loop: Header=BB67_9 Depth=2
	s_add_co_i32 s16, s16, 1
	global_store_b64 v9, v[6:7], s[18:19]
	s_cmp_ge_i32 s16, s14
	s_wait_xcnt 0x0
	s_add_nc_u64 s[18:19], s[18:19], 8
	s_cselect_b32 s1, -1, 0
	s_mov_b32 s22, s14
	s_and_not1_b32 vcc_lo, exec_lo, s1
	s_cbranch_vccz .LBB67_11
.LBB67_9:                               ;   Parent Loop BB67_4 Depth=1
                                        ; =>  This Inner Loop Header: Depth=2
	global_load_b64 v[0:1], v9, s[18:19]
	s_wait_loadcnt 0x0
	v_cmp_nlt_f64_e64 s1, |v[0:1]|, s[12:13]
	s_and_b32 vcc_lo, exec_lo, s1
	s_mov_b32 s1, -1
	s_cbranch_vccz .LBB67_8
; %bb.10:                               ;   in Loop: Header=BB67_9 Depth=2
	s_mov_b32 s22, s16
                                        ; implicit-def: $sgpr16
                                        ; implicit-def: $sgpr18_sgpr19
	s_and_not1_b32 vcc_lo, exec_lo, s1
	s_cbranch_vccnz .LBB67_9
.LBB67_11:                              ;   in Loop: Header=BB67_4 Depth=1
	s_cmp_le_i32 s14, s22
	s_cbranch_scc1 .LBB67_17
.LBB67_12:                              ;   in Loop: Header=BB67_4 Depth=1
	s_ashr_i32 s15, s14, 31
	s_delay_alu instid0(SALU_CYCLE_1) | instskip(NEXT) | instid1(SALU_CYCLE_1)
	s_lshl_b64 s[16:17], s[14:15], 3
	s_add_nc_u64 s[16:17], s[8:9], s[16:17]
	s_branch .LBB67_14
.LBB67_13:                              ;   in Loop: Header=BB67_14 Depth=2
	s_add_co_i32 s14, s14, -1
	global_store_b64 v9, v[6:7], s[16:17]
	s_cmp_le_i32 s14, s22
	s_wait_xcnt 0x0
	s_add_nc_u64 s[16:17], s[16:17], -8
	s_cselect_b32 s1, -1, 0
	s_mov_b32 s15, s22
	s_and_not1_b32 vcc_lo, exec_lo, s1
	s_cbranch_vccz .LBB67_18
.LBB67_14:                              ;   Parent Loop BB67_4 Depth=1
                                        ; =>  This Inner Loop Header: Depth=2
	global_load_b64 v[0:1], v9, s[16:17]
	s_wait_loadcnt 0x0
	v_cmp_nlt_f64_e64 s1, |v[0:1]|, s[12:13]
	s_and_b32 vcc_lo, exec_lo, s1
	s_mov_b32 s1, -1
	s_cbranch_vccz .LBB67_13
; %bb.15:                               ;   in Loop: Header=BB67_14 Depth=2
	s_mov_b32 s15, s14
                                        ; implicit-def: $sgpr14
                                        ; implicit-def: $sgpr16_sgpr17
	s_and_not1_b32 vcc_lo, exec_lo, s1
	s_cbranch_vccnz .LBB67_14
	s_branch .LBB67_18
.LBB67_16:                              ;   in Loop: Header=BB67_4 Depth=1
	s_mov_b32 s22, s16
	s_delay_alu instid0(SALU_CYCLE_1)
	s_cmp_le_i32 s14, s22
	s_cbranch_scc0 .LBB67_12
.LBB67_17:                              ;   in Loop: Header=BB67_4 Depth=1
	s_mov_b32 s15, s14
.LBB67_18:                              ;   in Loop: Header=BB67_4 Depth=1
	s_delay_alu instid0(SALU_CYCLE_1) | instskip(SKIP_1) | instid1(SALU_CYCLE_1)
	s_cmp_lt_i32 s22, s15
	s_cselect_b32 s1, -1, 0
	s_and_b32 s0, s0, s1
	s_delay_alu instid0(SALU_CYCLE_1)
	s_and_not1_b32 vcc_lo, exec_lo, s0
	s_mov_b32 s0, s22
	s_cbranch_vccz .LBB67_20
	s_branch .LBB67_3
.LBB67_19:                              ;   in Loop: Header=BB67_20 Depth=2
	s_mov_b32 s0, s1
	s_delay_alu instid0(SALU_CYCLE_1)
	s_cmp_lt_i32 s0, s15
	s_cbranch_scc0 .LBB67_3
.LBB67_20:                              ;   Parent Loop BB67_4 Depth=1
                                        ; =>  This Inner Loop Header: Depth=2
	s_wait_xcnt 0x0
	v_mov_b32_e32 v0, s0
	s_mov_b32 s14, -1
	global_load_b64 v[0:1], v0, s[4:5] scale_offset
	s_wait_loadcnt 0x0
	v_cmp_lt_f64_e64 s1, |v[0:1]|, s[12:13]
	s_and_b32 vcc_lo, exec_lo, s1
                                        ; implicit-def: $sgpr1
	s_cbranch_vccnz .LBB67_22
; %bb.21:                               ;   in Loop: Header=BB67_20 Depth=2
	s_add_co_i32 s1, s0, 1
	s_mov_b32 s14, 0
.LBB67_22:                              ;   in Loop: Header=BB67_20 Depth=2
	s_delay_alu instid0(SALU_CYCLE_1)
	s_and_not1_b32 vcc_lo, exec_lo, s14
	s_cbranch_vccnz .LBB67_19
; %bb.23:                               ;   in Loop: Header=BB67_20 Depth=2
	s_ashr_i32 s1, s0, 31
	s_wait_xcnt 0x1
	s_lshl_b64 s[16:17], s[0:1], 3
	s_cmp_ge_i32 s22, s0
	s_add_nc_u64 s[16:17], s[4:5], s[16:17]
	global_store_b64 v9, v[6:7], s[16:17]
	s_cbranch_scc1 .LBB67_27
; %bb.24:                               ;   in Loop: Header=BB67_20 Depth=2
	s_mov_b32 s14, exec_lo
                                        ; implicit-def: $vgpr0_vgpr1
	s_delay_alu instid0(SALU_CYCLE_1) | instskip(NEXT) | instid1(VALU_DEP_1)
	v_mbcnt_lo_u32_b32 v3, s14, 0
	v_cmp_eq_u32_e32 vcc_lo, 0, v3
	s_wait_xcnt 0x0
	s_and_saveexec_b32 s1, vcc_lo
	s_cbranch_execz .LBB67_26
; %bb.25:                               ;   in Loop: Header=BB67_20 Depth=2
	s_bcnt1_i32_b32 s14, s14
	s_delay_alu instid0(SALU_CYCLE_1)
	v_cvt_f64_u32_e32 v[0:1], s14
	global_atomic_add_f64 v[0:1], v9, v[0:1], s[2:3] offset:24 th:TH_ATOMIC_RETURN scope:SCOPE_DEV
.LBB67_26:                              ;   in Loop: Header=BB67_20 Depth=2
	s_wait_xcnt 0x0
	s_or_b32 exec_lo, exec_lo, s1
	v_cvt_f64_u32_e32 v[10:11], v3
	s_wait_loadcnt 0x0
	v_readfirstlane_b32 s17, v1
	v_readfirstlane_b32 s16, v0
	s_delay_alu instid0(VALU_DEP_1) | instskip(NEXT) | instid1(VALU_DEP_1)
	v_add_f64_e32 v[0:1], s[16:17], v[10:11]
	v_cndmask_b32_e64 v1, v1, s17, vcc_lo
	s_delay_alu instid0(VALU_DEP_2) | instskip(NEXT) | instid1(VALU_DEP_1)
	v_cndmask_b32_e64 v0, v0, s16, vcc_lo
	v_add_f64_e32 v[0:1], v[0:1], v[4:5]
	s_delay_alu instid0(VALU_DEP_1) | instskip(NEXT) | instid1(VALU_DEP_1)
	v_cvt_i32_f64_e32 v0, v[0:1]
	v_dual_mov_b32 v1, s0 :: v_dual_lshlrev_b32 v10, 2, v0
	s_delay_alu instid0(VALU_DEP_1) | instskip(NEXT) | instid1(VALU_DEP_1)
	v_dual_mov_b32 v0, s22 :: v_dual_ashrrev_i32 v11, 31, v10
	v_lshl_add_u64 v[10:11], v[10:11], 2, s[6:7]
	global_store_b96 v[10:11], v[0:2], off offset:4
.LBB67_27:                              ;   in Loop: Header=BB67_20 Depth=2
	s_add_co_i32 s0, s0, 1
	s_delay_alu instid0(SALU_CYCLE_1)
	s_mov_b32 s22, s0
	s_cmp_lt_i32 s0, s15
	s_cbranch_scc1 .LBB67_20
	s_branch .LBB67_3
.LBB67_28:
	s_endpgm
	.section	.rodata,"a",@progbits
	.p2align	6, 0x0
	.amdhsa_kernel _ZN9rocsolver6v33100L22bdsqr_update_endpointsIddEEviPT0_lPiS3_lS4_
		.amdhsa_group_segment_fixed_size 0
		.amdhsa_private_segment_fixed_size 0
		.amdhsa_kernarg_size 312
		.amdhsa_user_sgpr_count 2
		.amdhsa_user_sgpr_dispatch_ptr 0
		.amdhsa_user_sgpr_queue_ptr 0
		.amdhsa_user_sgpr_kernarg_segment_ptr 1
		.amdhsa_user_sgpr_dispatch_id 0
		.amdhsa_user_sgpr_kernarg_preload_length 0
		.amdhsa_user_sgpr_kernarg_preload_offset 0
		.amdhsa_user_sgpr_private_segment_size 0
		.amdhsa_wavefront_size32 1
		.amdhsa_uses_dynamic_stack 0
		.amdhsa_enable_private_segment 0
		.amdhsa_system_sgpr_workgroup_id_x 1
		.amdhsa_system_sgpr_workgroup_id_y 1
		.amdhsa_system_sgpr_workgroup_id_z 1
		.amdhsa_system_sgpr_workgroup_info 0
		.amdhsa_system_vgpr_workitem_id 0
		.amdhsa_next_free_vgpr 12
		.amdhsa_next_free_sgpr 23
		.amdhsa_named_barrier_count 0
		.amdhsa_reserve_vcc 1
		.amdhsa_float_round_mode_32 0
		.amdhsa_float_round_mode_16_64 0
		.amdhsa_float_denorm_mode_32 3
		.amdhsa_float_denorm_mode_16_64 3
		.amdhsa_fp16_overflow 0
		.amdhsa_memory_ordered 1
		.amdhsa_forward_progress 1
		.amdhsa_inst_pref_size 8
		.amdhsa_round_robin_scheduling 0
		.amdhsa_exception_fp_ieee_invalid_op 0
		.amdhsa_exception_fp_denorm_src 0
		.amdhsa_exception_fp_ieee_div_zero 0
		.amdhsa_exception_fp_ieee_overflow 0
		.amdhsa_exception_fp_ieee_underflow 0
		.amdhsa_exception_fp_ieee_inexact 0
		.amdhsa_exception_int_div_zero 0
	.end_amdhsa_kernel
	.section	.text._ZN9rocsolver6v33100L22bdsqr_update_endpointsIddEEviPT0_lPiS3_lS4_,"axG",@progbits,_ZN9rocsolver6v33100L22bdsqr_update_endpointsIddEEviPT0_lPiS3_lS4_,comdat
.Lfunc_end67:
	.size	_ZN9rocsolver6v33100L22bdsqr_update_endpointsIddEEviPT0_lPiS3_lS4_, .Lfunc_end67-_ZN9rocsolver6v33100L22bdsqr_update_endpointsIddEEviPT0_lPiS3_lS4_
                                        ; -- End function
	.set _ZN9rocsolver6v33100L22bdsqr_update_endpointsIddEEviPT0_lPiS3_lS4_.num_vgpr, 12
	.set _ZN9rocsolver6v33100L22bdsqr_update_endpointsIddEEviPT0_lPiS3_lS4_.num_agpr, 0
	.set _ZN9rocsolver6v33100L22bdsqr_update_endpointsIddEEviPT0_lPiS3_lS4_.numbered_sgpr, 23
	.set _ZN9rocsolver6v33100L22bdsqr_update_endpointsIddEEviPT0_lPiS3_lS4_.num_named_barrier, 0
	.set _ZN9rocsolver6v33100L22bdsqr_update_endpointsIddEEviPT0_lPiS3_lS4_.private_seg_size, 0
	.set _ZN9rocsolver6v33100L22bdsqr_update_endpointsIddEEviPT0_lPiS3_lS4_.uses_vcc, 1
	.set _ZN9rocsolver6v33100L22bdsqr_update_endpointsIddEEviPT0_lPiS3_lS4_.uses_flat_scratch, 0
	.set _ZN9rocsolver6v33100L22bdsqr_update_endpointsIddEEviPT0_lPiS3_lS4_.has_dyn_sized_stack, 0
	.set _ZN9rocsolver6v33100L22bdsqr_update_endpointsIddEEviPT0_lPiS3_lS4_.has_recursion, 0
	.set _ZN9rocsolver6v33100L22bdsqr_update_endpointsIddEEviPT0_lPiS3_lS4_.has_indirect_call, 0
	.section	.AMDGPU.csdata,"",@progbits
; Kernel info:
; codeLenInByte = 1000
; TotalNumSgprs: 25
; NumVgprs: 12
; ScratchSize: 0
; MemoryBound: 0
; FloatMode: 240
; IeeeMode: 1
; LDSByteSize: 0 bytes/workgroup (compile time only)
; SGPRBlocks: 0
; VGPRBlocks: 0
; NumSGPRsForWavesPerEU: 25
; NumVGPRsForWavesPerEU: 12
; NamedBarCnt: 0
; Occupancy: 16
; WaveLimiterHint : 1
; COMPUTE_PGM_RSRC2:SCRATCH_EN: 0
; COMPUTE_PGM_RSRC2:USER_SGPR: 2
; COMPUTE_PGM_RSRC2:TRAP_HANDLER: 0
; COMPUTE_PGM_RSRC2:TGID_X_EN: 1
; COMPUTE_PGM_RSRC2:TGID_Y_EN: 1
; COMPUTE_PGM_RSRC2:TGID_Z_EN: 1
; COMPUTE_PGM_RSRC2:TIDIG_COMP_CNT: 0
	.section	.text._ZN9rocsolver6v33100L19bdsqr_chk_completedIddEEviiPiPT0_lS2_,"axG",@progbits,_ZN9rocsolver6v33100L19bdsqr_chk_completedIddEEviiPiPT0_lS2_,comdat
	.globl	_ZN9rocsolver6v33100L19bdsqr_chk_completedIddEEviiPiPT0_lS2_ ; -- Begin function _ZN9rocsolver6v33100L19bdsqr_chk_completedIddEEviiPiPT0_lS2_
	.p2align	8
	.type	_ZN9rocsolver6v33100L19bdsqr_chk_completedIddEEviiPiPT0_lS2_,@function
_ZN9rocsolver6v33100L19bdsqr_chk_completedIddEEviiPiPT0_lS2_: ; @_ZN9rocsolver6v33100L19bdsqr_chk_completedIddEEviiPiPT0_lS2_
; %bb.0:
	s_load_b256 s[4:11], s[0:1], 0x8
	s_bfe_u32 s2, ttmp6, 0x40010
	s_bfe_u32 s3, ttmp6, 0x40004
	s_add_co_i32 s2, s2, 1
	s_getreg_b32 s12, hwreg(HW_REG_IB_STS2, 6, 4)
	s_mul_i32 s2, ttmp7, s2
	s_delay_alu instid0(SALU_CYCLE_1) | instskip(SKIP_2) | instid1(SALU_CYCLE_1)
	s_add_co_i32 s3, s3, s2
	s_cmp_eq_u32 s12, 0
	s_cselect_b32 s12, ttmp7, s3
	s_ashr_i32 s13, s12, 31
	s_delay_alu instid0(SALU_CYCLE_1)
	s_lshl_b64 s[2:3], s[12:13], 2
	s_wait_kmcnt 0x0
	s_add_nc_u64 s[2:3], s[10:11], s[2:3]
	s_load_b32 s14, s[2:3], 0x8
	s_wait_kmcnt 0x0
	s_cmp_lg_u32 s14, 0
	s_cbranch_scc0 .LBB68_2
.LBB68_1:
	s_endpgm
.LBB68_2:
	s_mul_u64 s[8:9], s[8:9], s[12:13]
	v_mov_b32_e32 v2, 0
	s_lshl_b64 s[8:9], s[8:9], 3
	s_delay_alu instid0(SALU_CYCLE_1)
	s_add_nc_u64 s[8:9], s[6:7], s[8:9]
	s_load_b32 s6, s[10:11], 0x4
	s_load_b128 s[16:19], s[8:9], 0x10
	v_mov_b32_e32 v3, v2
	s_wait_kmcnt 0x0
	v_add_f64_e64 v[0:1], s[16:17], s[18:19]
	s_delay_alu instid0(VALU_DEP_1) | instskip(NEXT) | instid1(VALU_DEP_1)
	v_cvt_i32_f64_e32 v4, v[0:1]
	v_cvt_f64_i32_e32 v[0:1], v4
	v_cmp_ge_i32_e32 vcc_lo, s6, v4
	global_store_b128 v2, v[0:3], s[8:9] offset:16
	s_cbranch_vccnz .LBB68_6
; %bb.3:
	v_mov_b32_e32 v5, s6
	s_mov_b32 s6, 0
.LBB68_4:                               ; =>This Inner Loop Header: Depth=1
	s_wait_xcnt 0x0
	global_atomic_cmpswap_b32 v5, v2, v[4:5], s[10:11] offset:4 th:TH_ATOMIC_RETURN scope:SCOPE_DEV
	s_wait_loadcnt 0x0
	v_cmp_ge_i32_e32 vcc_lo, v5, v4
	s_or_b32 s6, vcc_lo, s6
	s_wait_xcnt 0x0
	s_and_not1_b32 exec_lo, exec_lo, s6
	s_cbranch_execnz .LBB68_4
; %bb.5:
	s_or_b32 exec_lo, exec_lo, s6
.LBB68_6:
	v_cmp_gt_i32_e32 vcc_lo, 1, v4
	s_cbranch_vccnz .LBB68_14
; %bb.7:
	s_load_b64 s[0:1], s[0:1], 0x0
	v_mov_b32_e32 v0, 0
	s_wait_kmcnt 0x0
	s_mul_i32 s0, s12, s0
	s_delay_alu instid0(SALU_CYCLE_1) | instskip(NEXT) | instid1(SALU_CYCLE_1)
	s_lshl_b32 s6, s0, 1
	s_ashr_i32 s7, s6, 31
	s_delay_alu instid0(SALU_CYCLE_1) | instskip(NEXT) | instid1(SALU_CYCLE_1)
	s_lshl_b64 s[6:7], s[6:7], 2
	s_add_nc_u64 s[4:5], s[4:5], s[6:7]
	s_delay_alu instid0(SALU_CYCLE_1)
	s_add_nc_u64 s[4:5], s[4:5], 12
	s_branch .LBB68_9
.LBB68_8:                               ;   in Loop: Header=BB68_9 Depth=1
	v_add_nc_u32_e32 v4, -1, v4
	s_wait_xcnt 0x0
	s_add_nc_u64 s[4:5], s[4:5], 16
	s_mov_b32 s0, 0
	s_delay_alu instid0(VALU_DEP_1)
	v_cmp_eq_u32_e64 s6, 0, v4
	s_and_not1_b32 vcc_lo, exec_lo, s6
	s_cbranch_vccz .LBB68_13
.LBB68_9:                               ; =>This Inner Loop Header: Depth=1
	global_load_b64 v[2:3], v0, s[4:5] offset:-8
	s_mov_b32 s0, -1
	s_wait_loadcnt 0x0
	v_cmp_ge_i32_e32 vcc_lo, v2, v3
	s_cbranch_vccnz .LBB68_11
; %bb.10:                               ;   in Loop: Header=BB68_9 Depth=1
	global_load_b32 v1, v0, s[4:5]
	s_wait_loadcnt 0x0
	v_cmp_le_i32_e64 s0, s1, v1
.LBB68_11:                              ;   in Loop: Header=BB68_9 Depth=1
	s_delay_alu instid0(VALU_DEP_1)
	s_and_not1_b32 vcc_lo, exec_lo, s0
	s_cbranch_vccz .LBB68_8
; %bb.12:
	s_mov_b32 s0, -1
                                        ; implicit-def: $vgpr4
                                        ; implicit-def: $sgpr4_sgpr5
.LBB68_13:
	s_delay_alu instid0(SALU_CYCLE_1) | instskip(NEXT) | instid1(SALU_CYCLE_1)
	s_xor_b32 s0, s0, -1
	s_and_b32 vcc_lo, exec_lo, s0
	s_cbranch_vccz .LBB68_1
	s_branch .LBB68_15
.LBB68_14:
	s_cbranch_execz .LBB68_1
.LBB68_15:
	s_mov_b32 s0, exec_lo
	s_wait_xcnt 0x0
	v_dual_mov_b32 v0, 0 :: v_dual_mov_b32 v2, 1
	v_mbcnt_lo_u32_b32 v1, s0, 0
	s_mov_b32 s1, exec_lo
	global_store_b32 v0, v2, s[2:3] offset:8
	s_wait_xcnt 0x0
	v_cmpx_eq_u32_e32 0, v1
	s_cbranch_execz .LBB68_1
; %bb.16:
	s_bcnt1_i32_b32 s0, s0
	s_delay_alu instid0(SALU_CYCLE_1)
	v_mov_b32_e32 v1, s0
	global_atomic_add_u32 v0, v1, s[10:11] scope:SCOPE_DEV
	s_endpgm
	.section	.rodata,"a",@progbits
	.p2align	6, 0x0
	.amdhsa_kernel _ZN9rocsolver6v33100L19bdsqr_chk_completedIddEEviiPiPT0_lS2_
		.amdhsa_group_segment_fixed_size 0
		.amdhsa_private_segment_fixed_size 0
		.amdhsa_kernarg_size 40
		.amdhsa_user_sgpr_count 2
		.amdhsa_user_sgpr_dispatch_ptr 0
		.amdhsa_user_sgpr_queue_ptr 0
		.amdhsa_user_sgpr_kernarg_segment_ptr 1
		.amdhsa_user_sgpr_dispatch_id 0
		.amdhsa_user_sgpr_kernarg_preload_length 0
		.amdhsa_user_sgpr_kernarg_preload_offset 0
		.amdhsa_user_sgpr_private_segment_size 0
		.amdhsa_wavefront_size32 1
		.amdhsa_uses_dynamic_stack 0
		.amdhsa_enable_private_segment 0
		.amdhsa_system_sgpr_workgroup_id_x 1
		.amdhsa_system_sgpr_workgroup_id_y 1
		.amdhsa_system_sgpr_workgroup_id_z 0
		.amdhsa_system_sgpr_workgroup_info 0
		.amdhsa_system_vgpr_workitem_id 0
		.amdhsa_next_free_vgpr 6
		.amdhsa_next_free_sgpr 20
		.amdhsa_named_barrier_count 0
		.amdhsa_reserve_vcc 1
		.amdhsa_float_round_mode_32 0
		.amdhsa_float_round_mode_16_64 0
		.amdhsa_float_denorm_mode_32 3
		.amdhsa_float_denorm_mode_16_64 3
		.amdhsa_fp16_overflow 0
		.amdhsa_memory_ordered 1
		.amdhsa_forward_progress 1
		.amdhsa_inst_pref_size 4
		.amdhsa_round_robin_scheduling 0
		.amdhsa_exception_fp_ieee_invalid_op 0
		.amdhsa_exception_fp_denorm_src 0
		.amdhsa_exception_fp_ieee_div_zero 0
		.amdhsa_exception_fp_ieee_overflow 0
		.amdhsa_exception_fp_ieee_underflow 0
		.amdhsa_exception_fp_ieee_inexact 0
		.amdhsa_exception_int_div_zero 0
	.end_amdhsa_kernel
	.section	.text._ZN9rocsolver6v33100L19bdsqr_chk_completedIddEEviiPiPT0_lS2_,"axG",@progbits,_ZN9rocsolver6v33100L19bdsqr_chk_completedIddEEviiPiPT0_lS2_,comdat
.Lfunc_end68:
	.size	_ZN9rocsolver6v33100L19bdsqr_chk_completedIddEEviiPiPT0_lS2_, .Lfunc_end68-_ZN9rocsolver6v33100L19bdsqr_chk_completedIddEEviiPiPT0_lS2_
                                        ; -- End function
	.set _ZN9rocsolver6v33100L19bdsqr_chk_completedIddEEviiPiPT0_lS2_.num_vgpr, 6
	.set _ZN9rocsolver6v33100L19bdsqr_chk_completedIddEEviiPiPT0_lS2_.num_agpr, 0
	.set _ZN9rocsolver6v33100L19bdsqr_chk_completedIddEEviiPiPT0_lS2_.numbered_sgpr, 20
	.set _ZN9rocsolver6v33100L19bdsqr_chk_completedIddEEviiPiPT0_lS2_.num_named_barrier, 0
	.set _ZN9rocsolver6v33100L19bdsqr_chk_completedIddEEviiPiPT0_lS2_.private_seg_size, 0
	.set _ZN9rocsolver6v33100L19bdsqr_chk_completedIddEEviiPiPT0_lS2_.uses_vcc, 1
	.set _ZN9rocsolver6v33100L19bdsqr_chk_completedIddEEviiPiPT0_lS2_.uses_flat_scratch, 0
	.set _ZN9rocsolver6v33100L19bdsqr_chk_completedIddEEviiPiPT0_lS2_.has_dyn_sized_stack, 0
	.set _ZN9rocsolver6v33100L19bdsqr_chk_completedIddEEviiPiPT0_lS2_.has_recursion, 0
	.set _ZN9rocsolver6v33100L19bdsqr_chk_completedIddEEviiPiPT0_lS2_.has_indirect_call, 0
	.section	.AMDGPU.csdata,"",@progbits
; Kernel info:
; codeLenInByte = 508
; TotalNumSgprs: 22
; NumVgprs: 6
; ScratchSize: 0
; MemoryBound: 0
; FloatMode: 240
; IeeeMode: 1
; LDSByteSize: 0 bytes/workgroup (compile time only)
; SGPRBlocks: 0
; VGPRBlocks: 0
; NumSGPRsForWavesPerEU: 22
; NumVGPRsForWavesPerEU: 6
; NamedBarCnt: 0
; Occupancy: 16
; WaveLimiterHint : 0
; COMPUTE_PGM_RSRC2:SCRATCH_EN: 0
; COMPUTE_PGM_RSRC2:USER_SGPR: 2
; COMPUTE_PGM_RSRC2:TRAP_HANDLER: 0
; COMPUTE_PGM_RSRC2:TGID_X_EN: 1
; COMPUTE_PGM_RSRC2:TGID_Y_EN: 1
; COMPUTE_PGM_RSRC2:TGID_Z_EN: 0
; COMPUTE_PGM_RSRC2:TIDIG_COMP_CNT: 0
	.section	.text._ZN9rocsolver6v33100L14bdsqr_finalizeIddPdS2_S2_EEviiiiPT0_lS4_lT1_iilT2_iilT3_iilPiS8_S8_,"axG",@progbits,_ZN9rocsolver6v33100L14bdsqr_finalizeIddPdS2_S2_EEviiiiPT0_lS4_lT1_iilT2_iilT3_iilPiS8_S8_,comdat
	.globl	_ZN9rocsolver6v33100L14bdsqr_finalizeIddPdS2_S2_EEviiiiPT0_lS4_lT1_iilT2_iilT3_iilPiS8_S8_ ; -- Begin function _ZN9rocsolver6v33100L14bdsqr_finalizeIddPdS2_S2_EEviiiiPT0_lS4_lT1_iilT2_iilT3_iilPiS8_S8_
	.p2align	8
	.type	_ZN9rocsolver6v33100L14bdsqr_finalizeIddPdS2_S2_EEviiiiPT0_lS4_lT1_iilT2_iilT3_iilPiS8_S8_,@function
_ZN9rocsolver6v33100L14bdsqr_finalizeIddPdS2_S2_EEviiiiPT0_lS4_lT1_iilT2_iilT3_iilPiS8_S8_: ; @_ZN9rocsolver6v33100L14bdsqr_finalizeIddPdS2_S2_EEviiiiPT0_lS4_lT1_iilT2_iilT3_iilPiS8_S8_
; %bb.0:
	s_load_b256 s[36:43], s[0:1], 0x70
	s_bfe_u32 s2, ttmp6, 0x40010
	s_bfe_u32 s3, ttmp6, 0x40004
	s_add_co_i32 s2, s2, 1
	s_getreg_b32 s4, hwreg(HW_REG_IB_STS2, 6, 4)
	s_mul_i32 s2, ttmp7, s2
	s_mov_b32 s32, 0
	s_add_co_i32 s3, s3, s2
	s_cmp_eq_u32 s4, 0
	s_cselect_b32 s8, ttmp7, s3
	s_delay_alu instid0(SALU_CYCLE_1) | instskip(NEXT) | instid1(SALU_CYCLE_1)
	s_ashr_i32 s9, s8, 31
	s_lshl_b64 s[22:23], s[8:9], 2
	s_wait_kmcnt 0x0
	s_add_nc_u64 s[2:3], s[42:43], s[22:23]
	s_load_b32 s2, s[2:3], 0x8
	s_wait_kmcnt 0x0
	s_cmp_gt_i32 s2, 1
	s_cbranch_scc1 .LBB69_311
; %bb.1:
	s_clause 0x2
	s_load_b64 s[2:3], s[0:1], 0x9c
	s_load_b256 s[44:51], s[0:1], 0x30
	s_load_b256 s[52:59], s[0:1], 0x10
	s_mov_b64 s[28:29], 0
	s_mov_b64 s[34:35], 0
	s_wait_kmcnt 0x0
	s_and_b32 s3, s3, 0xffff
	s_cmp_eq_u64 s[44:45], 0
	s_cbranch_scc1 .LBB69_3
; %bb.2:
	s_mul_u64 s[4:5], s[48:49], s[8:9]
	s_ashr_i32 s7, s46, 31
	s_lshl_b64 s[4:5], s[4:5], 3
	s_mov_b32 s6, s46
	s_add_nc_u64 s[4:5], s[44:45], s[4:5]
	s_lshl_b64 s[6:7], s[6:7], 3
	s_delay_alu instid0(SALU_CYCLE_1)
	s_add_nc_u64 s[34:35], s[4:5], s[6:7]
.LBB69_3:
	s_clause 0x1
	s_load_b64 s[42:43], s[0:1], 0x50
	s_load_b128 s[4:7], s[0:1], 0x58
	s_cmp_eq_u64 s[50:51], 0
	s_cbranch_scc1 .LBB69_5
; %bb.4:
	s_wait_kmcnt 0x0
	s_mul_u64 s[4:5], s[4:5], s[8:9]
	s_ashr_i32 s11, s42, 31
	s_lshl_b64 s[4:5], s[4:5], 3
	s_mov_b32 s10, s42
	s_add_nc_u64 s[4:5], s[50:51], s[4:5]
	s_lshl_b64 s[10:11], s[10:11], 3
	s_delay_alu instid0(SALU_CYCLE_1)
	s_add_nc_u64 s[28:29], s[4:5], s[10:11]
.LBB69_5:
	s_load_b64 s[48:49], s[0:1], 0x68
	s_wait_kmcnt 0x0
	s_cmp_eq_u64 s[6:7], 0
	s_mov_b64 s[44:45], 0
	s_cbranch_scc1 .LBB69_7
; %bb.6:
	s_mul_u64 s[4:5], s[36:37], s[8:9]
	s_ashr_i32 s11, s48, 31
	s_lshl_b64 s[4:5], s[4:5], 3
	s_mov_b32 s10, s48
	s_add_nc_u64 s[4:5], s[6:7], s[4:5]
	s_lshl_b64 s[6:7], s[10:11], 3
	s_delay_alu instid0(SALU_CYCLE_1)
	s_add_nc_u64 s[44:45], s[4:5], s[6:7]
.LBB69_7:
	v_and_b32_e32 v42, 0x3ff, v0
	v_bfe_u32 v43, v0, 10, 10
	s_and_b32 s21, s2, 0xffff
	s_load_b128 s[24:27], s[0:1], 0x0
	v_bfe_u32 v44, v0, 20, 10
	s_lshr_b32 s2, s2, 16
	v_mad_u32_u24 v1, v43, s21, v42
	s_mul_i32 s46, s2, s21
	s_mul_u64 s[4:5], s[54:55], s[8:9]
	s_and_b32 s3, s3, 0xffff
	s_lshl_b64 s[50:51], s[4:5], 3
	v_mad_u32 v41, s46, v44, v1
	s_add_nc_u64 s[36:37], s[52:53], s[50:51]
	s_mul_i32 s46, s46, s3
	s_delay_alu instid0(VALU_DEP_1)
	v_cmp_eq_u32_e64 s2, 0, v41
	s_wait_kmcnt 0x0
	s_cmp_lt_i32 s24, 1
	s_cbranch_scc1 .LBB69_22
; %bb.8:
	s_mul_u64 s[4:5], s[58:59], s[8:9]
	s_add_co_i32 s9, s24, -1
	s_lshl_b64 s[4:5], s[4:5], 3
	v_cmp_gt_u32_e64 s3, s25, v41
	v_mov_b32_e32 v1, 0
	s_cmp_lg_u32 s25, 0
	s_mov_b32 s7, 0
	s_add_nc_u64 s[4:5], s[56:57], s[4:5]
	s_cselect_b32 s16, -1, 0
	s_ashr_i32 s11, s47, 31
	s_mov_b32 s10, s47
	s_mov_b32 s6, s7
	;; [unrolled: 1-line block ×3, first 2 shown]
	s_branch .LBB69_11
.LBB69_9:                               ;   in Loop: Header=BB69_11 Depth=1
	s_wait_xcnt 0x0
	s_or_b32 exec_lo, exec_lo, s14
.LBB69_10:                              ;   in Loop: Header=BB69_11 Depth=1
	s_add_co_i32 s6, s6, 1
	s_delay_alu instid0(SALU_CYCLE_1)
	s_cmp_eq_u32 s6, s24
	s_cbranch_scc1 .LBB69_23
.LBB69_11:                              ; =>This Loop Header: Depth=1
                                        ;     Child Loop BB69_18 Depth 2
	s_cmp_ge_i32 s6, s9
	s_cbranch_scc1 .LBB69_14
; %bb.12:                               ;   in Loop: Header=BB69_11 Depth=1
	s_wait_xcnt 0x0
	s_lshl_b64 s[12:13], s[6:7], 3
	s_delay_alu instid0(SALU_CYCLE_1)
	s_add_nc_u64 s[12:13], s[4:5], s[12:13]
	global_load_b64 v[2:3], v1, s[12:13]
	s_wait_loadcnt 0x0
	v_cmp_eq_f64_e32 vcc_lo, 0, v[2:3]
	s_cbranch_vccnz .LBB69_14
; %bb.13:                               ;   in Loop: Header=BB69_11 Depth=1
	s_add_co_i32 s42, s42, 1
.LBB69_14:                              ;   in Loop: Header=BB69_11 Depth=1
	s_lshl_b64 s[14:15], s[6:7], 3
	s_wait_xcnt 0x0
	s_add_nc_u64 s[12:13], s[36:37], s[14:15]
	global_load_b64 v[2:3], v1, s[12:13]
	s_wait_loadcnt 0x0
	v_cmp_ngt_f64_e32 vcc_lo, 0, v[2:3]
	s_cbranch_vccnz .LBB69_10
; %bb.15:                               ;   in Loop: Header=BB69_11 Depth=1
	s_and_not1_b32 vcc_lo, exec_lo, s16
	s_cbranch_vccnz .LBB69_20
; %bb.16:                               ;   in Loop: Header=BB69_11 Depth=1
	s_wait_xcnt 0x0
	s_and_saveexec_b32 s17, s3
	s_cbranch_execz .LBB69_19
; %bb.17:                               ;   in Loop: Header=BB69_11 Depth=1
	v_mov_b32_e32 v0, v41
	s_add_nc_u64 s[14:15], s[34:35], s[14:15]
	s_mov_b32 s18, 0
.LBB69_18:                              ;   Parent Loop BB69_11 Depth=1
                                        ; =>  This Inner Loop Header: Depth=2
	s_delay_alu instid0(VALU_DEP_1) | instskip(SKIP_1) | instid1(VALU_DEP_1)
	v_mul_u64_e32 v[2:3], s[10:11], v[0:1]
	v_add_nc_u32_e32 v0, s46, v0
	v_cmp_le_u32_e32 vcc_lo, s25, v0
	s_or_b32 s18, vcc_lo, s18
	s_delay_alu instid0(VALU_DEP_3)
	v_lshl_add_u64 v[2:3], v[2:3], 3, s[14:15]
	global_load_b64 v[4:5], v[2:3], off
	s_wait_loadcnt 0x0
	v_xor_b32_e32 v5, 0x80000000, v5
	global_store_b64 v[2:3], v[4:5], off
	s_wait_xcnt 0x0
	s_and_not1_b32 exec_lo, exec_lo, s18
	s_cbranch_execnz .LBB69_18
.LBB69_19:                              ;   in Loop: Header=BB69_11 Depth=1
	s_or_b32 exec_lo, exec_lo, s17
	s_wait_storecnt 0x0
	s_barrier_signal -1
	s_barrier_wait -1
.LBB69_20:                              ;   in Loop: Header=BB69_11 Depth=1
	s_wait_xcnt 0x0
	s_and_saveexec_b32 s14, s2
	s_cbranch_execz .LBB69_9
; %bb.21:                               ;   in Loop: Header=BB69_11 Depth=1
	global_load_b64 v[2:3], v1, s[12:13]
	s_wait_loadcnt 0x0
	v_xor_b32_e32 v3, 0x80000000, v3
	global_store_b64 v1, v[2:3], s[12:13]
	s_branch .LBB69_9
.LBB69_22:
	s_mov_b32 s42, 0
.LBB69_23:
	s_delay_alu instid0(SALU_CYCLE_1)
	s_cmp_lt_i32 s42, 1
	s_mov_b32 s2, -1
	s_cbranch_scc0 .LBB69_308
; %bb.24:
	s_mul_i32 s2, s8, s24
	s_mov_b32 s54, 0
	s_lshl_b32 s2, s2, 1
	s_wait_storecnt 0x0
	s_ashr_i32 s3, s2, 31
	s_barrier_signal -1
	s_lshl_b64 s[2:3], s[2:3], 2
	s_cmp_lg_u64 s[40:41], 0
	s_add_nc_u64 s[2:3], s[40:41], s[2:3]
	s_barrier_wait -1
	s_cselect_b32 s41, s3, 0
	s_cselect_b32 s40, s2, 0
	s_delay_alu instid0(SALU_CYCLE_1)
	s_cmp_lg_u64 s[40:41], 0
	s_cbranch_scc0 .LBB69_43
; %bb.25:
	s_or_b32 s2, s26, s25
	s_delay_alu instid0(SALU_CYCLE_1) | instskip(SKIP_4) | instid1(SALU_CYCLE_1)
	s_or_b32 s2, s2, s27
	s_cmp_gt_i32 s24, 0
	s_cselect_b32 s57, -1, 0
	s_cmp_lg_u64 s[52:53], 0
	s_cselect_b32 s3, -1, 0
	s_and_b32 s48, s57, s3
	s_cmp_eq_u32 s2, 0
	s_cbranch_scc1 .LBB69_44
; %bb.26:
	s_mov_b32 s58, -1
	s_mov_b32 s56, 0
	s_and_b32 vcc_lo, exec_lo, s48
	s_cbranch_vccz .LBB69_142
; %bb.27:
	s_mov_b32 s2, exec_lo
	s_barrier_signal -1
	s_barrier_wait -1
	s_wait_xcnt 0x0
	v_cmpx_gt_u32_e64 s24, v41
	s_cbranch_execz .LBB69_30
; %bb.28:
	v_mov_b32_e32 v0, v41
	s_mov_b32 s3, 0
.LBB69_29:                              ; =>This Inner Loop Header: Depth=1
	global_store_b32 v0, v0, s[40:41] scale_offset
	s_wait_xcnt 0x0
	v_add_nc_u32_e32 v0, s46, v0
	s_delay_alu instid0(VALU_DEP_1) | instskip(SKIP_1) | instid1(SALU_CYCLE_1)
	v_cmp_le_u32_e32 vcc_lo, s24, v0
	s_or_b32 s3, vcc_lo, s3
	s_and_not1_b32 exec_lo, exec_lo, s3
	s_cbranch_execnz .LBB69_29
.LBB69_30:
	s_or_b32 exec_lo, exec_lo, s2
	v_or3_b32 v0, v43, v44, v42
	s_mov_b32 s14, exec_lo
	s_wait_storecnt 0x0
	s_barrier_signal -1
	s_barrier_wait -1
	v_cmpx_eq_u32_e32 0, v0
	s_cbranch_execz .LBB69_126
; %bb.31:
	s_cmp_lt_u32 s24, 0x2be
	s_cbranch_scc1 .LBB69_45
; %bb.32:
	v_mov_b32_e32 v4, 0
	s_mov_b64 s[2:3], 0xfffffffffffff50c
	s_mov_b64 s[4:5], 0xffffffffffffea18
	s_add_nc_u64 s[6:7], s[40:41], 0xaf4
	s_movk_i32 s15, 0x2bd
	s_movk_i32 s16, 0x57a
	s_mov_b64 s[8:9], s[36:37]
	s_branch .LBB69_34
.LBB69_33:                              ;   in Loop: Header=BB69_34 Depth=1
	v_mov_b32_e32 v2, s10
	s_add_co_i32 s15, s15, 1
	s_add_co_i32 s16, s16, 1
	s_add_nc_u64 s[6:7], s[6:7], 4
	s_add_nc_u64 s[8:9], s[8:9], 8
	s_cmp_eq_u32 s15, s24
	s_clause 0x1
	global_store_b64 v2, v[0:1], s[36:37] scale_offset
	global_store_b32 v2, v5, s[40:41] scale_offset
	s_cbranch_scc1 .LBB69_45
.LBB69_34:                              ; =>This Loop Header: Depth=1
                                        ;     Child Loop BB69_35 Depth 2
	s_wait_xcnt 0x0
	v_mov_b32_e32 v2, s15
	s_mov_b64 s[10:11], s[8:9]
	s_mov_b64 s[12:13], s[6:7]
	s_mov_b32 s17, s16
	s_clause 0x1
	global_load_b64 v[0:1], v2, s[36:37] scale_offset
	global_load_b32 v5, v2, s[40:41] scale_offset
.LBB69_35:                              ;   Parent Loop BB69_34 Depth=1
                                        ; =>  This Inner Loop Header: Depth=2
	global_load_b64 v[2:3], v4, s[10:11]
	s_mov_b32 s19, -1
	s_mov_b32 s20, -1
                                        ; implicit-def: $sgpr18
	s_wait_loadcnt 0x0
	v_cmp_nlt_f64_e32 vcc_lo, v[2:3], v[0:1]
	s_cbranch_vccnz .LBB69_37
; %bb.36:                               ;   in Loop: Header=BB69_35 Depth=2
	global_load_b32 v6, v4, s[12:13] offset:-2804
	s_add_co_i32 s18, s17, 0xfffffd43
	s_add_nc_u64 s[30:31], s[12:13], s[2:3]
	s_cmp_lt_i32 s18, 0x57a
	global_store_b64 v4, v[2:3], s[10:11] offset:5608
	s_wait_xcnt 0x0
	s_add_nc_u64 s[10:11], s[10:11], s[4:5]
	s_mov_b32 s19, 0
	s_cselect_b32 s20, -1, 0
	s_wait_loadcnt 0x0
	global_store_b32 v4, v6, s[12:13]
	s_wait_xcnt 0x0
	s_mov_b64 s[12:13], s[30:31]
.LBB69_37:                              ;   in Loop: Header=BB69_35 Depth=2
	s_and_not1_b32 vcc_lo, exec_lo, s20
	s_cbranch_vccz .LBB69_39
; %bb.38:                               ;   in Loop: Header=BB69_35 Depth=2
	s_mov_b32 s17, s18
	s_branch .LBB69_35
.LBB69_39:                              ;   in Loop: Header=BB69_34 Depth=1
	s_and_not1_b32 vcc_lo, exec_lo, s19
	s_wait_xcnt 0x0
	s_mov_b32 s11, -1
                                        ; implicit-def: $sgpr10
	s_cbranch_vccz .LBB69_41
; %bb.40:                               ;   in Loop: Header=BB69_34 Depth=1
	s_add_co_i32 s10, s18, 0xfffffd43
	s_mov_b32 s11, 0
.LBB69_41:                              ;   in Loop: Header=BB69_34 Depth=1
	s_delay_alu instid0(SALU_CYCLE_1)
	s_and_not1_b32 vcc_lo, exec_lo, s11
	s_cbranch_vccnz .LBB69_33
; %bb.42:                               ;   in Loop: Header=BB69_34 Depth=1
	s_add_co_i32 s10, s17, 0xfffffd43
	s_branch .LBB69_33
.LBB69_43:
	s_branch .LBB69_284
.LBB69_44:
	s_mov_b32 s56, 0
	s_cbranch_execnz .LBB69_168
	s_branch .LBB69_279
.LBB69_45:
	s_cmp_lt_i32 s24, 0x12e
	s_cbranch_scc1 .LBB69_57
; %bb.46:
	v_mov_b32_e32 v4, 0
	s_mov_b64 s[2:3], 0xfffffffffffffb4c
	s_mov_b64 s[4:5], 0xfffffffffffff698
	s_add_nc_u64 s[6:7], s[40:41], 0x4b4
	s_movk_i32 s15, 0x12d
	s_movk_i32 s16, 0x25a
	s_mov_b64 s[8:9], s[36:37]
	s_branch .LBB69_48
.LBB69_47:                              ;   in Loop: Header=BB69_48 Depth=1
	v_mov_b32_e32 v2, s10
	s_add_co_i32 s15, s15, 1
	s_add_co_i32 s16, s16, 1
	s_add_nc_u64 s[6:7], s[6:7], 4
	s_add_nc_u64 s[8:9], s[8:9], 8
	s_cmp_lg_u32 s15, s24
	s_clause 0x1
	global_store_b64 v2, v[0:1], s[36:37] scale_offset
	global_store_b32 v2, v5, s[40:41] scale_offset
	s_cbranch_scc0 .LBB69_57
.LBB69_48:                              ; =>This Loop Header: Depth=1
                                        ;     Child Loop BB69_49 Depth 2
	s_wait_xcnt 0x0
	v_mov_b32_e32 v2, s15
	s_mov_b64 s[10:11], s[8:9]
	s_mov_b64 s[12:13], s[6:7]
	s_mov_b32 s17, s16
	s_clause 0x1
	global_load_b64 v[0:1], v2, s[36:37] scale_offset
	global_load_b32 v5, v2, s[40:41] scale_offset
.LBB69_49:                              ;   Parent Loop BB69_48 Depth=1
                                        ; =>  This Inner Loop Header: Depth=2
	global_load_b64 v[2:3], v4, s[10:11]
	s_mov_b32 s19, -1
	s_mov_b32 s20, -1
                                        ; implicit-def: $sgpr18
	s_wait_loadcnt 0x0
	v_cmp_nlt_f64_e32 vcc_lo, v[2:3], v[0:1]
	s_cbranch_vccnz .LBB69_51
; %bb.50:                               ;   in Loop: Header=BB69_49 Depth=2
	global_load_b32 v6, v4, s[12:13] offset:-1204
	s_add_co_i32 s18, s17, 0xfffffed3
	s_add_nc_u64 s[30:31], s[12:13], s[2:3]
	s_cmp_lt_i32 s18, 0x25a
	global_store_b64 v4, v[2:3], s[10:11] offset:2408
	s_wait_xcnt 0x0
	s_add_nc_u64 s[10:11], s[10:11], s[4:5]
	s_mov_b32 s19, 0
	s_cselect_b32 s20, -1, 0
	s_wait_loadcnt 0x0
	global_store_b32 v4, v6, s[12:13]
	s_wait_xcnt 0x0
	s_mov_b64 s[12:13], s[30:31]
.LBB69_51:                              ;   in Loop: Header=BB69_49 Depth=2
	s_and_not1_b32 vcc_lo, exec_lo, s20
	s_cbranch_vccz .LBB69_53
; %bb.52:                               ;   in Loop: Header=BB69_49 Depth=2
	s_mov_b32 s17, s18
	s_branch .LBB69_49
.LBB69_53:                              ;   in Loop: Header=BB69_48 Depth=1
	s_and_not1_b32 vcc_lo, exec_lo, s19
	s_wait_xcnt 0x0
	s_mov_b32 s11, -1
                                        ; implicit-def: $sgpr10
	s_cbranch_vccz .LBB69_55
; %bb.54:                               ;   in Loop: Header=BB69_48 Depth=1
	s_add_co_i32 s10, s18, 0xfffffed3
	s_mov_b32 s11, 0
.LBB69_55:                              ;   in Loop: Header=BB69_48 Depth=1
	s_delay_alu instid0(SALU_CYCLE_1)
	s_and_not1_b32 vcc_lo, exec_lo, s11
	s_cbranch_vccnz .LBB69_47
; %bb.56:                               ;   in Loop: Header=BB69_48 Depth=1
	s_add_co_i32 s10, s17, 0xfffffed3
	s_branch .LBB69_47
.LBB69_57:
	s_cmp_lt_i32 s24, 0x85
	s_cbranch_scc1 .LBB69_69
; %bb.58:
	v_mov_b32_e32 v4, 0
	s_mov_b64 s[2:3], 0xfffffffffffffdf0
	s_mov_b64 s[4:5], 0xfffffffffffffbe0
	s_add_nc_u64 s[6:7], s[40:41], 0x210
	s_movk_i32 s15, 0x84
	s_movk_i32 s16, 0x108
	s_mov_b64 s[8:9], s[36:37]
	s_branch .LBB69_60
.LBB69_59:                              ;   in Loop: Header=BB69_60 Depth=1
	v_mov_b32_e32 v2, s10
	s_add_co_i32 s15, s15, 1
	s_add_co_i32 s16, s16, 1
	s_add_nc_u64 s[6:7], s[6:7], 4
	s_add_nc_u64 s[8:9], s[8:9], 8
	s_cmp_lg_u32 s15, s24
	s_clause 0x1
	global_store_b64 v2, v[0:1], s[36:37] scale_offset
	global_store_b32 v2, v5, s[40:41] scale_offset
	s_cbranch_scc0 .LBB69_69
.LBB69_60:                              ; =>This Loop Header: Depth=1
                                        ;     Child Loop BB69_61 Depth 2
	s_wait_xcnt 0x0
	v_mov_b32_e32 v2, s15
	s_mov_b64 s[10:11], s[8:9]
	s_mov_b64 s[12:13], s[6:7]
	s_mov_b32 s17, s16
	s_clause 0x1
	global_load_b64 v[0:1], v2, s[36:37] scale_offset
	global_load_b32 v5, v2, s[40:41] scale_offset
.LBB69_61:                              ;   Parent Loop BB69_60 Depth=1
                                        ; =>  This Inner Loop Header: Depth=2
	global_load_b64 v[2:3], v4, s[10:11]
	s_mov_b32 s19, -1
	s_mov_b32 s20, -1
                                        ; implicit-def: $sgpr18
	s_wait_loadcnt 0x0
	v_cmp_nlt_f64_e32 vcc_lo, v[2:3], v[0:1]
	s_cbranch_vccnz .LBB69_63
; %bb.62:                               ;   in Loop: Header=BB69_61 Depth=2
	global_load_b32 v6, v4, s[12:13] offset:-528
	s_add_co_i32 s18, s17, 0xffffff7c
	s_add_nc_u64 s[30:31], s[12:13], s[2:3]
	s_cmp_lt_i32 s18, 0x108
	global_store_b64 v4, v[2:3], s[10:11] offset:1056
	s_wait_xcnt 0x0
	s_add_nc_u64 s[10:11], s[10:11], s[4:5]
	s_mov_b32 s19, 0
	s_cselect_b32 s20, -1, 0
	s_wait_loadcnt 0x0
	global_store_b32 v4, v6, s[12:13]
	s_wait_xcnt 0x0
	s_mov_b64 s[12:13], s[30:31]
.LBB69_63:                              ;   in Loop: Header=BB69_61 Depth=2
	s_and_not1_b32 vcc_lo, exec_lo, s20
	s_cbranch_vccz .LBB69_65
; %bb.64:                               ;   in Loop: Header=BB69_61 Depth=2
	s_mov_b32 s17, s18
	s_branch .LBB69_61
.LBB69_65:                              ;   in Loop: Header=BB69_60 Depth=1
	s_and_not1_b32 vcc_lo, exec_lo, s19
	s_wait_xcnt 0x0
	s_mov_b32 s11, -1
                                        ; implicit-def: $sgpr10
	s_cbranch_vccz .LBB69_67
; %bb.66:                               ;   in Loop: Header=BB69_60 Depth=1
	s_add_co_i32 s10, s18, 0xffffff7c
	s_mov_b32 s11, 0
.LBB69_67:                              ;   in Loop: Header=BB69_60 Depth=1
	s_delay_alu instid0(SALU_CYCLE_1)
	s_and_not1_b32 vcc_lo, exec_lo, s11
	s_cbranch_vccnz .LBB69_59
; %bb.68:                               ;   in Loop: Header=BB69_60 Depth=1
	s_add_co_i32 s10, s17, 0xffffff7c
	s_branch .LBB69_59
.LBB69_69:
	s_cmp_lt_i32 s24, 58
	s_cbranch_scc1 .LBB69_81
; %bb.70:
	v_mov_b32_e32 v4, 0
	s_mov_b64 s[2:3], 0xffffffffffffff1c
	s_mov_b64 s[4:5], 0xfffffffffffffe38
	s_add_nc_u64 s[6:7], s[40:41], 0xe4
	s_mov_b32 s15, 57
	s_movk_i32 s16, 0x72
	s_mov_b64 s[8:9], s[36:37]
	s_branch .LBB69_72
.LBB69_71:                              ;   in Loop: Header=BB69_72 Depth=1
	v_mov_b32_e32 v2, s10
	s_add_co_i32 s15, s15, 1
	s_add_co_i32 s16, s16, 1
	s_add_nc_u64 s[6:7], s[6:7], 4
	s_add_nc_u64 s[8:9], s[8:9], 8
	s_cmp_lg_u32 s15, s24
	s_clause 0x1
	global_store_b64 v2, v[0:1], s[36:37] scale_offset
	global_store_b32 v2, v5, s[40:41] scale_offset
	s_cbranch_scc0 .LBB69_81
.LBB69_72:                              ; =>This Loop Header: Depth=1
                                        ;     Child Loop BB69_73 Depth 2
	s_wait_xcnt 0x0
	v_mov_b32_e32 v2, s15
	s_mov_b64 s[10:11], s[8:9]
	s_mov_b64 s[12:13], s[6:7]
	s_mov_b32 s17, s16
	s_clause 0x1
	global_load_b64 v[0:1], v2, s[36:37] scale_offset
	global_load_b32 v5, v2, s[40:41] scale_offset
.LBB69_73:                              ;   Parent Loop BB69_72 Depth=1
                                        ; =>  This Inner Loop Header: Depth=2
	global_load_b64 v[2:3], v4, s[10:11]
	s_mov_b32 s19, -1
	s_mov_b32 s20, -1
                                        ; implicit-def: $sgpr18
	s_wait_loadcnt 0x0
	v_cmp_nlt_f64_e32 vcc_lo, v[2:3], v[0:1]
	s_cbranch_vccnz .LBB69_75
; %bb.74:                               ;   in Loop: Header=BB69_73 Depth=2
	global_load_b32 v6, v4, s[12:13] offset:-228
	s_sub_co_i32 s18, s17, 57
	s_add_nc_u64 s[30:31], s[12:13], s[2:3]
	s_cmp_lt_i32 s18, 0x72
	global_store_b64 v4, v[2:3], s[10:11] offset:456
	s_wait_xcnt 0x0
	s_add_nc_u64 s[10:11], s[10:11], s[4:5]
	s_mov_b32 s19, 0
	s_cselect_b32 s20, -1, 0
	s_wait_loadcnt 0x0
	global_store_b32 v4, v6, s[12:13]
	s_wait_xcnt 0x0
	s_mov_b64 s[12:13], s[30:31]
.LBB69_75:                              ;   in Loop: Header=BB69_73 Depth=2
	s_and_not1_b32 vcc_lo, exec_lo, s20
	s_cbranch_vccz .LBB69_77
; %bb.76:                               ;   in Loop: Header=BB69_73 Depth=2
	s_mov_b32 s17, s18
	s_branch .LBB69_73
.LBB69_77:                              ;   in Loop: Header=BB69_72 Depth=1
	s_and_not1_b32 vcc_lo, exec_lo, s19
	s_wait_xcnt 0x0
	s_mov_b32 s11, -1
                                        ; implicit-def: $sgpr10
	s_cbranch_vccz .LBB69_79
; %bb.78:                               ;   in Loop: Header=BB69_72 Depth=1
	s_sub_co_i32 s10, s18, 57
	s_mov_b32 s11, 0
.LBB69_79:                              ;   in Loop: Header=BB69_72 Depth=1
	s_delay_alu instid0(SALU_CYCLE_1)
	s_and_not1_b32 vcc_lo, exec_lo, s11
	s_cbranch_vccnz .LBB69_71
; %bb.80:                               ;   in Loop: Header=BB69_72 Depth=1
	s_sub_co_i32 s10, s17, 57
	s_branch .LBB69_71
.LBB69_81:
	s_cmp_lt_i32 s24, 24
	s_cbranch_scc1 .LBB69_93
; %bb.82:
	v_mov_b32_e32 v4, 0
	s_mov_b64 s[2:3], 0xffffffffffffffa4
	s_mov_b64 s[4:5], 0xffffffffffffff48
	s_add_nc_u64 s[6:7], s[40:41], 0x5c
	s_mov_b32 s15, 23
	s_mov_b32 s16, 46
	s_mov_b64 s[8:9], s[36:37]
	s_branch .LBB69_84
.LBB69_83:                              ;   in Loop: Header=BB69_84 Depth=1
	v_mov_b32_e32 v2, s10
	s_add_co_i32 s15, s15, 1
	s_add_co_i32 s16, s16, 1
	s_add_nc_u64 s[6:7], s[6:7], 4
	s_add_nc_u64 s[8:9], s[8:9], 8
	s_cmp_lg_u32 s15, s24
	s_clause 0x1
	global_store_b64 v2, v[0:1], s[36:37] scale_offset
	global_store_b32 v2, v5, s[40:41] scale_offset
	s_cbranch_scc0 .LBB69_93
.LBB69_84:                              ; =>This Loop Header: Depth=1
                                        ;     Child Loop BB69_85 Depth 2
	s_wait_xcnt 0x0
	v_mov_b32_e32 v2, s15
	s_mov_b64 s[10:11], s[8:9]
	s_mov_b64 s[12:13], s[6:7]
	s_mov_b32 s17, s16
	s_clause 0x1
	global_load_b64 v[0:1], v2, s[36:37] scale_offset
	global_load_b32 v5, v2, s[40:41] scale_offset
.LBB69_85:                              ;   Parent Loop BB69_84 Depth=1
                                        ; =>  This Inner Loop Header: Depth=2
	global_load_b64 v[2:3], v4, s[10:11]
	s_mov_b32 s19, -1
	s_mov_b32 s20, -1
                                        ; implicit-def: $sgpr18
	s_wait_loadcnt 0x0
	v_cmp_nlt_f64_e32 vcc_lo, v[2:3], v[0:1]
	s_cbranch_vccnz .LBB69_87
; %bb.86:                               ;   in Loop: Header=BB69_85 Depth=2
	global_load_b32 v6, v4, s[12:13] offset:-92
	s_sub_co_i32 s18, s17, 23
	s_add_nc_u64 s[30:31], s[12:13], s[2:3]
	s_cmp_lt_i32 s18, 46
	global_store_b64 v4, v[2:3], s[10:11] offset:184
	s_wait_xcnt 0x0
	s_add_nc_u64 s[10:11], s[10:11], s[4:5]
	s_mov_b32 s19, 0
	s_cselect_b32 s20, -1, 0
	s_wait_loadcnt 0x0
	global_store_b32 v4, v6, s[12:13]
	s_wait_xcnt 0x0
	s_mov_b64 s[12:13], s[30:31]
.LBB69_87:                              ;   in Loop: Header=BB69_85 Depth=2
	s_and_not1_b32 vcc_lo, exec_lo, s20
	s_cbranch_vccz .LBB69_89
; %bb.88:                               ;   in Loop: Header=BB69_85 Depth=2
	s_mov_b32 s17, s18
	s_branch .LBB69_85
.LBB69_89:                              ;   in Loop: Header=BB69_84 Depth=1
	s_and_not1_b32 vcc_lo, exec_lo, s19
	s_wait_xcnt 0x0
	s_mov_b32 s11, -1
                                        ; implicit-def: $sgpr10
	s_cbranch_vccz .LBB69_91
; %bb.90:                               ;   in Loop: Header=BB69_84 Depth=1
	s_sub_co_i32 s10, s18, 23
	s_mov_b32 s11, 0
.LBB69_91:                              ;   in Loop: Header=BB69_84 Depth=1
	s_delay_alu instid0(SALU_CYCLE_1)
	s_and_not1_b32 vcc_lo, exec_lo, s11
	s_cbranch_vccnz .LBB69_83
; %bb.92:                               ;   in Loop: Header=BB69_84 Depth=1
	s_sub_co_i32 s10, s17, 23
	s_branch .LBB69_83
.LBB69_93:
	s_cmp_lt_i32 s24, 11
	s_cbranch_scc1 .LBB69_105
; %bb.94:
	v_mov_b32_e32 v4, 0
	s_mov_b64 s[2:3], 0xffffffffffffffd8
	s_mov_b64 s[4:5], 0xffffffffffffffb0
	s_add_nc_u64 s[6:7], s[40:41], 40
	s_mov_b32 s15, 10
	s_mov_b32 s16, 20
	s_mov_b64 s[8:9], s[36:37]
	s_branch .LBB69_96
.LBB69_95:                              ;   in Loop: Header=BB69_96 Depth=1
	v_mov_b32_e32 v2, s10
	s_add_co_i32 s15, s15, 1
	s_add_co_i32 s16, s16, 1
	s_add_nc_u64 s[6:7], s[6:7], 4
	s_add_nc_u64 s[8:9], s[8:9], 8
	s_cmp_lg_u32 s15, s24
	s_clause 0x1
	global_store_b64 v2, v[0:1], s[36:37] scale_offset
	global_store_b32 v2, v5, s[40:41] scale_offset
	s_cbranch_scc0 .LBB69_105
.LBB69_96:                              ; =>This Loop Header: Depth=1
                                        ;     Child Loop BB69_97 Depth 2
	s_wait_xcnt 0x0
	v_mov_b32_e32 v2, s15
	s_mov_b64 s[10:11], s[8:9]
	s_mov_b64 s[12:13], s[6:7]
	s_mov_b32 s17, s16
	s_clause 0x1
	global_load_b64 v[0:1], v2, s[36:37] scale_offset
	global_load_b32 v5, v2, s[40:41] scale_offset
.LBB69_97:                              ;   Parent Loop BB69_96 Depth=1
                                        ; =>  This Inner Loop Header: Depth=2
	global_load_b64 v[2:3], v4, s[10:11]
	s_mov_b32 s19, -1
	s_mov_b32 s20, -1
                                        ; implicit-def: $sgpr18
	s_wait_loadcnt 0x0
	v_cmp_nlt_f64_e32 vcc_lo, v[2:3], v[0:1]
	s_cbranch_vccnz .LBB69_99
; %bb.98:                               ;   in Loop: Header=BB69_97 Depth=2
	global_load_b32 v6, v4, s[12:13] offset:-40
	s_add_co_i32 s18, s17, -10
	s_add_nc_u64 s[30:31], s[12:13], s[2:3]
	s_cmp_lt_i32 s18, 20
	global_store_b64 v4, v[2:3], s[10:11] offset:80
	s_wait_xcnt 0x0
	s_add_nc_u64 s[10:11], s[10:11], s[4:5]
	s_mov_b32 s19, 0
	s_cselect_b32 s20, -1, 0
	s_wait_loadcnt 0x0
	global_store_b32 v4, v6, s[12:13]
	s_wait_xcnt 0x0
	s_mov_b64 s[12:13], s[30:31]
.LBB69_99:                              ;   in Loop: Header=BB69_97 Depth=2
	s_and_not1_b32 vcc_lo, exec_lo, s20
	s_cbranch_vccz .LBB69_101
; %bb.100:                              ;   in Loop: Header=BB69_97 Depth=2
	s_mov_b32 s17, s18
	s_branch .LBB69_97
.LBB69_101:                             ;   in Loop: Header=BB69_96 Depth=1
	s_and_not1_b32 vcc_lo, exec_lo, s19
	s_wait_xcnt 0x0
	s_mov_b32 s11, -1
                                        ; implicit-def: $sgpr10
	s_cbranch_vccz .LBB69_103
; %bb.102:                              ;   in Loop: Header=BB69_96 Depth=1
	s_add_co_i32 s10, s18, -10
	s_mov_b32 s11, 0
.LBB69_103:                             ;   in Loop: Header=BB69_96 Depth=1
	s_delay_alu instid0(SALU_CYCLE_1)
	s_and_not1_b32 vcc_lo, exec_lo, s11
	s_cbranch_vccnz .LBB69_95
; %bb.104:                              ;   in Loop: Header=BB69_96 Depth=1
	s_add_co_i32 s10, s17, -10
	s_branch .LBB69_95
.LBB69_105:
	s_cmp_lt_i32 s24, 5
	s_cbranch_scc1 .LBB69_117
; %bb.106:
	v_mov_b32_e32 v4, 0
	s_add_nc_u64 s[6:7], s[52:53], s[50:51]
	s_add_nc_u64 s[2:3], s[40:41], 16
	s_mov_b64 s[4:5], 0xffffffffffffffe0
	s_add_nc_u64 s[6:7], s[6:7], 32
	s_mov_b32 s12, 4
	s_mov_b32 s13, 8
	s_branch .LBB69_108
.LBB69_107:                             ;   in Loop: Header=BB69_108 Depth=1
	v_mov_b32_e32 v2, s8
	s_add_co_i32 s12, s12, 1
	s_add_co_i32 s13, s13, 1
	s_add_nc_u64 s[2:3], s[2:3], 4
	s_add_nc_u64 s[6:7], s[6:7], 8
	s_cmp_lg_u32 s12, s24
	s_clause 0x1
	global_store_b64 v2, v[0:1], s[36:37] scale_offset
	global_store_b32 v2, v5, s[40:41] scale_offset
	s_cbranch_scc0 .LBB69_117
.LBB69_108:                             ; =>This Loop Header: Depth=1
                                        ;     Child Loop BB69_109 Depth 2
	s_wait_xcnt 0x0
	v_mov_b32_e32 v2, s12
	s_mov_b64 s[8:9], s[6:7]
	s_mov_b64 s[10:11], s[2:3]
	s_mov_b32 s15, s13
	s_clause 0x1
	global_load_b64 v[0:1], v2, s[36:37] scale_offset
	global_load_b32 v5, v2, s[40:41] scale_offset
.LBB69_109:                             ;   Parent Loop BB69_108 Depth=1
                                        ; =>  This Inner Loop Header: Depth=2
	global_load_b64 v[2:3], v4, s[8:9] offset:-32
	s_mov_b32 s17, -1
	s_mov_b32 s18, -1
                                        ; implicit-def: $sgpr16
	s_wait_loadcnt 0x0
	v_cmp_nlt_f64_e32 vcc_lo, v[2:3], v[0:1]
	s_cbranch_vccnz .LBB69_111
; %bb.110:                              ;   in Loop: Header=BB69_109 Depth=2
	global_load_b32 v6, v4, s[10:11] offset:-16
	s_add_co_i32 s16, s15, -4
	s_add_nc_u64 s[30:31], s[10:11], -16
	s_cmp_lt_i32 s16, 8
	s_mov_b32 s17, 0
	s_cselect_b32 s18, -1, 0
	global_store_b64 v4, v[2:3], s[8:9]
	s_wait_loadcnt 0x0
	global_store_b32 v4, v6, s[10:11]
	s_wait_xcnt 0x0
	s_mov_b64 s[10:11], s[30:31]
.LBB69_111:                             ;   in Loop: Header=BB69_109 Depth=2
	s_and_not1_b32 vcc_lo, exec_lo, s18
	s_wait_xcnt 0x0
	s_add_nc_u64 s[8:9], s[8:9], s[4:5]
	s_cbranch_vccz .LBB69_113
; %bb.112:                              ;   in Loop: Header=BB69_109 Depth=2
	s_mov_b32 s15, s16
	s_branch .LBB69_109
.LBB69_113:                             ;   in Loop: Header=BB69_108 Depth=1
	s_and_not1_b32 vcc_lo, exec_lo, s17
	s_mov_b32 s9, -1
                                        ; implicit-def: $sgpr8
	s_cbranch_vccz .LBB69_115
; %bb.114:                              ;   in Loop: Header=BB69_108 Depth=1
	s_add_co_i32 s8, s16, -4
	s_mov_b32 s9, 0
.LBB69_115:                             ;   in Loop: Header=BB69_108 Depth=1
	s_delay_alu instid0(SALU_CYCLE_1)
	s_and_not1_b32 vcc_lo, exec_lo, s9
	s_cbranch_vccnz .LBB69_107
; %bb.116:                              ;   in Loop: Header=BB69_108 Depth=1
	s_add_co_i32 s8, s15, -4
	s_branch .LBB69_107
.LBB69_117:
	s_cmp_lt_i32 s24, 2
	s_mov_b32 s10, 2
	s_cbranch_scc1 .LBB69_126
; %bb.118:
	v_mov_b32_e32 v4, 0
	s_add_nc_u64 s[4:5], s[52:53], s[50:51]
	s_add_nc_u64 s[2:3], s[40:41], 4
	;; [unrolled: 1-line block ×3, first 2 shown]
	s_mov_b32 s11, 1
	s_branch .LBB69_120
.LBB69_119:                             ;   in Loop: Header=BB69_120 Depth=1
	v_mov_b32_e32 v2, s6
	s_add_co_i32 s11, s11, 1
	s_add_co_i32 s10, s10, 1
	s_add_nc_u64 s[2:3], s[2:3], 4
	s_add_nc_u64 s[4:5], s[4:5], 8
	s_cmp_eq_u32 s11, s24
	s_clause 0x1
	global_store_b64 v2, v[0:1], s[36:37] scale_offset
	global_store_b32 v2, v5, s[40:41] scale_offset
	s_cbranch_scc1 .LBB69_126
.LBB69_120:                             ; =>This Loop Header: Depth=1
                                        ;     Child Loop BB69_122 Depth 2
	s_wait_xcnt 0x0
	v_mov_b32_e32 v2, s11
	s_mov_b64 s[6:7], s[4:5]
	s_mov_b64 s[8:9], s[2:3]
	s_mov_b32 s13, s10
	s_clause 0x1
	global_load_b64 v[0:1], v2, s[36:37] scale_offset
	global_load_b32 v5, v2, s[40:41] scale_offset
	s_branch .LBB69_122
.LBB69_121:                             ;   in Loop: Header=BB69_122 Depth=2
	s_and_not1_b32 vcc_lo, exec_lo, s16
	s_wait_xcnt 0x0
	s_add_nc_u64 s[6:7], s[6:7], -8
	s_cbranch_vccz .LBB69_124
.LBB69_122:                             ;   Parent Loop BB69_120 Depth=1
                                        ; =>  This Inner Loop Header: Depth=2
	global_load_b64 v[2:3], v4, s[6:7] offset:-8
	s_mov_b32 s12, s13
	s_mov_b32 s15, -1
	s_mov_b32 s16, -1
                                        ; implicit-def: $sgpr13
	s_wait_loadcnt 0x0
	v_cmp_nlt_f64_e32 vcc_lo, v[2:3], v[0:1]
	s_cbranch_vccnz .LBB69_121
; %bb.123:                              ;   in Loop: Header=BB69_122 Depth=2
	global_load_b32 v6, v4, s[8:9] offset:-4
	s_add_co_i32 s13, s12, -1
	s_add_nc_u64 s[18:19], s[8:9], -4
	s_cmp_lt_i32 s13, 2
	s_mov_b32 s15, 0
	s_cselect_b32 s16, -1, 0
	global_store_b64 v4, v[2:3], s[6:7]
	s_wait_loadcnt 0x0
	global_store_b32 v4, v6, s[8:9]
	s_wait_xcnt 0x0
	s_mov_b64 s[8:9], s[18:19]
	s_branch .LBB69_121
.LBB69_124:                             ;   in Loop: Header=BB69_120 Depth=1
	s_and_b32 vcc_lo, exec_lo, s15
	s_mov_b32 s6, 0
	s_cbranch_vccz .LBB69_119
; %bb.125:                              ;   in Loop: Header=BB69_120 Depth=1
	s_add_co_i32 s6, s12, -1
	s_branch .LBB69_119
.LBB69_126:
	s_wait_xcnt 0x0
	s_or_b32 exec_lo, exec_lo, s14
	s_cmp_lt_i32 s24, 2
	s_mov_b32 s58, 0
	s_cselect_b32 s5, -1, 0
	s_wait_storecnt 0x0
	s_and_b32 vcc_lo, exec_lo, s5
	s_barrier_signal -1
	s_barrier_wait -1
	s_cbranch_vccnz .LBB69_134
; %bb.127:
	s_add_co_i32 s4, s24, -1
	s_mov_b32 s5, -1
	s_mov_b32 s2, 0
	s_mov_b32 s3, exec_lo
	v_cmpx_gt_u32_e64 s4, v41
	s_cbranch_execz .LBB69_136
; %bb.128:
	v_dual_mov_b32 v1, 0 :: v_dual_mov_b32 v0, v41
	s_mov_b32 s5, 0
                                        ; implicit-def: $sgpr6
	s_branch .LBB69_130
.LBB69_129:                             ;   in Loop: Header=BB69_130 Depth=1
	s_or_b32 exec_lo, exec_lo, s9
	s_xor_b32 s7, s8, -1
	s_and_b32 s2, exec_lo, s2
	s_delay_alu instid0(SALU_CYCLE_1) | instskip(SKIP_2) | instid1(SALU_CYCLE_1)
	s_or_b32 s5, s2, s5
	s_and_not1_b32 s2, s6, exec_lo
	s_and_b32 s6, s7, exec_lo
	s_or_b32 s6, s2, s6
	s_and_not1_b32 exec_lo, exec_lo, s5
	s_cbranch_execz .LBB69_135
.LBB69_130:                             ; =>This Inner Loop Header: Depth=1
	global_load_b64 v[2:3], v0, s[36:37] scale_offset
	s_mov_b32 s8, exec_lo
	s_wait_loadcnt 0x0
	v_cmp_u_f64_e64 s7, v[2:3], v[2:3]
	v_cmpx_o_f64_e32 v[2:3], v[2:3]
	s_cbranch_execz .LBB69_132
; %bb.131:                              ;   in Loop: Header=BB69_130 Depth=1
	v_lshl_add_u64 v[4:5], v[0:1], 3, s[36:37]
	s_and_not1_b32 s7, s7, exec_lo
	global_load_b64 v[4:5], v[4:5], off offset:8
	s_wait_loadcnt 0x0
	v_cmp_u_f64_e32 vcc_lo, v[4:5], v[4:5]
	v_cmp_ge_f64_e64 s2, v[2:3], v[4:5]
	s_or_b32 s2, vcc_lo, s2
	s_delay_alu instid0(SALU_CYCLE_1) | instskip(NEXT) | instid1(SALU_CYCLE_1)
	s_and_b32 s2, s2, exec_lo
	s_or_b32 s7, s7, s2
.LBB69_132:                             ;   in Loop: Header=BB69_130 Depth=1
	s_or_b32 exec_lo, exec_lo, s8
	s_mov_b32 s2, -1
	s_mov_b32 s8, -1
	s_and_saveexec_b32 s9, s7
	s_cbranch_execz .LBB69_129
; %bb.133:                              ;   in Loop: Header=BB69_130 Depth=1
	v_add_nc_u32_e32 v0, s46, v0
	s_xor_b32 s8, exec_lo, -1
	s_delay_alu instid0(VALU_DEP_1)
	v_cmp_le_u32_e32 vcc_lo, s4, v0
	s_or_not1_b32 s2, vcc_lo, exec_lo
	s_branch .LBB69_129
.LBB69_134:
	s_mov_b32 s2, 0
	s_branch .LBB69_137
.LBB69_135:
	s_or_b32 exec_lo, exec_lo, s5
	s_delay_alu instid0(SALU_CYCLE_1)
	s_mov_b32 s2, exec_lo
	s_or_not1_b32 s5, s6, exec_lo
.LBB69_136:
	s_or_b32 exec_lo, exec_lo, s3
.LBB69_137:
	s_and_saveexec_b32 s3, s5
	s_cbranch_execz .LBB69_139
; %bb.138:
	s_mov_b32 s58, exec_lo
	s_barrier_signal -1
	s_barrier_wait -1
	s_and_not1_b32 s2, s2, exec_lo
.LBB69_139:
	s_or_b32 exec_lo, exec_lo, s3
	s_mov_b32 s54, 0
	s_and_saveexec_b32 s59, s2
	s_cbranch_execz .LBB69_141
; %bb.140:
	s_get_pc_i64 s[2:3]
	s_add_nc_u64 s[2:3], s[2:3], __PRETTY_FUNCTION__._ZN9rocsolver6v33100L21shell_sort_descendingIdiEEvT0_PT_PS2_@rel64+4
	s_add_nc_u64 s[8:9], s[0:1], 0x90
	v_dual_mov_b32 v0, s2 :: v_dual_mov_b32 v1, s3
	s_get_pc_i64 s[4:5]
	s_add_nc_u64 s[4:5], s[4:5], __assert_fail@rel64+4
	s_mov_b64 s[54:55], s[0:1]
	s_swap_pc_i64 s[30:31], s[4:5]
	s_mov_b64 s[0:1], s[54:55]
	s_mov_b32 s54, exec_lo
.LBB69_141:
	s_or_b32 exec_lo, exec_lo, s59
.LBB69_142:
	s_wait_xcnt 0x0
	s_and_saveexec_b32 s20, s58
	s_cbranch_execz .LBB69_167
; %bb.143:
	s_and_not1_b32 vcc_lo, exec_lo, s57
	s_wait_storecnt 0x0
	s_barrier_signal -1
	s_barrier_wait -1
	s_cbranch_vccnz .LBB69_166
; %bb.144:
	s_cmp_gt_i32 s25, 0
	v_cmp_eq_u32_e64 s2, 0, v41
	s_cselect_b32 s30, -1, 0
	s_ashr_i32 s9, s47, 31
	s_cmp_gt_i32 s26, 0
	v_cmp_gt_u32_e64 s3, s25, v41
	s_cselect_b32 s31, -1, 0
	v_cmp_gt_u32_e64 s4, s26, v41
	s_ashr_i32 s11, s43, 31
	v_cmp_gt_u32_e64 s5, s27, v41
	v_mov_b32_e32 v1, 0
	s_mov_b32 s7, 0
	s_cmp_gt_i32 s27, 0
	s_mov_b32 s8, s47
	s_mov_b32 s10, s43
	s_cselect_b32 s33, -1, 0
	s_ashr_i32 s13, s49, 31
	s_mov_b32 s12, s49
	s_mov_b32 s6, s7
	s_branch .LBB69_146
.LBB69_145:                             ;   in Loop: Header=BB69_146 Depth=1
	s_add_co_i32 s6, s6, 1
	s_delay_alu instid0(SALU_CYCLE_1)
	s_cmp_eq_u32 s6, s24
	s_cbranch_scc1 .LBB69_166
.LBB69_146:                             ; =>This Loop Header: Depth=1
                                        ;     Child Loop BB69_150 Depth 2
                                        ;       Child Loop BB69_155 Depth 3
                                        ;       Child Loop BB69_160 Depth 3
	;; [unrolled: 1-line block ×3, first 2 shown]
	v_mov_b32_e32 v0, s6
	global_load_b32 v2, v0, s[40:41] scale_offset
	s_wait_loadcnt 0x0
	v_cmp_eq_u32_e32 vcc_lo, s6, v2
	s_cbranch_vccnz .LBB69_145
; %bb.147:                              ;   in Loop: Header=BB69_146 Depth=1
	s_lshl_b64 s[14:15], s[6:7], 2
	s_delay_alu instid0(SALU_CYCLE_1)
	s_add_nc_u64 s[14:15], s[40:41], s[14:15]
	s_branch .LBB69_150
.LBB69_148:                             ;   in Loop: Header=BB69_150 Depth=2
	s_or_b32 exec_lo, exec_lo, s18
	s_wait_storecnt 0x0
	s_barrier_signal -1
	s_barrier_wait -1
.LBB69_149:                             ;   in Loop: Header=BB69_150 Depth=2
	global_load_b32 v2, v1, s[14:15]
	s_wait_loadcnt 0x0
	v_cmp_ne_u32_e32 vcc_lo, s6, v2
	s_cbranch_vccz .LBB69_145
.LBB69_150:                             ;   Parent Loop BB69_146 Depth=1
                                        ; =>  This Loop Header: Depth=2
                                        ;       Child Loop BB69_155 Depth 3
                                        ;       Child Loop BB69_160 Depth 3
	;; [unrolled: 1-line block ×3, first 2 shown]
	global_load_b32 v0, v2, s[40:41] scale_offset
	v_ashrrev_i32_e32 v3, 31, v2
	s_wait_loadcnt 0x0
	s_barrier_signal -1
	s_barrier_wait -1
	v_readfirstlane_b32 s16, v0
	s_wait_xcnt 0x0
	s_and_saveexec_b32 s17, s2
	s_cbranch_execz .LBB69_152
; %bb.151:                              ;   in Loop: Header=BB69_150 Depth=2
	v_lshlrev_b64_e32 v[4:5], 2, v[2:3]
	v_mov_b32_e32 v0, s16
	s_delay_alu instid0(VALU_DEP_2)
	v_add_nc_u64_e32 v[4:5], s[40:41], v[4:5]
	s_clause 0x1
	global_store_b32 v[4:5], v2, off
	global_store_b32 v1, v0, s[14:15]
.LBB69_152:                             ;   in Loop: Header=BB69_150 Depth=2
	s_wait_xcnt 0x0
	s_or_b32 exec_lo, exec_lo, s17
	s_delay_alu instid0(SALU_CYCLE_1)
	s_and_not1_b32 vcc_lo, exec_lo, s30
	s_wait_storecnt 0x0
	s_barrier_signal -1
	s_barrier_wait -1
	s_cbranch_vccnz .LBB69_157
; %bb.153:                              ;   in Loop: Header=BB69_150 Depth=2
	s_and_saveexec_b32 s18, s3
	s_cbranch_execz .LBB69_156
; %bb.154:                              ;   in Loop: Header=BB69_150 Depth=2
	v_mov_b32_e32 v0, v41
	s_ashr_i32 s17, s16, 31
	s_mov_b32 s19, 0
.LBB69_155:                             ;   Parent Loop BB69_146 Depth=1
                                        ;     Parent Loop BB69_150 Depth=2
                                        ; =>    This Inner Loop Header: Depth=3
	s_delay_alu instid0(VALU_DEP_1) | instskip(SKIP_1) | instid1(VALU_DEP_1)
	v_mul_u64_e32 v[4:5], s[8:9], v[0:1]
	v_add_nc_u32_e32 v0, s46, v0
	v_cmp_le_u32_e32 vcc_lo, s25, v0
	s_or_b32 s19, vcc_lo, s19
	s_delay_alu instid0(VALU_DEP_3) | instskip(NEXT) | instid1(VALU_DEP_1)
	v_lshl_add_u64 v[4:5], v[4:5], 3, s[34:35]
	v_lshl_add_u64 v[6:7], s[16:17], 3, v[4:5]
	;; [unrolled: 1-line block ×3, first 2 shown]
	s_clause 0x1
	global_load_b64 v[8:9], v[6:7], off
	global_load_b64 v[10:11], v[4:5], off
	s_wait_loadcnt 0x1
	global_store_b64 v[4:5], v[8:9], off
	s_wait_loadcnt 0x0
	global_store_b64 v[6:7], v[10:11], off
	s_wait_xcnt 0x0
	s_and_not1_b32 exec_lo, exec_lo, s19
	s_cbranch_execnz .LBB69_155
.LBB69_156:                             ;   in Loop: Header=BB69_150 Depth=2
	s_or_b32 exec_lo, exec_lo, s18
	s_wait_storecnt 0x0
	s_barrier_signal -1
	s_barrier_wait -1
.LBB69_157:                             ;   in Loop: Header=BB69_150 Depth=2
	s_and_not1_b32 vcc_lo, exec_lo, s31
	s_cbranch_vccnz .LBB69_162
; %bb.158:                              ;   in Loop: Header=BB69_150 Depth=2
	s_and_saveexec_b32 s55, s4
	s_cbranch_execz .LBB69_161
; %bb.159:                              ;   in Loop: Header=BB69_150 Depth=2
	v_mul_u64_e32 v[4:5], s[10:11], v[2:3]
	s_ashr_i32 s17, s16, 31
	v_mov_b32_e32 v0, v41
	s_mul_u64 s[18:19], s[16:17], s[10:11]
	s_mov_b32 s17, 0
	s_lshl_b64 s[18:19], s[18:19], 3
	s_delay_alu instid0(SALU_CYCLE_1) | instskip(NEXT) | instid1(VALU_DEP_2)
	s_add_nc_u64 s[18:19], s[28:29], s[18:19]
	v_lshlrev_b64_e32 v[4:5], 3, v[4:5]
	s_delay_alu instid0(VALU_DEP_1)
	v_add_nc_u64_e32 v[4:5], s[28:29], v[4:5]
.LBB69_160:                             ;   Parent Loop BB69_146 Depth=1
                                        ;     Parent Loop BB69_150 Depth=2
                                        ; =>    This Inner Loop Header: Depth=3
	s_delay_alu instid0(VALU_DEP_1) | instskip(NEXT) | instid1(VALU_DEP_2)
	v_readfirstlane_b32 s56, v4
	v_readfirstlane_b32 s57, v5
	s_clause 0x1
	global_load_b64 v[6:7], v0, s[18:19] scale_offset
	global_load_b64 v[8:9], v0, s[56:57] scale_offset
	s_wait_loadcnt 0x1
	global_store_b64 v0, v[6:7], s[56:57] scale_offset
	s_wait_loadcnt 0x0
	global_store_b64 v0, v[8:9], s[18:19] scale_offset
	s_wait_xcnt 0x0
	v_add_nc_u32_e32 v0, s46, v0
	s_delay_alu instid0(VALU_DEP_1) | instskip(SKIP_1) | instid1(SALU_CYCLE_1)
	v_cmp_le_u32_e32 vcc_lo, s26, v0
	s_or_b32 s17, vcc_lo, s17
	s_and_not1_b32 exec_lo, exec_lo, s17
	s_cbranch_execnz .LBB69_160
.LBB69_161:                             ;   in Loop: Header=BB69_150 Depth=2
	s_or_b32 exec_lo, exec_lo, s55
	s_wait_storecnt 0x0
	s_barrier_signal -1
	s_barrier_wait -1
.LBB69_162:                             ;   in Loop: Header=BB69_150 Depth=2
	s_and_not1_b32 vcc_lo, exec_lo, s33
	s_cbranch_vccnz .LBB69_149
; %bb.163:                              ;   in Loop: Header=BB69_150 Depth=2
	s_and_saveexec_b32 s18, s5
	s_cbranch_execz .LBB69_148
; %bb.164:                              ;   in Loop: Header=BB69_150 Depth=2
	v_mov_b32_e32 v0, v41
	s_ashr_i32 s17, s16, 31
	s_mov_b32 s19, 0
.LBB69_165:                             ;   Parent Loop BB69_146 Depth=1
                                        ;     Parent Loop BB69_150 Depth=2
                                        ; =>    This Inner Loop Header: Depth=3
	s_delay_alu instid0(VALU_DEP_1) | instskip(SKIP_1) | instid1(VALU_DEP_1)
	v_mul_u64_e32 v[4:5], s[12:13], v[0:1]
	v_add_nc_u32_e32 v0, s46, v0
	v_cmp_le_u32_e32 vcc_lo, s27, v0
	s_or_b32 s19, vcc_lo, s19
	s_delay_alu instid0(VALU_DEP_3) | instskip(NEXT) | instid1(VALU_DEP_1)
	v_lshl_add_u64 v[4:5], v[4:5], 3, s[44:45]
	v_lshl_add_u64 v[6:7], s[16:17], 3, v[4:5]
	;; [unrolled: 1-line block ×3, first 2 shown]
	s_clause 0x1
	global_load_b64 v[8:9], v[6:7], off
	global_load_b64 v[10:11], v[4:5], off
	s_wait_loadcnt 0x1
	global_store_b64 v[4:5], v[8:9], off
	s_wait_loadcnt 0x0
	global_store_b64 v[6:7], v[10:11], off
	s_wait_xcnt 0x0
	s_and_not1_b32 exec_lo, exec_lo, s19
	s_cbranch_execnz .LBB69_165
	s_branch .LBB69_148
.LBB69_166:
	s_mov_b32 s56, exec_lo
.LBB69_167:
	s_or_b32 exec_lo, exec_lo, s20
	s_branch .LBB69_279
.LBB69_168:
	s_and_b32 vcc_lo, exec_lo, s48
	s_mov_b32 s56, -1
	s_cbranch_vccz .LBB69_279
; %bb.169:
	v_or3_b32 v0, v43, v44, v42
	s_mov_b32 s8, exec_lo
	s_wait_storecnt 0x0
	s_barrier_signal -1
	s_barrier_wait -1
	s_barrier_signal -1
	s_barrier_wait -1
	s_wait_xcnt 0x0
	v_cmpx_eq_u32_e32 0, v0
	s_cbranch_execz .LBB69_263
; %bb.170:
	s_cmp_lt_u32 s24, 0x2be
	s_cbranch_scc1 .LBB69_182
; %bb.171:
	v_mov_b32_e32 v4, 0
	s_add_nc_u64 s[4:5], s[52:53], s[50:51]
	s_mov_b64 s[2:3], 0xffffffffffffea18
	s_add_nc_u64 s[4:5], s[4:5], 0x15e8
	s_movk_i32 s9, 0x2bd
	s_movk_i32 s10, 0x57a
	s_branch .LBB69_173
.LBB69_172:                             ;   in Loop: Header=BB69_173 Depth=1
	v_mov_b32_e32 v2, s6
	s_add_co_i32 s9, s9, 1
	s_add_co_i32 s10, s10, 1
	s_cmp_eq_u32 s9, s24
	s_add_nc_u64 s[4:5], s[4:5], 8
	global_store_b64 v2, v[0:1], s[36:37] scale_offset
	s_cbranch_scc1 .LBB69_182
.LBB69_173:                             ; =>This Loop Header: Depth=1
                                        ;     Child Loop BB69_174 Depth 2
	s_wait_xcnt 0x0
	v_mov_b32_e32 v0, s9
	s_mov_b64 s[6:7], s[4:5]
	s_mov_b32 s11, s10
	global_load_b64 v[0:1], v0, s[36:37] scale_offset
.LBB69_174:                             ;   Parent Loop BB69_173 Depth=1
                                        ; =>  This Inner Loop Header: Depth=2
	global_load_b64 v[2:3], v4, s[6:7] offset:-5608
	s_mov_b32 s13, -1
	s_mov_b32 s14, -1
                                        ; implicit-def: $sgpr12
	s_wait_loadcnt 0x0
	v_cmp_nlt_f64_e32 vcc_lo, v[2:3], v[0:1]
	s_cbranch_vccnz .LBB69_176
; %bb.175:                              ;   in Loop: Header=BB69_174 Depth=2
	s_add_co_i32 s12, s11, 0xfffffd43
	s_mov_b32 s13, 0
	s_cmp_lt_i32 s12, 0x57a
	global_store_b64 v4, v[2:3], s[6:7]
	s_cselect_b32 s14, -1, 0
.LBB69_176:                             ;   in Loop: Header=BB69_174 Depth=2
	s_delay_alu instid0(SALU_CYCLE_1)
	s_and_not1_b32 vcc_lo, exec_lo, s14
	s_wait_xcnt 0x0
	s_add_nc_u64 s[6:7], s[6:7], s[2:3]
	s_cbranch_vccz .LBB69_178
; %bb.177:                              ;   in Loop: Header=BB69_174 Depth=2
	s_mov_b32 s11, s12
	s_branch .LBB69_174
.LBB69_178:                             ;   in Loop: Header=BB69_173 Depth=1
	s_and_not1_b32 vcc_lo, exec_lo, s13
	s_mov_b32 s7, -1
                                        ; implicit-def: $sgpr6
	s_cbranch_vccz .LBB69_180
; %bb.179:                              ;   in Loop: Header=BB69_173 Depth=1
	s_add_co_i32 s6, s12, 0xfffffd43
	s_mov_b32 s7, 0
.LBB69_180:                             ;   in Loop: Header=BB69_173 Depth=1
	s_delay_alu instid0(SALU_CYCLE_1)
	s_and_not1_b32 vcc_lo, exec_lo, s7
	s_cbranch_vccnz .LBB69_172
; %bb.181:                              ;   in Loop: Header=BB69_173 Depth=1
	s_add_co_i32 s6, s11, 0xfffffd43
	s_branch .LBB69_172
.LBB69_182:
	s_cmp_lt_i32 s24, 0x12e
	s_cbranch_scc1 .LBB69_194
; %bb.183:
	v_mov_b32_e32 v4, 0
	s_add_nc_u64 s[4:5], s[52:53], s[50:51]
	s_mov_b64 s[2:3], 0xfffffffffffff698
	s_add_nc_u64 s[4:5], s[4:5], 0x968
	s_movk_i32 s9, 0x12d
	s_movk_i32 s10, 0x25a
	s_branch .LBB69_185
.LBB69_184:                             ;   in Loop: Header=BB69_185 Depth=1
	v_mov_b32_e32 v2, s6
	s_add_co_i32 s9, s9, 1
	s_add_co_i32 s10, s10, 1
	s_cmp_lg_u32 s9, s24
	s_add_nc_u64 s[4:5], s[4:5], 8
	global_store_b64 v2, v[0:1], s[36:37] scale_offset
	s_cbranch_scc0 .LBB69_194
.LBB69_185:                             ; =>This Loop Header: Depth=1
                                        ;     Child Loop BB69_186 Depth 2
	s_wait_xcnt 0x0
	v_mov_b32_e32 v0, s9
	s_mov_b64 s[6:7], s[4:5]
	s_mov_b32 s11, s10
	global_load_b64 v[0:1], v0, s[36:37] scale_offset
.LBB69_186:                             ;   Parent Loop BB69_185 Depth=1
                                        ; =>  This Inner Loop Header: Depth=2
	global_load_b64 v[2:3], v4, s[6:7] offset:-2408
	s_mov_b32 s13, -1
	s_mov_b32 s14, -1
                                        ; implicit-def: $sgpr12
	s_wait_loadcnt 0x0
	v_cmp_nlt_f64_e32 vcc_lo, v[2:3], v[0:1]
	s_cbranch_vccnz .LBB69_188
; %bb.187:                              ;   in Loop: Header=BB69_186 Depth=2
	s_add_co_i32 s12, s11, 0xfffffed3
	s_mov_b32 s13, 0
	s_cmp_lt_i32 s12, 0x25a
	global_store_b64 v4, v[2:3], s[6:7]
	s_cselect_b32 s14, -1, 0
.LBB69_188:                             ;   in Loop: Header=BB69_186 Depth=2
	s_delay_alu instid0(SALU_CYCLE_1)
	s_and_not1_b32 vcc_lo, exec_lo, s14
	s_wait_xcnt 0x0
	s_add_nc_u64 s[6:7], s[6:7], s[2:3]
	s_cbranch_vccz .LBB69_190
; %bb.189:                              ;   in Loop: Header=BB69_186 Depth=2
	s_mov_b32 s11, s12
	s_branch .LBB69_186
.LBB69_190:                             ;   in Loop: Header=BB69_185 Depth=1
	s_and_not1_b32 vcc_lo, exec_lo, s13
	s_mov_b32 s7, -1
                                        ; implicit-def: $sgpr6
	s_cbranch_vccz .LBB69_192
; %bb.191:                              ;   in Loop: Header=BB69_185 Depth=1
	s_add_co_i32 s6, s12, 0xfffffed3
	s_mov_b32 s7, 0
.LBB69_192:                             ;   in Loop: Header=BB69_185 Depth=1
	s_delay_alu instid0(SALU_CYCLE_1)
	s_and_not1_b32 vcc_lo, exec_lo, s7
	s_cbranch_vccnz .LBB69_184
; %bb.193:                              ;   in Loop: Header=BB69_185 Depth=1
	s_add_co_i32 s6, s11, 0xfffffed3
	s_branch .LBB69_184
.LBB69_194:
	s_cmp_lt_i32 s24, 0x85
	s_cbranch_scc1 .LBB69_206
; %bb.195:
	v_mov_b32_e32 v4, 0
	s_add_nc_u64 s[4:5], s[52:53], s[50:51]
	s_mov_b64 s[2:3], 0xfffffffffffffbe0
	s_add_nc_u64 s[4:5], s[4:5], 0x420
	s_movk_i32 s9, 0x84
	s_movk_i32 s10, 0x108
	s_branch .LBB69_197
.LBB69_196:                             ;   in Loop: Header=BB69_197 Depth=1
	v_mov_b32_e32 v2, s6
	s_add_co_i32 s9, s9, 1
	s_add_co_i32 s10, s10, 1
	s_cmp_lg_u32 s9, s24
	s_add_nc_u64 s[4:5], s[4:5], 8
	global_store_b64 v2, v[0:1], s[36:37] scale_offset
	s_cbranch_scc0 .LBB69_206
.LBB69_197:                             ; =>This Loop Header: Depth=1
                                        ;     Child Loop BB69_198 Depth 2
	s_wait_xcnt 0x0
	v_mov_b32_e32 v0, s9
	s_mov_b64 s[6:7], s[4:5]
	s_mov_b32 s11, s10
	global_load_b64 v[0:1], v0, s[36:37] scale_offset
.LBB69_198:                             ;   Parent Loop BB69_197 Depth=1
                                        ; =>  This Inner Loop Header: Depth=2
	global_load_b64 v[2:3], v4, s[6:7] offset:-1056
	s_mov_b32 s13, -1
	s_mov_b32 s14, -1
                                        ; implicit-def: $sgpr12
	s_wait_loadcnt 0x0
	v_cmp_nlt_f64_e32 vcc_lo, v[2:3], v[0:1]
	s_cbranch_vccnz .LBB69_200
; %bb.199:                              ;   in Loop: Header=BB69_198 Depth=2
	s_add_co_i32 s12, s11, 0xffffff7c
	s_mov_b32 s13, 0
	s_cmp_lt_i32 s12, 0x108
	global_store_b64 v4, v[2:3], s[6:7]
	s_cselect_b32 s14, -1, 0
.LBB69_200:                             ;   in Loop: Header=BB69_198 Depth=2
	s_delay_alu instid0(SALU_CYCLE_1)
	s_and_not1_b32 vcc_lo, exec_lo, s14
	s_wait_xcnt 0x0
	s_add_nc_u64 s[6:7], s[6:7], s[2:3]
	s_cbranch_vccz .LBB69_202
; %bb.201:                              ;   in Loop: Header=BB69_198 Depth=2
	s_mov_b32 s11, s12
	s_branch .LBB69_198
.LBB69_202:                             ;   in Loop: Header=BB69_197 Depth=1
	s_and_not1_b32 vcc_lo, exec_lo, s13
	s_mov_b32 s7, -1
                                        ; implicit-def: $sgpr6
	s_cbranch_vccz .LBB69_204
; %bb.203:                              ;   in Loop: Header=BB69_197 Depth=1
	s_add_co_i32 s6, s12, 0xffffff7c
	s_mov_b32 s7, 0
.LBB69_204:                             ;   in Loop: Header=BB69_197 Depth=1
	s_delay_alu instid0(SALU_CYCLE_1)
	s_and_not1_b32 vcc_lo, exec_lo, s7
	s_cbranch_vccnz .LBB69_196
; %bb.205:                              ;   in Loop: Header=BB69_197 Depth=1
	s_add_co_i32 s6, s11, 0xffffff7c
	s_branch .LBB69_196
.LBB69_206:
	s_cmp_lt_i32 s24, 58
	s_cbranch_scc1 .LBB69_218
; %bb.207:
	v_mov_b32_e32 v4, 0
	s_add_nc_u64 s[4:5], s[52:53], s[50:51]
	s_mov_b64 s[2:3], 0xfffffffffffffe38
	s_add_nc_u64 s[4:5], s[4:5], 0x1c8
	s_mov_b32 s9, 57
	s_movk_i32 s10, 0x72
	s_branch .LBB69_209
.LBB69_208:                             ;   in Loop: Header=BB69_209 Depth=1
	v_mov_b32_e32 v2, s6
	s_add_co_i32 s9, s9, 1
	s_add_co_i32 s10, s10, 1
	s_cmp_lg_u32 s9, s24
	s_add_nc_u64 s[4:5], s[4:5], 8
	global_store_b64 v2, v[0:1], s[36:37] scale_offset
	s_cbranch_scc0 .LBB69_218
.LBB69_209:                             ; =>This Loop Header: Depth=1
                                        ;     Child Loop BB69_210 Depth 2
	s_wait_xcnt 0x0
	v_mov_b32_e32 v0, s9
	s_mov_b64 s[6:7], s[4:5]
	s_mov_b32 s11, s10
	global_load_b64 v[0:1], v0, s[36:37] scale_offset
.LBB69_210:                             ;   Parent Loop BB69_209 Depth=1
                                        ; =>  This Inner Loop Header: Depth=2
	global_load_b64 v[2:3], v4, s[6:7] offset:-456
	s_mov_b32 s13, -1
	s_mov_b32 s14, -1
                                        ; implicit-def: $sgpr12
	s_wait_loadcnt 0x0
	v_cmp_nlt_f64_e32 vcc_lo, v[2:3], v[0:1]
	s_cbranch_vccnz .LBB69_212
; %bb.211:                              ;   in Loop: Header=BB69_210 Depth=2
	s_sub_co_i32 s12, s11, 57
	s_mov_b32 s13, 0
	s_cmp_lt_i32 s12, 0x72
	global_store_b64 v4, v[2:3], s[6:7]
	s_cselect_b32 s14, -1, 0
.LBB69_212:                             ;   in Loop: Header=BB69_210 Depth=2
	s_delay_alu instid0(SALU_CYCLE_1)
	s_and_not1_b32 vcc_lo, exec_lo, s14
	s_wait_xcnt 0x0
	s_add_nc_u64 s[6:7], s[6:7], s[2:3]
	s_cbranch_vccz .LBB69_214
; %bb.213:                              ;   in Loop: Header=BB69_210 Depth=2
	s_mov_b32 s11, s12
	s_branch .LBB69_210
.LBB69_214:                             ;   in Loop: Header=BB69_209 Depth=1
	s_and_not1_b32 vcc_lo, exec_lo, s13
	s_mov_b32 s7, -1
                                        ; implicit-def: $sgpr6
	s_cbranch_vccz .LBB69_216
; %bb.215:                              ;   in Loop: Header=BB69_209 Depth=1
	s_sub_co_i32 s6, s12, 57
	s_mov_b32 s7, 0
.LBB69_216:                             ;   in Loop: Header=BB69_209 Depth=1
	s_delay_alu instid0(SALU_CYCLE_1)
	s_and_not1_b32 vcc_lo, exec_lo, s7
	s_cbranch_vccnz .LBB69_208
; %bb.217:                              ;   in Loop: Header=BB69_209 Depth=1
	s_sub_co_i32 s6, s11, 57
	s_branch .LBB69_208
.LBB69_218:
	s_cmp_lt_i32 s24, 24
	s_cbranch_scc1 .LBB69_230
; %bb.219:
	v_mov_b32_e32 v4, 0
	s_add_nc_u64 s[4:5], s[52:53], s[50:51]
	s_mov_b64 s[2:3], 0xffffffffffffff48
	s_add_nc_u64 s[4:5], s[4:5], 0xb8
	s_mov_b32 s9, 23
	s_mov_b32 s10, 46
	s_branch .LBB69_221
.LBB69_220:                             ;   in Loop: Header=BB69_221 Depth=1
	v_mov_b32_e32 v2, s6
	s_add_co_i32 s9, s9, 1
	s_add_co_i32 s10, s10, 1
	s_cmp_lg_u32 s9, s24
	s_add_nc_u64 s[4:5], s[4:5], 8
	global_store_b64 v2, v[0:1], s[36:37] scale_offset
	s_cbranch_scc0 .LBB69_230
.LBB69_221:                             ; =>This Loop Header: Depth=1
                                        ;     Child Loop BB69_222 Depth 2
	s_wait_xcnt 0x0
	v_mov_b32_e32 v0, s9
	s_mov_b64 s[6:7], s[4:5]
	s_mov_b32 s11, s10
	global_load_b64 v[0:1], v0, s[36:37] scale_offset
.LBB69_222:                             ;   Parent Loop BB69_221 Depth=1
                                        ; =>  This Inner Loop Header: Depth=2
	global_load_b64 v[2:3], v4, s[6:7] offset:-184
	s_mov_b32 s13, -1
	s_mov_b32 s14, -1
                                        ; implicit-def: $sgpr12
	s_wait_loadcnt 0x0
	v_cmp_nlt_f64_e32 vcc_lo, v[2:3], v[0:1]
	s_cbranch_vccnz .LBB69_224
; %bb.223:                              ;   in Loop: Header=BB69_222 Depth=2
	s_sub_co_i32 s12, s11, 23
	s_mov_b32 s13, 0
	s_cmp_lt_i32 s12, 46
	global_store_b64 v4, v[2:3], s[6:7]
	s_cselect_b32 s14, -1, 0
.LBB69_224:                             ;   in Loop: Header=BB69_222 Depth=2
	s_delay_alu instid0(SALU_CYCLE_1)
	s_and_not1_b32 vcc_lo, exec_lo, s14
	s_wait_xcnt 0x0
	s_add_nc_u64 s[6:7], s[6:7], s[2:3]
	s_cbranch_vccz .LBB69_226
; %bb.225:                              ;   in Loop: Header=BB69_222 Depth=2
	s_mov_b32 s11, s12
	s_branch .LBB69_222
.LBB69_226:                             ;   in Loop: Header=BB69_221 Depth=1
	s_and_not1_b32 vcc_lo, exec_lo, s13
	s_mov_b32 s7, -1
                                        ; implicit-def: $sgpr6
	s_cbranch_vccz .LBB69_228
; %bb.227:                              ;   in Loop: Header=BB69_221 Depth=1
	s_sub_co_i32 s6, s12, 23
	s_mov_b32 s7, 0
.LBB69_228:                             ;   in Loop: Header=BB69_221 Depth=1
	s_delay_alu instid0(SALU_CYCLE_1)
	s_and_not1_b32 vcc_lo, exec_lo, s7
	s_cbranch_vccnz .LBB69_220
; %bb.229:                              ;   in Loop: Header=BB69_221 Depth=1
	s_sub_co_i32 s6, s11, 23
	s_branch .LBB69_220
.LBB69_230:
	s_cmp_lt_i32 s24, 11
	s_cbranch_scc1 .LBB69_242
; %bb.231:
	v_mov_b32_e32 v4, 0
	s_add_nc_u64 s[4:5], s[52:53], s[50:51]
	s_mov_b64 s[2:3], 0xffffffffffffffb0
	s_add_nc_u64 s[4:5], s[4:5], 0x50
	s_mov_b32 s9, 10
	s_mov_b32 s10, 20
	s_branch .LBB69_233
.LBB69_232:                             ;   in Loop: Header=BB69_233 Depth=1
	v_mov_b32_e32 v2, s6
	s_add_co_i32 s9, s9, 1
	s_add_co_i32 s10, s10, 1
	s_cmp_lg_u32 s9, s24
	s_add_nc_u64 s[4:5], s[4:5], 8
	global_store_b64 v2, v[0:1], s[36:37] scale_offset
	s_cbranch_scc0 .LBB69_242
.LBB69_233:                             ; =>This Loop Header: Depth=1
                                        ;     Child Loop BB69_234 Depth 2
	s_wait_xcnt 0x0
	v_mov_b32_e32 v0, s9
	s_mov_b64 s[6:7], s[4:5]
	s_mov_b32 s11, s10
	global_load_b64 v[0:1], v0, s[36:37] scale_offset
.LBB69_234:                             ;   Parent Loop BB69_233 Depth=1
                                        ; =>  This Inner Loop Header: Depth=2
	global_load_b64 v[2:3], v4, s[6:7] offset:-80
	s_mov_b32 s13, -1
	s_mov_b32 s14, -1
                                        ; implicit-def: $sgpr12
	s_wait_loadcnt 0x0
	v_cmp_nlt_f64_e32 vcc_lo, v[2:3], v[0:1]
	s_cbranch_vccnz .LBB69_236
; %bb.235:                              ;   in Loop: Header=BB69_234 Depth=2
	s_add_co_i32 s12, s11, -10
	s_mov_b32 s13, 0
	s_cmp_lt_i32 s12, 20
	global_store_b64 v4, v[2:3], s[6:7]
	s_cselect_b32 s14, -1, 0
.LBB69_236:                             ;   in Loop: Header=BB69_234 Depth=2
	s_delay_alu instid0(SALU_CYCLE_1)
	s_and_not1_b32 vcc_lo, exec_lo, s14
	s_wait_xcnt 0x0
	s_add_nc_u64 s[6:7], s[6:7], s[2:3]
	s_cbranch_vccz .LBB69_238
; %bb.237:                              ;   in Loop: Header=BB69_234 Depth=2
	s_mov_b32 s11, s12
	s_branch .LBB69_234
.LBB69_238:                             ;   in Loop: Header=BB69_233 Depth=1
	s_and_not1_b32 vcc_lo, exec_lo, s13
	s_mov_b32 s7, -1
                                        ; implicit-def: $sgpr6
	s_cbranch_vccz .LBB69_240
; %bb.239:                              ;   in Loop: Header=BB69_233 Depth=1
	s_add_co_i32 s6, s12, -10
	s_mov_b32 s7, 0
.LBB69_240:                             ;   in Loop: Header=BB69_233 Depth=1
	s_delay_alu instid0(SALU_CYCLE_1)
	s_and_not1_b32 vcc_lo, exec_lo, s7
	s_cbranch_vccnz .LBB69_232
; %bb.241:                              ;   in Loop: Header=BB69_233 Depth=1
	s_add_co_i32 s6, s11, -10
	s_branch .LBB69_232
.LBB69_242:
	s_cmp_lt_i32 s24, 5
	s_cbranch_scc1 .LBB69_254
; %bb.243:
	v_mov_b32_e32 v4, 0
	s_add_nc_u64 s[4:5], s[52:53], s[50:51]
	s_mov_b64 s[2:3], 0xffffffffffffffe0
	s_add_nc_u64 s[4:5], s[4:5], 32
	s_mov_b32 s9, 4
	s_mov_b32 s10, 8
	s_branch .LBB69_245
.LBB69_244:                             ;   in Loop: Header=BB69_245 Depth=1
	v_mov_b32_e32 v2, s6
	s_add_co_i32 s9, s9, 1
	s_add_co_i32 s10, s10, 1
	s_cmp_lg_u32 s9, s24
	s_add_nc_u64 s[4:5], s[4:5], 8
	global_store_b64 v2, v[0:1], s[36:37] scale_offset
	s_cbranch_scc0 .LBB69_254
.LBB69_245:                             ; =>This Loop Header: Depth=1
                                        ;     Child Loop BB69_246 Depth 2
	s_wait_xcnt 0x0
	v_mov_b32_e32 v0, s9
	s_mov_b64 s[6:7], s[4:5]
	s_mov_b32 s11, s10
	global_load_b64 v[0:1], v0, s[36:37] scale_offset
.LBB69_246:                             ;   Parent Loop BB69_245 Depth=1
                                        ; =>  This Inner Loop Header: Depth=2
	global_load_b64 v[2:3], v4, s[6:7] offset:-32
	s_mov_b32 s13, -1
	s_mov_b32 s14, -1
                                        ; implicit-def: $sgpr12
	s_wait_loadcnt 0x0
	v_cmp_nlt_f64_e32 vcc_lo, v[2:3], v[0:1]
	s_cbranch_vccnz .LBB69_248
; %bb.247:                              ;   in Loop: Header=BB69_246 Depth=2
	s_add_co_i32 s12, s11, -4
	s_mov_b32 s13, 0
	s_cmp_lt_i32 s12, 8
	global_store_b64 v4, v[2:3], s[6:7]
	s_cselect_b32 s14, -1, 0
.LBB69_248:                             ;   in Loop: Header=BB69_246 Depth=2
	s_delay_alu instid0(SALU_CYCLE_1)
	s_and_not1_b32 vcc_lo, exec_lo, s14
	s_wait_xcnt 0x0
	s_add_nc_u64 s[6:7], s[6:7], s[2:3]
	s_cbranch_vccz .LBB69_250
; %bb.249:                              ;   in Loop: Header=BB69_246 Depth=2
	s_mov_b32 s11, s12
	s_branch .LBB69_246
.LBB69_250:                             ;   in Loop: Header=BB69_245 Depth=1
	s_and_not1_b32 vcc_lo, exec_lo, s13
	s_mov_b32 s7, -1
                                        ; implicit-def: $sgpr6
	s_cbranch_vccz .LBB69_252
; %bb.251:                              ;   in Loop: Header=BB69_245 Depth=1
	s_add_co_i32 s6, s12, -4
	s_mov_b32 s7, 0
.LBB69_252:                             ;   in Loop: Header=BB69_245 Depth=1
	s_delay_alu instid0(SALU_CYCLE_1)
	s_and_not1_b32 vcc_lo, exec_lo, s7
	s_cbranch_vccnz .LBB69_244
; %bb.253:                              ;   in Loop: Header=BB69_245 Depth=1
	s_add_co_i32 s6, s11, -4
	s_branch .LBB69_244
.LBB69_254:
	s_cmp_lt_i32 s24, 2
	s_mov_b32 s6, 2
	s_cbranch_scc1 .LBB69_263
; %bb.255:
	v_mov_b32_e32 v4, 0
	s_add_nc_u64 s[2:3], s[52:53], s[50:51]
	s_mov_b32 s7, 1
	s_add_nc_u64 s[2:3], s[2:3], 8
	s_branch .LBB69_257
.LBB69_256:                             ;   in Loop: Header=BB69_257 Depth=1
	v_mov_b32_e32 v2, s4
	s_add_co_i32 s7, s7, 1
	s_add_co_i32 s6, s6, 1
	s_cmp_eq_u32 s7, s24
	s_add_nc_u64 s[2:3], s[2:3], 8
	global_store_b64 v2, v[0:1], s[36:37] scale_offset
	s_cbranch_scc1 .LBB69_263
.LBB69_257:                             ; =>This Loop Header: Depth=1
                                        ;     Child Loop BB69_259 Depth 2
	s_wait_xcnt 0x0
	v_mov_b32_e32 v0, s7
	s_mov_b64 s[4:5], s[2:3]
	s_mov_b32 s10, s6
	global_load_b64 v[0:1], v0, s[36:37] scale_offset
	s_branch .LBB69_259
.LBB69_258:                             ;   in Loop: Header=BB69_259 Depth=2
	s_and_not1_b32 vcc_lo, exec_lo, s12
	s_wait_xcnt 0x0
	s_add_nc_u64 s[4:5], s[4:5], -8
	s_cbranch_vccz .LBB69_261
.LBB69_259:                             ;   Parent Loop BB69_257 Depth=1
                                        ; =>  This Inner Loop Header: Depth=2
	global_load_b64 v[2:3], v4, s[4:5] offset:-8
	s_mov_b32 s9, s10
	s_mov_b32 s11, -1
	s_mov_b32 s12, -1
                                        ; implicit-def: $sgpr10
	s_wait_loadcnt 0x0
	v_cmp_nlt_f64_e32 vcc_lo, v[2:3], v[0:1]
	s_cbranch_vccnz .LBB69_258
; %bb.260:                              ;   in Loop: Header=BB69_259 Depth=2
	s_add_co_i32 s10, s9, -1
	s_mov_b32 s11, 0
	s_cmp_lt_i32 s10, 2
	global_store_b64 v4, v[2:3], s[4:5]
	s_cselect_b32 s12, -1, 0
	s_branch .LBB69_258
.LBB69_261:                             ;   in Loop: Header=BB69_257 Depth=1
	s_and_b32 vcc_lo, exec_lo, s11
	s_mov_b32 s4, 0
	s_cbranch_vccz .LBB69_256
; %bb.262:                              ;   in Loop: Header=BB69_257 Depth=1
	s_add_co_i32 s4, s9, -1
	s_branch .LBB69_256
.LBB69_263:
	s_wait_xcnt 0x0
	s_or_b32 exec_lo, exec_lo, s8
	s_cmp_lt_i32 s24, 2
	s_mov_b32 s56, 0
	s_cselect_b32 s5, -1, 0
	s_wait_storecnt 0x0
	s_and_b32 vcc_lo, exec_lo, s5
	s_barrier_signal -1
	s_barrier_wait -1
	s_cbranch_vccnz .LBB69_271
; %bb.264:
	s_add_co_i32 s4, s24, -1
	s_mov_b32 s5, -1
	s_mov_b32 s2, 0
	s_mov_b32 s3, exec_lo
	v_cmpx_gt_u32_e64 s4, v41
	s_cbranch_execz .LBB69_273
; %bb.265:
	v_dual_mov_b32 v1, 0 :: v_dual_mov_b32 v0, v41
	s_mov_b32 s5, 0
                                        ; implicit-def: $sgpr6
	s_branch .LBB69_267
.LBB69_266:                             ;   in Loop: Header=BB69_267 Depth=1
	s_or_b32 exec_lo, exec_lo, s9
	s_xor_b32 s7, s8, -1
	s_and_b32 s2, exec_lo, s2
	s_delay_alu instid0(SALU_CYCLE_1) | instskip(SKIP_2) | instid1(SALU_CYCLE_1)
	s_or_b32 s5, s2, s5
	s_and_not1_b32 s2, s6, exec_lo
	s_and_b32 s6, s7, exec_lo
	s_or_b32 s6, s2, s6
	s_and_not1_b32 exec_lo, exec_lo, s5
	s_cbranch_execz .LBB69_272
.LBB69_267:                             ; =>This Inner Loop Header: Depth=1
	global_load_b64 v[2:3], v0, s[36:37] scale_offset
	s_mov_b32 s8, exec_lo
	s_wait_loadcnt 0x0
	v_cmp_u_f64_e64 s7, v[2:3], v[2:3]
	v_cmpx_o_f64_e32 v[2:3], v[2:3]
	s_cbranch_execz .LBB69_269
; %bb.268:                              ;   in Loop: Header=BB69_267 Depth=1
	v_lshl_add_u64 v[4:5], v[0:1], 3, s[36:37]
	s_and_not1_b32 s7, s7, exec_lo
	global_load_b64 v[4:5], v[4:5], off offset:8
	s_wait_loadcnt 0x0
	v_cmp_u_f64_e32 vcc_lo, v[4:5], v[4:5]
	v_cmp_ge_f64_e64 s2, v[2:3], v[4:5]
	s_or_b32 s2, vcc_lo, s2
	s_delay_alu instid0(SALU_CYCLE_1) | instskip(NEXT) | instid1(SALU_CYCLE_1)
	s_and_b32 s2, s2, exec_lo
	s_or_b32 s7, s7, s2
.LBB69_269:                             ;   in Loop: Header=BB69_267 Depth=1
	s_or_b32 exec_lo, exec_lo, s8
	s_mov_b32 s2, -1
	s_mov_b32 s8, -1
	s_and_saveexec_b32 s9, s7
	s_cbranch_execz .LBB69_266
; %bb.270:                              ;   in Loop: Header=BB69_267 Depth=1
	v_add_nc_u32_e32 v0, s46, v0
	s_xor_b32 s8, exec_lo, -1
	s_delay_alu instid0(VALU_DEP_1)
	v_cmp_le_u32_e32 vcc_lo, s4, v0
	s_or_not1_b32 s2, vcc_lo, exec_lo
	s_branch .LBB69_266
.LBB69_271:
	s_mov_b32 s2, 0
	s_branch .LBB69_274
.LBB69_272:
	s_or_b32 exec_lo, exec_lo, s5
	s_delay_alu instid0(SALU_CYCLE_1)
	s_mov_b32 s2, exec_lo
	s_or_not1_b32 s5, s6, exec_lo
.LBB69_273:
	s_or_b32 exec_lo, exec_lo, s3
.LBB69_274:
	s_and_saveexec_b32 s3, s5
	s_cbranch_execz .LBB69_276
; %bb.275:
	s_mov_b32 s56, exec_lo
	s_barrier_signal -1
	s_barrier_wait -1
	s_and_not1_b32 s2, s2, exec_lo
.LBB69_276:
	s_or_b32 exec_lo, exec_lo, s3
	s_and_saveexec_b32 s40, s2
	s_cbranch_execz .LBB69_278
; %bb.277:
	s_get_pc_i64 s[2:3]
	s_add_nc_u64 s[2:3], s[2:3], __PRETTY_FUNCTION__._ZN9rocsolver6v33100L21shell_sort_descendingIdiEEvT0_PT_PS2_@rel64+4
	s_add_nc_u64 s[8:9], s[0:1], 0x90
	v_dual_mov_b32 v0, s2 :: v_dual_mov_b32 v1, s3
	s_get_pc_i64 s[0:1]
	s_add_nc_u64 s[0:1], s[0:1], __assert_fail@rel64+4
	s_delay_alu instid0(SALU_CYCLE_1)
	s_swap_pc_i64 s[30:31], s[0:1]
	s_or_b32 s54, s54, exec_lo
.LBB69_278:
	s_or_b32 exec_lo, exec_lo, s40
.LBB69_279:
	s_wait_xcnt 0x0
	s_and_saveexec_b32 s0, s54
; %bb.280:
	; divergent unreachable
; %bb.281:
	s_delay_alu instid0(SALU_CYCLE_1)
	s_or_b32 exec_lo, exec_lo, s0
	s_and_saveexec_b32 s0, s56
	s_cbranch_execz .LBB69_283
; %bb.282:
	s_wait_storecnt 0x0
	s_barrier_signal -1
	s_barrier_wait -1
.LBB69_283:
	s_or_b32 exec_lo, exec_lo, s0
	s_cbranch_execnz .LBB69_307
.LBB69_284:
	s_cmp_lt_i32 s24, 2
	s_cbranch_scc1 .LBB69_307
; %bb.285:
	v_mul_lo_u32 v2, s47, v41
	v_mul_lo_u32 v3, s49, v41
	s_cmp_lg_u32 s25, 0
	v_cmp_eq_u32_e64 s0, 0, v41
	s_wait_xcnt 0x0
	s_cselect_b32 s12, -1, 0
	s_cmp_lg_u32 s26, 0
	v_cmp_gt_i32_e64 s1, s25, v41
	v_cmp_gt_i32_e64 s2, s26, v41
	;; [unrolled: 1-line block ×3, first 2 shown]
	v_mov_b32_e32 v4, 0
	s_cselect_b32 s13, -1, 0
	s_cmp_lg_u32 s27, 0
	s_add_nc_u64 s[6:7], s[52:53], s[50:51]
	s_mov_b32 s5, 0
	s_cselect_b32 s14, -1, 0
	s_add_co_i32 s15, s24, -2
	s_add_nc_u64 s[6:7], s[6:7], 8
	s_mul_i32 s16, s47, s21
	s_mul_i32 s17, s49, s21
	s_mov_b32 s18, 0
	s_mov_b32 s19, 0
	s_branch .LBB69_288
.LBB69_286:                             ;   in Loop: Header=BB69_288 Depth=1
	s_or_b32 exec_lo, exec_lo, s8
	s_wait_storecnt 0x0
	s_barrier_signal -1
	s_barrier_wait -1
.LBB69_287:                             ;   in Loop: Header=BB69_288 Depth=1
	s_add_co_i32 s18, s18, s43
	s_cmp_eq_u32 s4, s15
	s_add_nc_u64 s[6:7], s[6:7], 8
	s_cbranch_scc1 .LBB69_307
.LBB69_288:                             ; =>This Loop Header: Depth=1
                                        ;     Child Loop BB69_289 Depth 2
                                        ;     Child Loop BB69_296 Depth 2
	;; [unrolled: 1-line block ×4, first 2 shown]
	v_mov_b32_e32 v0, s19
	s_mov_b32 s4, s19
	s_add_co_i32 s19, s19, 1
	s_lshl_b64 s[8:9], s[4:5], 3
	s_mov_b64 s[10:11], s[6:7]
	global_load_b64 v[0:1], v0, s[36:37] scale_offset
	s_add_nc_u64 s[8:9], s[36:37], s[8:9]
	s_mov_b32 s30, s19
	s_mov_b32 s20, s4
.LBB69_289:                             ;   Parent Loop BB69_288 Depth=1
                                        ; =>  This Inner Loop Header: Depth=2
	global_load_b64 v[6:7], v4, s[10:11]
	s_wait_xcnt 0x0
	s_add_nc_u64 s[10:11], s[10:11], 8
	s_wait_loadcnt 0x0
	v_cmp_gt_f64_e32 vcc_lo, v[6:7], v[0:1]
	v_dual_cndmask_b32 v1, v1, v7 :: v_dual_cndmask_b32 v0, v0, v6
	s_and_b32 s31, vcc_lo, exec_lo
	s_cselect_b32 s20, s30, s20
	s_add_co_i32 s30, s30, 1
	s_delay_alu instid0(SALU_CYCLE_1)
	s_cmp_lg_u32 s24, s30
	s_cbranch_scc1 .LBB69_289
; %bb.290:                              ;   in Loop: Header=BB69_288 Depth=1
	s_cmp_eq_u32 s20, s4
	s_wait_storecnt 0x0
	s_barrier_signal -1
	s_barrier_wait -1
	s_cbranch_scc1 .LBB69_287
; %bb.291:                              ;   in Loop: Header=BB69_288 Depth=1
	s_and_saveexec_b32 s10, s0
	s_cbranch_execz .LBB69_293
; %bb.292:                              ;   in Loop: Header=BB69_288 Depth=1
	global_load_b64 v[6:7], v4, s[8:9]
	v_mov_b32_e32 v5, s20
	s_wait_loadcnt 0x0
	s_clause 0x1
	global_store_b64 v5, v[6:7], s[36:37] scale_offset
	global_store_b64 v4, v[0:1], s[8:9]
.LBB69_293:                             ;   in Loop: Header=BB69_288 Depth=1
	s_wait_xcnt 0x0
	s_or_b32 exec_lo, exec_lo, s10
	s_delay_alu instid0(SALU_CYCLE_1)
	s_and_not1_b32 vcc_lo, exec_lo, s12
	s_cbranch_vccnz .LBB69_298
; %bb.294:                              ;   in Loop: Header=BB69_288 Depth=1
	s_and_saveexec_b32 s8, s1
	s_cbranch_execz .LBB69_297
; %bb.295:                              ;   in Loop: Header=BB69_288 Depth=1
	v_dual_mov_b32 v0, v2 :: v_dual_mov_b32 v1, v41
	s_mov_b32 s9, 0
.LBB69_296:                             ;   Parent Loop BB69_288 Depth=1
                                        ; =>  This Inner Loop Header: Depth=2
	s_delay_alu instid0(VALU_DEP_1) | instskip(NEXT) | instid1(VALU_DEP_2)
	v_dual_add_nc_u32 v5, s4, v0 :: v_dual_add_nc_u32 v10, s20, v0
	v_dual_add_nc_u32 v1, s21, v1 :: v_dual_add_nc_u32 v0, s16, v0
	s_clause 0x1
	global_load_b64 v[6:7], v5, s[34:35] scale_offset
	global_load_b64 v[8:9], v10, s[34:35] scale_offset
	s_wait_loadcnt 0x1
	global_store_b64 v10, v[6:7], s[34:35] scale_offset
	s_wait_loadcnt 0x0
	global_store_b64 v5, v[8:9], s[34:35] scale_offset
	v_cmp_le_i32_e32 vcc_lo, s25, v1
	s_or_b32 s9, vcc_lo, s9
	s_wait_xcnt 0x0
	s_and_not1_b32 exec_lo, exec_lo, s9
	s_cbranch_execnz .LBB69_296
.LBB69_297:                             ;   in Loop: Header=BB69_288 Depth=1
	s_or_b32 exec_lo, exec_lo, s8
	s_wait_storecnt 0x0
	s_barrier_signal -1
	s_barrier_wait -1
.LBB69_298:                             ;   in Loop: Header=BB69_288 Depth=1
	s_and_not1_b32 vcc_lo, exec_lo, s13
	s_cbranch_vccnz .LBB69_303
; %bb.299:                              ;   in Loop: Header=BB69_288 Depth=1
	s_and_saveexec_b32 s8, s2
	s_cbranch_execz .LBB69_302
; %bb.300:                              ;   in Loop: Header=BB69_288 Depth=1
	v_mov_b32_e32 v0, v41
	s_mul_i32 s9, s20, s43
	s_mov_b32 s10, 0
.LBB69_301:                             ;   Parent Loop BB69_288 Depth=1
                                        ; =>  This Inner Loop Header: Depth=2
	s_delay_alu instid0(VALU_DEP_1)
	v_dual_add_nc_u32 v1, s18, v0 :: v_dual_add_nc_u32 v5, s9, v0
	v_add_nc_u32_e32 v0, s21, v0
	s_clause 0x1
	global_load_b64 v[6:7], v1, s[28:29] scale_offset
	global_load_b64 v[8:9], v5, s[28:29] scale_offset
	s_wait_loadcnt 0x1
	global_store_b64 v5, v[6:7], s[28:29] scale_offset
	s_wait_loadcnt 0x0
	global_store_b64 v1, v[8:9], s[28:29] scale_offset
	v_cmp_le_i32_e32 vcc_lo, s26, v0
	s_or_b32 s10, vcc_lo, s10
	s_wait_xcnt 0x0
	s_and_not1_b32 exec_lo, exec_lo, s10
	s_cbranch_execnz .LBB69_301
.LBB69_302:                             ;   in Loop: Header=BB69_288 Depth=1
	s_or_b32 exec_lo, exec_lo, s8
	s_wait_storecnt 0x0
	s_barrier_signal -1
	s_barrier_wait -1
.LBB69_303:                             ;   in Loop: Header=BB69_288 Depth=1
	s_and_not1_b32 vcc_lo, exec_lo, s14
	s_cbranch_vccnz .LBB69_287
; %bb.304:                              ;   in Loop: Header=BB69_288 Depth=1
	s_and_saveexec_b32 s8, s3
	s_cbranch_execz .LBB69_286
; %bb.305:                              ;   in Loop: Header=BB69_288 Depth=1
	v_dual_mov_b32 v0, v3 :: v_dual_mov_b32 v1, v41
	s_mov_b32 s9, 0
.LBB69_306:                             ;   Parent Loop BB69_288 Depth=1
                                        ; =>  This Inner Loop Header: Depth=2
	s_delay_alu instid0(VALU_DEP_1) | instskip(NEXT) | instid1(VALU_DEP_2)
	v_dual_add_nc_u32 v5, s4, v0 :: v_dual_add_nc_u32 v10, s20, v0
	v_dual_add_nc_u32 v1, s21, v1 :: v_dual_add_nc_u32 v0, s17, v0
	s_clause 0x1
	global_load_b64 v[6:7], v5, s[44:45] scale_offset
	global_load_b64 v[8:9], v10, s[44:45] scale_offset
	s_wait_loadcnt 0x1
	global_store_b64 v10, v[6:7], s[44:45] scale_offset
	s_wait_loadcnt 0x0
	global_store_b64 v5, v[8:9], s[44:45] scale_offset
	v_cmp_le_i32_e32 vcc_lo, s27, v1
	s_or_b32 s9, vcc_lo, s9
	s_wait_xcnt 0x0
	s_and_not1_b32 exec_lo, exec_lo, s9
	s_cbranch_execnz .LBB69_306
	s_branch .LBB69_286
.LBB69_307:
	s_mov_b32 s2, 0
.LBB69_308:
	s_delay_alu instid0(SALU_CYCLE_1)
	s_and_not1_b32 vcc_lo, exec_lo, s2
	s_cbranch_vccnz .LBB69_311
; %bb.309:
	s_mov_b32 s0, exec_lo
	s_wait_xcnt 0x0
	v_cmpx_eq_u32_e32 0, v41
	s_cbranch_execz .LBB69_311
; %bb.310:
	v_dual_mov_b32 v0, 0 :: v_dual_mov_b32 v1, s42
	s_add_nc_u64 s[0:1], s[38:39], s[22:23]
	global_store_b32 v0, v1, s[0:1]
.LBB69_311:
	s_endpgm
	.section	.rodata,"a",@progbits
	.p2align	6, 0x0
	.amdhsa_kernel _ZN9rocsolver6v33100L14bdsqr_finalizeIddPdS2_S2_EEviiiiPT0_lS4_lT1_iilT2_iilT3_iilPiS8_S8_
		.amdhsa_group_segment_fixed_size 0
		.amdhsa_private_segment_fixed_size 64
		.amdhsa_kernarg_size 400
		.amdhsa_user_sgpr_count 2
		.amdhsa_user_sgpr_dispatch_ptr 0
		.amdhsa_user_sgpr_queue_ptr 0
		.amdhsa_user_sgpr_kernarg_segment_ptr 1
		.amdhsa_user_sgpr_dispatch_id 0
		.amdhsa_user_sgpr_kernarg_preload_length 0
		.amdhsa_user_sgpr_kernarg_preload_offset 0
		.amdhsa_user_sgpr_private_segment_size 0
		.amdhsa_wavefront_size32 1
		.amdhsa_uses_dynamic_stack 0
		.amdhsa_enable_private_segment 1
		.amdhsa_system_sgpr_workgroup_id_x 1
		.amdhsa_system_sgpr_workgroup_id_y 1
		.amdhsa_system_sgpr_workgroup_id_z 0
		.amdhsa_system_sgpr_workgroup_info 0
		.amdhsa_system_vgpr_workitem_id 2
		.amdhsa_next_free_vgpr 49
		.amdhsa_next_free_sgpr 60
		.amdhsa_named_barrier_count 0
		.amdhsa_reserve_vcc 1
		.amdhsa_float_round_mode_32 0
		.amdhsa_float_round_mode_16_64 0
		.amdhsa_float_denorm_mode_32 3
		.amdhsa_float_denorm_mode_16_64 3
		.amdhsa_fp16_overflow 0
		.amdhsa_memory_ordered 1
		.amdhsa_forward_progress 1
		.amdhsa_inst_pref_size 64
		.amdhsa_round_robin_scheduling 0
		.amdhsa_exception_fp_ieee_invalid_op 0
		.amdhsa_exception_fp_denorm_src 0
		.amdhsa_exception_fp_ieee_div_zero 0
		.amdhsa_exception_fp_ieee_overflow 0
		.amdhsa_exception_fp_ieee_underflow 0
		.amdhsa_exception_fp_ieee_inexact 0
		.amdhsa_exception_int_div_zero 0
	.end_amdhsa_kernel
	.section	.text._ZN9rocsolver6v33100L14bdsqr_finalizeIddPdS2_S2_EEviiiiPT0_lS4_lT1_iilT2_iilT3_iilPiS8_S8_,"axG",@progbits,_ZN9rocsolver6v33100L14bdsqr_finalizeIddPdS2_S2_EEviiiiPT0_lS4_lT1_iilT2_iilT3_iilPiS8_S8_,comdat
.Lfunc_end69:
	.size	_ZN9rocsolver6v33100L14bdsqr_finalizeIddPdS2_S2_EEviiiiPT0_lS4_lT1_iilT2_iilT3_iilPiS8_S8_, .Lfunc_end69-_ZN9rocsolver6v33100L14bdsqr_finalizeIddPdS2_S2_EEviiiiPT0_lS4_lT1_iilT2_iilT3_iilPiS8_S8_
                                        ; -- End function
	.set _ZN9rocsolver6v33100L14bdsqr_finalizeIddPdS2_S2_EEviiiiPT0_lS4_lT1_iilT2_iilT3_iilPiS8_S8_.num_vgpr, max(45, .L__assert_fail.num_vgpr)
	.set _ZN9rocsolver6v33100L14bdsqr_finalizeIddPdS2_S2_EEviiiiPT0_lS4_lT1_iilT2_iilT3_iilPiS8_S8_.num_agpr, max(0, .L__assert_fail.num_agpr)
	.set _ZN9rocsolver6v33100L14bdsqr_finalizeIddPdS2_S2_EEviiiiPT0_lS4_lT1_iilT2_iilT3_iilPiS8_S8_.numbered_sgpr, max(60, .L__assert_fail.numbered_sgpr)
	.set _ZN9rocsolver6v33100L14bdsqr_finalizeIddPdS2_S2_EEviiiiPT0_lS4_lT1_iilT2_iilT3_iilPiS8_S8_.num_named_barrier, max(0, .L__assert_fail.num_named_barrier)
	.set _ZN9rocsolver6v33100L14bdsqr_finalizeIddPdS2_S2_EEviiiiPT0_lS4_lT1_iilT2_iilT3_iilPiS8_S8_.private_seg_size, 0+max(.L__assert_fail.private_seg_size)
	.set _ZN9rocsolver6v33100L14bdsqr_finalizeIddPdS2_S2_EEviiiiPT0_lS4_lT1_iilT2_iilT3_iilPiS8_S8_.uses_vcc, or(1, .L__assert_fail.uses_vcc)
	.set _ZN9rocsolver6v33100L14bdsqr_finalizeIddPdS2_S2_EEviiiiPT0_lS4_lT1_iilT2_iilT3_iilPiS8_S8_.uses_flat_scratch, or(0, .L__assert_fail.uses_flat_scratch)
	.set _ZN9rocsolver6v33100L14bdsqr_finalizeIddPdS2_S2_EEviiiiPT0_lS4_lT1_iilT2_iilT3_iilPiS8_S8_.has_dyn_sized_stack, or(0, .L__assert_fail.has_dyn_sized_stack)
	.set _ZN9rocsolver6v33100L14bdsqr_finalizeIddPdS2_S2_EEviiiiPT0_lS4_lT1_iilT2_iilT3_iilPiS8_S8_.has_recursion, or(0, .L__assert_fail.has_recursion)
	.set _ZN9rocsolver6v33100L14bdsqr_finalizeIddPdS2_S2_EEviiiiPT0_lS4_lT1_iilT2_iilT3_iilPiS8_S8_.has_indirect_call, or(0, .L__assert_fail.has_indirect_call)
	.section	.AMDGPU.csdata,"",@progbits
; Kernel info:
; codeLenInByte = 8120
; TotalNumSgprs: 62
; NumVgprs: 49
; ScratchSize: 64
; MemoryBound: 0
; FloatMode: 240
; IeeeMode: 1
; LDSByteSize: 0 bytes/workgroup (compile time only)
; SGPRBlocks: 0
; VGPRBlocks: 3
; NumSGPRsForWavesPerEU: 62
; NumVGPRsForWavesPerEU: 49
; NamedBarCnt: 0
; Occupancy: 16
; WaveLimiterHint : 1
; COMPUTE_PGM_RSRC2:SCRATCH_EN: 1
; COMPUTE_PGM_RSRC2:USER_SGPR: 2
; COMPUTE_PGM_RSRC2:TRAP_HANDLER: 0
; COMPUTE_PGM_RSRC2:TGID_X_EN: 1
; COMPUTE_PGM_RSRC2:TGID_Y_EN: 1
; COMPUTE_PGM_RSRC2:TGID_Z_EN: 0
; COMPUTE_PGM_RSRC2:TIDIG_COMP_CNT: 2
	.section	.text._ZN9rocsolver6v33100L8copy_matIdPdS2_NS0_7no_maskEEEviiT0_iilT1_iilT2_13rocblas_fill_17rocblas_diagonal_,"axG",@progbits,_ZN9rocsolver6v33100L8copy_matIdPdS2_NS0_7no_maskEEEviiT0_iilT1_iilT2_13rocblas_fill_17rocblas_diagonal_,comdat
	.globl	_ZN9rocsolver6v33100L8copy_matIdPdS2_NS0_7no_maskEEEviiT0_iilT1_iilT2_13rocblas_fill_17rocblas_diagonal_ ; -- Begin function _ZN9rocsolver6v33100L8copy_matIdPdS2_NS0_7no_maskEEEviiT0_iilT1_iilT2_13rocblas_fill_17rocblas_diagonal_
	.p2align	8
	.type	_ZN9rocsolver6v33100L8copy_matIdPdS2_NS0_7no_maskEEEviiT0_iilT1_iilT2_13rocblas_fill_17rocblas_diagonal_,@function
_ZN9rocsolver6v33100L8copy_matIdPdS2_NS0_7no_maskEEEviiT0_iilT1_iilT2_13rocblas_fill_17rocblas_diagonal_: ; @_ZN9rocsolver6v33100L8copy_matIdPdS2_NS0_7no_maskEEEviiT0_iilT1_iilT2_13rocblas_fill_17rocblas_diagonal_
; %bb.0:
	s_clause 0x1
	s_load_b32 s2, s[0:1], 0x54
	s_load_b64 s[4:5], s[0:1], 0x0
	s_bfe_u32 s7, ttmp6, 0x4000c
	s_bfe_u32 s9, ttmp6, 0x40010
	s_and_b32 s8, ttmp7, 0xffff
	s_add_co_i32 s7, s7, 1
	s_add_co_i32 s9, s9, 1
	s_and_b32 s6, ttmp6, 15
	s_bfe_u32 s10, ttmp6, 0x40004
	s_mul_i32 s7, ttmp9, s7
	s_mul_i32 s9, s8, s9
	s_getreg_b32 s3, hwreg(HW_REG_IB_STS2, 6, 4)
	v_bfe_u32 v1, v0, 10, 10
	v_and_b32_e32 v0, 0x3ff, v0
	s_add_co_i32 s6, s6, s7
	s_add_co_i32 s10, s10, s9
	s_wait_kmcnt 0x0
	s_lshr_b32 s7, s2, 16
	s_and_b32 s2, s2, 0xffff
	s_cmp_eq_u32 s3, 0
	s_cselect_b32 s6, ttmp9, s6
	s_cselect_b32 s8, s8, s10
	v_mad_u32 v0, s6, s2, v0
	v_mad_u32 v1, s8, s7, v1
	s_delay_alu instid0(VALU_DEP_2) | instskip(NEXT) | instid1(VALU_DEP_2)
	v_cmp_gt_u32_e32 vcc_lo, s4, v0
	v_cmp_gt_u32_e64 s2, s5, v1
	s_and_b32 s2, s2, vcc_lo
	s_delay_alu instid0(SALU_CYCLE_1)
	s_and_saveexec_b32 s4, s2
	s_cbranch_execz .LBB70_14
; %bb.1:
	s_load_b64 s[4:5], s[0:1], 0x3c
	s_wait_kmcnt 0x0
	s_cmp_lt_i32 s4, 0x7a
	s_cbranch_scc1 .LBB70_4
; %bb.2:
	s_cmp_gt_i32 s4, 0x7a
	s_cbranch_scc0 .LBB70_5
; %bb.3:
	s_cmp_lg_u32 s4, 0x7b
	s_mov_b32 s6, -1
	s_cselect_b32 s7, -1, 0
	s_cbranch_execz .LBB70_6
	s_branch .LBB70_7
.LBB70_4:
	s_mov_b32 s7, 0
	s_mov_b32 s6, 0
	s_cbranch_execnz .LBB70_8
	s_branch .LBB70_10
.LBB70_5:
	s_mov_b32 s6, 0
	s_mov_b32 s7, 0
.LBB70_6:
	v_cmp_gt_u32_e32 vcc_lo, v0, v1
	v_cmp_le_u32_e64 s2, v0, v1
	s_and_not1_b32 s6, s6, exec_lo
	s_and_not1_b32 s7, s7, exec_lo
	s_and_b32 s8, vcc_lo, exec_lo
	s_and_b32 s2, s2, exec_lo
	s_or_b32 s6, s6, s8
	s_or_b32 s7, s7, s2
.LBB70_7:
	s_branch .LBB70_10
.LBB70_8:
	s_cmp_eq_u32 s4, 0x79
	s_mov_b32 s7, -1
	s_cbranch_scc0 .LBB70_10
; %bb.9:
	v_cmp_gt_u32_e32 vcc_lo, v1, v0
	v_cmp_le_u32_e64 s2, v1, v0
	s_and_not1_b32 s4, s6, exec_lo
	s_and_b32 s6, vcc_lo, exec_lo
	s_or_not1_b32 s7, s2, exec_lo
	s_or_b32 s6, s4, s6
.LBB70_10:
	s_and_saveexec_b32 s2, s7
; %bb.11:
	v_cmp_eq_u32_e32 vcc_lo, v0, v1
	s_cmp_eq_u32 s5, 0x83
	s_cselect_b32 s4, -1, 0
	s_and_not1_b32 s5, s6, exec_lo
	s_and_b32 s4, s4, vcc_lo
	s_delay_alu instid0(SALU_CYCLE_1) | instskip(NEXT) | instid1(SALU_CYCLE_1)
	s_and_b32 s4, s4, exec_lo
	s_or_b32 s6, s5, s4
; %bb.12:
	s_or_b32 exec_lo, exec_lo, s2
	s_delay_alu instid0(SALU_CYCLE_1)
	s_and_b32 exec_lo, exec_lo, s6
	s_cbranch_execz .LBB70_14
; %bb.13:
	s_load_b256 s[4:11], s[0:1], 0x8
	s_bfe_u32 s2, ttmp6, 0x40014
	s_lshr_b32 s12, ttmp7, 16
	s_add_co_i32 s2, s2, 1
	s_bfe_u32 s14, ttmp6, 0x40008
	s_mul_i32 s2, s12, s2
	s_mov_b32 s13, 0
	s_add_co_i32 s14, s14, s2
	s_wait_kmcnt 0x0
	s_ashr_i32 s15, s6, 31
	s_cmp_eq_u32 s3, 0
	v_mad_u32 v2, v1, s7, v0
	s_cselect_b32 s12, s12, s14
	s_mov_b32 s14, s6
	s_mul_u64 s[2:3], s[8:9], s[12:13]
	s_delay_alu instid0(SALU_CYCLE_1) | instskip(NEXT) | instid1(SALU_CYCLE_1)
	s_lshl_b64 s[2:3], s[2:3], 3
	s_add_nc_u64 s[2:3], s[4:5], s[2:3]
	s_lshl_b64 s[4:5], s[14:15], 3
	s_delay_alu instid0(SALU_CYCLE_1)
	s_add_nc_u64 s[2:3], s[2:3], s[4:5]
	s_load_b128 s[4:7], s[0:1], 0x28
	global_load_b64 v[2:3], v2, s[2:3] scale_offset
	s_wait_kmcnt 0x0
	v_mad_u32 v0, v1, s5, v0
	s_mul_u64 s[0:1], s[6:7], s[12:13]
	s_wait_xcnt 0x0
	s_ashr_i32 s3, s4, 31
	s_lshl_b64 s[0:1], s[0:1], 3
	s_mov_b32 s2, s4
	s_add_nc_u64 s[0:1], s[10:11], s[0:1]
	s_lshl_b64 s[2:3], s[2:3], 3
	s_delay_alu instid0(SALU_CYCLE_1)
	s_add_nc_u64 s[0:1], s[0:1], s[2:3]
	s_wait_loadcnt 0x0
	global_store_b64 v0, v[2:3], s[0:1] scale_offset
.LBB70_14:
	s_endpgm
	.section	.rodata,"a",@progbits
	.p2align	6, 0x0
	.amdhsa_kernel _ZN9rocsolver6v33100L8copy_matIdPdS2_NS0_7no_maskEEEviiT0_iilT1_iilT2_13rocblas_fill_17rocblas_diagonal_
		.amdhsa_group_segment_fixed_size 0
		.amdhsa_private_segment_fixed_size 0
		.amdhsa_kernarg_size 328
		.amdhsa_user_sgpr_count 2
		.amdhsa_user_sgpr_dispatch_ptr 0
		.amdhsa_user_sgpr_queue_ptr 0
		.amdhsa_user_sgpr_kernarg_segment_ptr 1
		.amdhsa_user_sgpr_dispatch_id 0
		.amdhsa_user_sgpr_kernarg_preload_length 0
		.amdhsa_user_sgpr_kernarg_preload_offset 0
		.amdhsa_user_sgpr_private_segment_size 0
		.amdhsa_wavefront_size32 1
		.amdhsa_uses_dynamic_stack 0
		.amdhsa_enable_private_segment 0
		.amdhsa_system_sgpr_workgroup_id_x 1
		.amdhsa_system_sgpr_workgroup_id_y 1
		.amdhsa_system_sgpr_workgroup_id_z 1
		.amdhsa_system_sgpr_workgroup_info 0
		.amdhsa_system_vgpr_workitem_id 1
		.amdhsa_next_free_vgpr 4
		.amdhsa_next_free_sgpr 16
		.amdhsa_named_barrier_count 0
		.amdhsa_reserve_vcc 1
		.amdhsa_float_round_mode_32 0
		.amdhsa_float_round_mode_16_64 0
		.amdhsa_float_denorm_mode_32 3
		.amdhsa_float_denorm_mode_16_64 3
		.amdhsa_fp16_overflow 0
		.amdhsa_memory_ordered 1
		.amdhsa_forward_progress 1
		.amdhsa_inst_pref_size 5
		.amdhsa_round_robin_scheduling 0
		.amdhsa_exception_fp_ieee_invalid_op 0
		.amdhsa_exception_fp_denorm_src 0
		.amdhsa_exception_fp_ieee_div_zero 0
		.amdhsa_exception_fp_ieee_overflow 0
		.amdhsa_exception_fp_ieee_underflow 0
		.amdhsa_exception_fp_ieee_inexact 0
		.amdhsa_exception_int_div_zero 0
	.end_amdhsa_kernel
	.section	.text._ZN9rocsolver6v33100L8copy_matIdPdS2_NS0_7no_maskEEEviiT0_iilT1_iilT2_13rocblas_fill_17rocblas_diagonal_,"axG",@progbits,_ZN9rocsolver6v33100L8copy_matIdPdS2_NS0_7no_maskEEEviiT0_iilT1_iilT2_13rocblas_fill_17rocblas_diagonal_,comdat
.Lfunc_end70:
	.size	_ZN9rocsolver6v33100L8copy_matIdPdS2_NS0_7no_maskEEEviiT0_iilT1_iilT2_13rocblas_fill_17rocblas_diagonal_, .Lfunc_end70-_ZN9rocsolver6v33100L8copy_matIdPdS2_NS0_7no_maskEEEviiT0_iilT1_iilT2_13rocblas_fill_17rocblas_diagonal_
                                        ; -- End function
	.set _ZN9rocsolver6v33100L8copy_matIdPdS2_NS0_7no_maskEEEviiT0_iilT1_iilT2_13rocblas_fill_17rocblas_diagonal_.num_vgpr, 4
	.set _ZN9rocsolver6v33100L8copy_matIdPdS2_NS0_7no_maskEEEviiT0_iilT1_iilT2_13rocblas_fill_17rocblas_diagonal_.num_agpr, 0
	.set _ZN9rocsolver6v33100L8copy_matIdPdS2_NS0_7no_maskEEEviiT0_iilT1_iilT2_13rocblas_fill_17rocblas_diagonal_.numbered_sgpr, 16
	.set _ZN9rocsolver6v33100L8copy_matIdPdS2_NS0_7no_maskEEEviiT0_iilT1_iilT2_13rocblas_fill_17rocblas_diagonal_.num_named_barrier, 0
	.set _ZN9rocsolver6v33100L8copy_matIdPdS2_NS0_7no_maskEEEviiT0_iilT1_iilT2_13rocblas_fill_17rocblas_diagonal_.private_seg_size, 0
	.set _ZN9rocsolver6v33100L8copy_matIdPdS2_NS0_7no_maskEEEviiT0_iilT1_iilT2_13rocblas_fill_17rocblas_diagonal_.uses_vcc, 1
	.set _ZN9rocsolver6v33100L8copy_matIdPdS2_NS0_7no_maskEEEviiT0_iilT1_iilT2_13rocblas_fill_17rocblas_diagonal_.uses_flat_scratch, 0
	.set _ZN9rocsolver6v33100L8copy_matIdPdS2_NS0_7no_maskEEEviiT0_iilT1_iilT2_13rocblas_fill_17rocblas_diagonal_.has_dyn_sized_stack, 0
	.set _ZN9rocsolver6v33100L8copy_matIdPdS2_NS0_7no_maskEEEviiT0_iilT1_iilT2_13rocblas_fill_17rocblas_diagonal_.has_recursion, 0
	.set _ZN9rocsolver6v33100L8copy_matIdPdS2_NS0_7no_maskEEEviiT0_iilT1_iilT2_13rocblas_fill_17rocblas_diagonal_.has_indirect_call, 0
	.section	.AMDGPU.csdata,"",@progbits
; Kernel info:
; codeLenInByte = 588
; TotalNumSgprs: 18
; NumVgprs: 4
; ScratchSize: 0
; MemoryBound: 0
; FloatMode: 240
; IeeeMode: 1
; LDSByteSize: 0 bytes/workgroup (compile time only)
; SGPRBlocks: 0
; VGPRBlocks: 0
; NumSGPRsForWavesPerEU: 18
; NumVGPRsForWavesPerEU: 4
; NamedBarCnt: 0
; Occupancy: 16
; WaveLimiterHint : 0
; COMPUTE_PGM_RSRC2:SCRATCH_EN: 0
; COMPUTE_PGM_RSRC2:USER_SGPR: 2
; COMPUTE_PGM_RSRC2:TRAP_HANDLER: 0
; COMPUTE_PGM_RSRC2:TGID_X_EN: 1
; COMPUTE_PGM_RSRC2:TGID_Y_EN: 1
; COMPUTE_PGM_RSRC2:TGID_Z_EN: 1
; COMPUTE_PGM_RSRC2:TIDIG_COMP_CNT: 1
	.section	.text._ZN9rocsolver6v33100L6iota_nI19rocblas_complex_numIfEEEvPT_jS4_,"axG",@progbits,_ZN9rocsolver6v33100L6iota_nI19rocblas_complex_numIfEEEvPT_jS4_,comdat
	.globl	_ZN9rocsolver6v33100L6iota_nI19rocblas_complex_numIfEEEvPT_jS4_ ; -- Begin function _ZN9rocsolver6v33100L6iota_nI19rocblas_complex_numIfEEEvPT_jS4_
	.p2align	8
	.type	_ZN9rocsolver6v33100L6iota_nI19rocblas_complex_numIfEEEvPT_jS4_,@function
_ZN9rocsolver6v33100L6iota_nI19rocblas_complex_numIfEEEvPT_jS4_: ; @_ZN9rocsolver6v33100L6iota_nI19rocblas_complex_numIfEEEvPT_jS4_
; %bb.0:
	s_load_b32 s2, s[0:1], 0x8
	s_wait_kmcnt 0x0
	v_cmp_gt_u32_e32 vcc_lo, s2, v0
	s_and_saveexec_b32 s2, vcc_lo
	s_cbranch_execz .LBB71_2
; %bb.1:
	s_clause 0x1
	s_load_b64 s[2:3], s[0:1], 0xc
	s_load_b64 s[4:5], s[0:1], 0x0
	v_cvt_f32_ubyte0_e32 v2, v0
	v_mov_b32_e32 v3, 0
	s_wait_kmcnt 0x0
	v_mov_b64_e32 v[4:5], s[2:3]
	s_delay_alu instid0(VALU_DEP_1)
	v_pk_add_f32 v[2:3], v[4:5], v[2:3]
	global_store_b64 v0, v[2:3], s[4:5] scale_offset
.LBB71_2:
	s_endpgm
	.section	.rodata,"a",@progbits
	.p2align	6, 0x0
	.amdhsa_kernel _ZN9rocsolver6v33100L6iota_nI19rocblas_complex_numIfEEEvPT_jS4_
		.amdhsa_group_segment_fixed_size 0
		.amdhsa_private_segment_fixed_size 0
		.amdhsa_kernarg_size 20
		.amdhsa_user_sgpr_count 2
		.amdhsa_user_sgpr_dispatch_ptr 0
		.amdhsa_user_sgpr_queue_ptr 0
		.amdhsa_user_sgpr_kernarg_segment_ptr 1
		.amdhsa_user_sgpr_dispatch_id 0
		.amdhsa_user_sgpr_kernarg_preload_length 0
		.amdhsa_user_sgpr_kernarg_preload_offset 0
		.amdhsa_user_sgpr_private_segment_size 0
		.amdhsa_wavefront_size32 1
		.amdhsa_uses_dynamic_stack 0
		.amdhsa_enable_private_segment 0
		.amdhsa_system_sgpr_workgroup_id_x 1
		.amdhsa_system_sgpr_workgroup_id_y 0
		.amdhsa_system_sgpr_workgroup_id_z 0
		.amdhsa_system_sgpr_workgroup_info 0
		.amdhsa_system_vgpr_workitem_id 0
		.amdhsa_next_free_vgpr 6
		.amdhsa_next_free_sgpr 6
		.amdhsa_named_barrier_count 0
		.amdhsa_reserve_vcc 1
		.amdhsa_float_round_mode_32 0
		.amdhsa_float_round_mode_16_64 0
		.amdhsa_float_denorm_mode_32 3
		.amdhsa_float_denorm_mode_16_64 3
		.amdhsa_fp16_overflow 0
		.amdhsa_memory_ordered 1
		.amdhsa_forward_progress 1
		.amdhsa_inst_pref_size 1
		.amdhsa_round_robin_scheduling 0
		.amdhsa_exception_fp_ieee_invalid_op 0
		.amdhsa_exception_fp_denorm_src 0
		.amdhsa_exception_fp_ieee_div_zero 0
		.amdhsa_exception_fp_ieee_overflow 0
		.amdhsa_exception_fp_ieee_underflow 0
		.amdhsa_exception_fp_ieee_inexact 0
		.amdhsa_exception_int_div_zero 0
	.end_amdhsa_kernel
	.section	.text._ZN9rocsolver6v33100L6iota_nI19rocblas_complex_numIfEEEvPT_jS4_,"axG",@progbits,_ZN9rocsolver6v33100L6iota_nI19rocblas_complex_numIfEEEvPT_jS4_,comdat
.Lfunc_end71:
	.size	_ZN9rocsolver6v33100L6iota_nI19rocblas_complex_numIfEEEvPT_jS4_, .Lfunc_end71-_ZN9rocsolver6v33100L6iota_nI19rocblas_complex_numIfEEEvPT_jS4_
                                        ; -- End function
	.set _ZN9rocsolver6v33100L6iota_nI19rocblas_complex_numIfEEEvPT_jS4_.num_vgpr, 6
	.set _ZN9rocsolver6v33100L6iota_nI19rocblas_complex_numIfEEEvPT_jS4_.num_agpr, 0
	.set _ZN9rocsolver6v33100L6iota_nI19rocblas_complex_numIfEEEvPT_jS4_.numbered_sgpr, 6
	.set _ZN9rocsolver6v33100L6iota_nI19rocblas_complex_numIfEEEvPT_jS4_.num_named_barrier, 0
	.set _ZN9rocsolver6v33100L6iota_nI19rocblas_complex_numIfEEEvPT_jS4_.private_seg_size, 0
	.set _ZN9rocsolver6v33100L6iota_nI19rocblas_complex_numIfEEEvPT_jS4_.uses_vcc, 1
	.set _ZN9rocsolver6v33100L6iota_nI19rocblas_complex_numIfEEEvPT_jS4_.uses_flat_scratch, 0
	.set _ZN9rocsolver6v33100L6iota_nI19rocblas_complex_numIfEEEvPT_jS4_.has_dyn_sized_stack, 0
	.set _ZN9rocsolver6v33100L6iota_nI19rocblas_complex_numIfEEEvPT_jS4_.has_recursion, 0
	.set _ZN9rocsolver6v33100L6iota_nI19rocblas_complex_numIfEEEvPT_jS4_.has_indirect_call, 0
	.section	.AMDGPU.csdata,"",@progbits
; Kernel info:
; codeLenInByte = 88
; TotalNumSgprs: 8
; NumVgprs: 6
; ScratchSize: 0
; MemoryBound: 0
; FloatMode: 240
; IeeeMode: 1
; LDSByteSize: 0 bytes/workgroup (compile time only)
; SGPRBlocks: 0
; VGPRBlocks: 0
; NumSGPRsForWavesPerEU: 8
; NumVGPRsForWavesPerEU: 6
; NamedBarCnt: 0
; Occupancy: 16
; WaveLimiterHint : 0
; COMPUTE_PGM_RSRC2:SCRATCH_EN: 0
; COMPUTE_PGM_RSRC2:USER_SGPR: 2
; COMPUTE_PGM_RSRC2:TRAP_HANDLER: 0
; COMPUTE_PGM_RSRC2:TGID_X_EN: 1
; COMPUTE_PGM_RSRC2:TGID_Y_EN: 0
; COMPUTE_PGM_RSRC2:TGID_Z_EN: 0
; COMPUTE_PGM_RSRC2:TIDIG_COMP_CNT: 0
	.section	.text._ZN9rocsolver6v33100L18geqr2_kernel_smallILi256E19rocblas_complex_numIfEifPS3_EEvT1_S5_T3_lS5_lPT2_lPT0_l,"axG",@progbits,_ZN9rocsolver6v33100L18geqr2_kernel_smallILi256E19rocblas_complex_numIfEifPS3_EEvT1_S5_T3_lS5_lPT2_lPT0_l,comdat
	.globl	_ZN9rocsolver6v33100L18geqr2_kernel_smallILi256E19rocblas_complex_numIfEifPS3_EEvT1_S5_T3_lS5_lPT2_lPT0_l ; -- Begin function _ZN9rocsolver6v33100L18geqr2_kernel_smallILi256E19rocblas_complex_numIfEifPS3_EEvT1_S5_T3_lS5_lPT2_lPT0_l
	.p2align	8
	.type	_ZN9rocsolver6v33100L18geqr2_kernel_smallILi256E19rocblas_complex_numIfEifPS3_EEvT1_S5_T3_lS5_lPT2_lPT0_l,@function
_ZN9rocsolver6v33100L18geqr2_kernel_smallILi256E19rocblas_complex_numIfEifPS3_EEvT1_S5_T3_lS5_lPT2_lPT0_l: ; @_ZN9rocsolver6v33100L18geqr2_kernel_smallILi256E19rocblas_complex_numIfEifPS3_EEvT1_S5_T3_lS5_lPT2_lPT0_l
; %bb.0:
	s_clause 0x4
	s_load_b256 s[4:11], s[0:1], 0x20
	s_load_b64 s[16:17], s[0:1], 0x0
	s_load_b128 s[12:15], s[0:1], 0x8
	s_load_b32 s20, s[0:1], 0x18
	s_load_b64 s[2:3], s[0:1], 0x40
	s_bfe_u32 s19, ttmp6, 0x40014
	s_lshr_b32 s18, ttmp7, 16
	s_add_co_i32 s19, s19, 1
	s_wait_xcnt 0x0
	s_bfe_u32 s0, ttmp6, 0x40008
	s_mul_i32 s19, s18, s19
	s_getreg_b32 s1, hwreg(HW_REG_IB_STS2, 6, 4)
	s_add_co_i32 s0, s0, s19
	s_cmp_eq_u32 s1, 0
	v_and_b32_e32 v1, 0x7f, v0
	s_mov_b32 s19, 0
	s_cselect_b32 s18, s18, s0
	s_delay_alu instid0(VALU_DEP_1) | instskip(SKIP_2) | instid1(SALU_CYCLE_1)
	v_dual_lshrrev_b32 v8, 7, v0 :: v_dual_lshlrev_b32 v9, 3, v1
	s_wait_kmcnt 0x0
	s_mul_u64 s[0:1], s[4:5], s[18:19]
	s_lshl_b64 s[4:5], s[0:1], 3
	v_cmp_gt_i32_e64 s0, s16, v1
	s_add_nc_u64 s[4:5], s[12:13], s[4:5]
	s_lshl_b64 s[12:13], s[14:15], 3
	s_delay_alu instid0(SALU_CYCLE_1)
	s_add_nc_u64 s[12:13], s[4:5], s[12:13]
	s_and_saveexec_b32 s4, s0
	s_cbranch_execz .LBB72_6
; %bb.1:
	v_dual_mov_b32 v5, v1 :: v_dual_lshrrev_b32 v2, 7, v0
	s_lshl_b32 s5, s16, 4
	s_lshl_b32 s14, s20, 1
	s_mov_b32 s15, s19
	s_delay_alu instid0(VALU_DEP_1) | instskip(SKIP_2) | instid1(VALU_DEP_3)
	v_mul_lo_u32 v4, s16, v2
	v_mad_u32 v3, s20, v2, v1
	v_cmp_gt_i32_e32 vcc_lo, s17, v2
	v_lshlrev_b32_e32 v4, 3, v4
	s_delay_alu instid0(VALU_DEP_1)
	v_add3_u32 v4, v4, v9, 0
	s_branch .LBB72_3
.LBB72_2:                               ;   in Loop: Header=BB72_3 Depth=1
	s_or_b32 exec_lo, exec_lo, s21
	v_add_nc_u32_e32 v5, 0x80, v5
	v_add_nc_u32_e32 v4, 0x400, v4
	v_add_nc_u32_e32 v3, 0x80, v3
	s_delay_alu instid0(VALU_DEP_3) | instskip(SKIP_1) | instid1(SALU_CYCLE_1)
	v_cmp_le_i32_e64 s1, s16, v5
	s_or_b32 s15, s1, s15
	s_and_not1_b32 exec_lo, exec_lo, s15
	s_cbranch_execz .LBB72_6
.LBB72_3:                               ; =>This Loop Header: Depth=1
                                        ;     Child Loop BB72_5 Depth 2
	s_and_saveexec_b32 s21, vcc_lo
	s_cbranch_execz .LBB72_2
; %bb.4:                                ;   in Loop: Header=BB72_3 Depth=1
	s_delay_alu instid0(VALU_DEP_1)
	v_dual_mov_b32 v6, v3 :: v_dual_mov_b32 v7, v4
	v_mov_b32_e32 v10, v2
	s_mov_b32 s22, 0
.LBB72_5:                               ;   Parent Loop BB72_3 Depth=1
                                        ; =>  This Inner Loop Header: Depth=2
	global_load_b64 v[12:13], v6, s[12:13] scale_offset
	v_add_nc_u32_e32 v10, 2, v10
	s_wait_xcnt 0x0
	v_add_nc_u32_e32 v6, s14, v6
	s_wait_loadcnt 0x0
	ds_store_b64 v7, v[12:13]
	v_add_nc_u32_e32 v7, s5, v7
	v_cmp_le_i32_e64 s1, s17, v10
	s_or_b32 s22, s1, s22
	s_delay_alu instid0(SALU_CYCLE_1)
	s_and_not1_b32 exec_lo, exec_lo, s22
	s_cbranch_execnz .LBB72_5
	s_branch .LBB72_2
.LBB72_6:
	s_or_b32 exec_lo, exec_lo, s4
	s_min_i32 s21, s17, s16
	s_wait_dscnt 0x0
	s_cmp_lt_i32 s21, 1
	s_barrier_signal -1
	s_barrier_wait -1
	s_cbranch_scc1 .LBB72_46
; %bb.7:
	v_mbcnt_lo_u32_b32 v2, -1, 0
	s_mul_i32 s1, s17, s16
	s_mul_u64 s[4:5], s[8:9], s[18:19]
	s_lshl_b32 s1, s1, 3
	s_mul_u64 s[2:3], s[2:3], s[18:19]
	v_cmp_ne_u32_e32 vcc_lo, 31, v2
	s_add_co_i32 s22, s1, 0
	s_lshl_b32 s1, s17, 3
	s_lshl_b64 s[4:5], s[4:5], 2
	s_lshl_b64 s[2:3], s[2:3], 3
	v_add_co_ci_u32_e64 v3, null, 0, v2, vcc_lo
	v_cmp_gt_u32_e32 vcc_lo, 30, v2
	s_add_co_i32 s23, s22, s1
	v_lshl_or_b32 v14, v2, 2, 64
	s_delay_alu instid0(VALU_DEP_3)
	v_dual_lshlrev_b32 v10, 2, v3 :: v_dual_bitop2_b32 v3, 31, v0 bitop3:0x40
	v_cndmask_b32_e64 v4, 0, 2, vcc_lo
	v_cmp_gt_u32_e32 vcc_lo, 28, v2
	s_cmp_lg_u64 s[6:7], 0
	s_add_nc_u64 s[8:9], s[6:7], s[4:5]
	v_cmp_eq_u32_e64 s1, 0, v3
	v_add_lshl_u32 v11, v4, v2, 2
	v_cndmask_b32_e64 v5, 0, 4, vcc_lo
	v_cmp_gt_u32_e32 vcc_lo, 24, v2
	v_mad_u32 v4, s16, v0, s16
	s_cselect_b32 s7, -1, 0
	s_lshl_b32 s24, s16, 3
	v_add_lshl_u32 v12, v5, v2, 2
	v_cndmask_b32_e64 v6, 0, 8, vcc_lo
	v_lshlrev_b32_e32 v3, 3, v0
	s_add_nc_u64 s[10:11], s[10:11], s[2:3]
	v_cmp_eq_u32_e64 s2, 0, v0
	v_mov_b32_e32 v20, 1.0
	v_add_lshl_u32 v13, v6, v2, 2
	v_lshrrev_b32_e32 v2, 2, v0
	v_add3_u32 v15, v3, 0, 8
	v_add3_u32 v17, 0, s24, v3
	v_lshl_add_u32 v16, v4, 3, 0
	s_delay_alu instid0(VALU_DEP_4)
	v_dual_mov_b32 v19, 0 :: v_dual_add_nc_u32 v18, s23, v2
	v_mov_b64_e32 v[2:3], 0
	s_mov_b32 s15, 0
	s_add_co_i32 s25, s24, 8
	s_lshl_b32 s26, s16, 11
	s_mov_b32 s27, 0
	s_mov_b32 s28, s17
	;; [unrolled: 1-line block ×4, first 2 shown]
	s_branch .LBB72_9
.LBB72_8:                               ;   in Loop: Header=BB72_9 Depth=1
	s_or_b32 exec_lo, exec_lo, s4
	v_dual_add_nc_u32 v15, s25, v15 :: v_dual_add_nc_u32 v16, s25, v16
	v_add_nc_u32_e32 v17, s25, v17
	s_add_co_i32 s14, s14, 1
	s_add_co_i32 s28, s28, -1
	s_add_co_i32 s29, s29, -1
	s_add_co_i32 s27, s27, s25
	s_cmp_eq_u32 s14, s21
	s_wait_dscnt 0x0
	s_barrier_signal -1
	s_barrier_wait -1
	s_cbranch_scc1 .LBB72_46
.LBB72_9:                               ; =>This Loop Header: Depth=1
                                        ;     Child Loop BB72_11 Depth 2
                                        ;     Child Loop BB72_31 Depth 2
	;; [unrolled: 1-line block ×3, first 2 shown]
                                        ;       Child Loop BB72_38 Depth 3
                                        ;     Child Loop BB72_42 Depth 2
                                        ;       Child Loop BB72_44 Depth 3
	s_sub_co_i32 s30, s16, s14
	v_dual_mov_b32 v4, 0 :: v_dual_mov_b32 v5, 0
	s_add_co_i32 s33, s30, -1
	s_delay_alu instid0(SALU_CYCLE_1)
	v_cmp_gt_i32_e64 s3, s33, v0
	s_and_saveexec_b32 s4, s3
	s_cbranch_execz .LBB72_13
; %bb.10:                               ;   in Loop: Header=BB72_9 Depth=1
	v_dual_mov_b32 v4, 0 :: v_dual_mov_b32 v6, v15
	v_dual_mov_b32 v7, v0 :: v_dual_mov_b32 v5, 0
	s_mov_b32 s5, 0
.LBB72_11:                              ;   Parent Loop BB72_9 Depth=1
                                        ; =>  This Inner Loop Header: Depth=2
	ds_load_b64 v[22:23], v6
	s_wait_dscnt 0x0
	v_dual_mul_f32 v21, v23, v23 :: v_dual_mul_f32 v24, v23, v22
	s_delay_alu instid0(VALU_DEP_1) | instskip(SKIP_1) | instid1(VALU_DEP_2)
	v_dual_fmac_f32 v21, v22, v22 :: v_dual_fma_f32 v22, v22, v23, -v24
	v_add_nc_u32_e32 v7, 0x100, v7
	v_dual_add_f32 v5, v5, v21 :: v_dual_add_nc_u32 v6, 0x800, v6
	s_delay_alu instid0(VALU_DEP_3) | instskip(NEXT) | instid1(VALU_DEP_3)
	v_add_f32_e32 v4, v4, v22
	v_cmp_le_i32_e32 vcc_lo, s33, v7
	s_or_b32 s5, vcc_lo, s5
	s_delay_alu instid0(SALU_CYCLE_1)
	s_and_not1_b32 exec_lo, exec_lo, s5
	s_cbranch_execnz .LBB72_11
; %bb.12:                               ;   in Loop: Header=BB72_9 Depth=1
	s_or_b32 exec_lo, exec_lo, s5
.LBB72_13:                              ;   in Loop: Header=BB72_9 Depth=1
	s_delay_alu instid0(SALU_CYCLE_1)
	s_or_b32 exec_lo, exec_lo, s4
	ds_bpermute_b32 v6, v10, v5
	ds_bpermute_b32 v7, v10, v4
	s_wait_dscnt 0x0
	v_dual_add_f32 v5, v5, v6 :: v_dual_add_f32 v4, v4, v7
	ds_bpermute_b32 v6, v11, v5
	ds_bpermute_b32 v7, v11, v4
	s_wait_dscnt 0x0
	v_dual_add_f32 v5, v5, v6 :: v_dual_add_f32 v4, v4, v7
	ds_bpermute_b32 v6, v12, v5
	ds_bpermute_b32 v7, v12, v4
	s_wait_dscnt 0x0
	v_dual_add_f32 v5, v5, v6 :: v_dual_add_f32 v4, v4, v7
	ds_bpermute_b32 v6, v13, v5
	ds_bpermute_b32 v7, v13, v4
	s_wait_dscnt 0x0
	v_dual_add_f32 v21, v5, v6 :: v_dual_add_f32 v5, v4, v7
	ds_bpermute_b32 v4, v14, v21
	ds_bpermute_b32 v6, v14, v5
	s_wait_dscnt 0x1
	v_add_f32_e32 v4, v21, v4
	s_and_saveexec_b32 s4, s1
	s_cbranch_execz .LBB72_15
; %bb.14:                               ;   in Loop: Header=BB72_9 Depth=1
	s_wait_dscnt 0x0
	v_add_f32_e32 v5, v5, v6
	ds_store_2addr_b32 v18, v4, v5 offset0:2 offset1:3
.LBB72_15:                              ;   in Loop: Header=BB72_9 Depth=1
	s_or_b32 exec_lo, exec_lo, s4
	s_lshl_b32 s4, s14, 3
	s_mul_i32 s5, s14, s16
	s_add_co_i32 s31, s4, 0
	s_lshl_b32 s4, s5, 3
	s_wait_dscnt 0x0
	s_add_co_i32 s31, s31, s4
	s_barrier_signal -1
	s_barrier_wait -1
	s_and_saveexec_b32 s34, s2
	s_cbranch_execz .LBB72_29
; %bb.16:                               ;   in Loop: Header=BB72_9 Depth=1
	v_mov_b32_e32 v21, s23
	s_lshl_b64 s[4:5], s[14:15], 2
	s_mov_b32 s35, 0
	s_add_nc_u64 s[18:19], s[8:9], s[4:5]
	s_mov_b32 s4, exec_lo
	ds_load_2addr_b32 v[6:7], v21 offset0:4 offset1:6
	ds_load_2addr_b32 v[22:23], v21 offset0:8 offset1:10
	s_wait_dscnt 0x1
	v_add_f32_e32 v6, v4, v6
	ds_load_2addr_b32 v[4:5], v21 offset0:12 offset1:14
	v_dual_add_f32 v6, v6, v7 :: v_dual_mov_b32 v7, s31
	s_wait_dscnt 0x1
	s_delay_alu instid0(VALU_DEP_1) | instskip(SKIP_4) | instid1(VALU_DEP_1)
	v_add_f32_e32 v22, v6, v22
	ds_load_b32 v21, v21 offset:64
	ds_load_b32 v6, v7 offset:4
	v_add_f32_e32 v7, v22, v23
	s_wait_dscnt 0x2
	v_add_f32_e32 v4, v7, v4
	s_delay_alu instid0(VALU_DEP_1) | instskip(SKIP_1) | instid1(VALU_DEP_1)
	v_add_f32_e32 v4, v4, v5
	s_wait_dscnt 0x0
	v_dual_add_f32 v21, v4, v21 :: v_dual_mul_f32 v7, v6, v6
	s_delay_alu instid0(VALU_DEP_1) | instskip(NEXT) | instid1(VALU_DEP_1)
	v_max_num_f32_e32 v4, v21, v7
	v_cmpx_nlt_f32_e32 0, v4
	s_xor_b32 s4, exec_lo, s4
	s_cbranch_execz .LBB72_21
; %bb.17:                               ;   in Loop: Header=BB72_9 Depth=1
	v_mov_b32_e32 v4, s23
	s_and_b32 vcc_lo, exec_lo, s7
	ds_store_b64 v4, v[2:3]
	s_cbranch_vccz .LBB72_19
; %bb.18:                               ;   in Loop: Header=BB72_9 Depth=1
	v_mov_b32_e32 v4, s31
	s_mov_b32 s5, -1
	ds_load_b32 v5, v4
	ds_store_b32 v4, v20
	s_wait_dscnt 0x1
	global_store_b32 v19, v5, s[18:19]
	s_branch .LBB72_20
.LBB72_19:                              ;   in Loop: Header=BB72_9 Depth=1
	s_mov_b32 s5, 0
.LBB72_20:                              ;   in Loop: Header=BB72_9 Depth=1
	s_delay_alu instid0(SALU_CYCLE_1)
	s_and_b32 s35, s5, exec_lo
                                        ; implicit-def: $vgpr7
                                        ; implicit-def: $vgpr21
                                        ; implicit-def: $vgpr6
.LBB72_21:                              ;   in Loop: Header=BB72_9 Depth=1
	s_wait_xcnt 0x0
	s_or_saveexec_b32 s36, s4
	v_dual_mov_b32 v4, 1.0 :: v_dual_mov_b32 v5, 0
	v_dual_mov_b32 v22, 0 :: v_dual_mov_b32 v23, 1.0
	s_xor_b32 exec_lo, exec_lo, s36
	s_cbranch_execz .LBB72_26
; %bb.22:                               ;   in Loop: Header=BB72_9 Depth=1
	v_mov_b32_e32 v22, s31
	ds_load_b32 v22, v22
	s_wait_dscnt 0x0
	v_fma_f32 v23, v22, v22, v7
	s_delay_alu instid0(VALU_DEP_1) | instskip(NEXT) | instid1(VALU_DEP_1)
	v_add_f32_e32 v21, v21, v23
	v_mul_f32_e32 v23, 0x4f800000, v21
	v_cmp_gt_f32_e32 vcc_lo, 0xf800000, v21
	s_delay_alu instid0(VALU_DEP_2) | instskip(NEXT) | instid1(VALU_DEP_1)
	v_cndmask_b32_e32 v21, v21, v23, vcc_lo
	v_sqrt_f32_e32 v23, v21
	v_nop
	s_delay_alu instid0(TRANS32_DEP_1) | instskip(NEXT) | instid1(VALU_DEP_1)
	v_dual_add_nc_u32 v24, -1, v23 :: v_dual_add_nc_u32 v25, 1, v23
	v_fma_f32 v26, -v24, v23, v21
	s_delay_alu instid0(VALU_DEP_1) | instskip(NEXT) | instid1(VALU_DEP_1)
	v_cmp_ge_f32_e64 s4, 0, v26
	v_dual_fma_f32 v27, -v25, v23, v21 :: v_dual_cndmask_b32 v23, v23, v24, s4
	s_delay_alu instid0(VALU_DEP_1) | instskip(NEXT) | instid1(VALU_DEP_1)
	v_cmp_lt_f32_e64 s4, 0, v27
	v_cndmask_b32_e64 v23, v23, v25, s4
	s_delay_alu instid0(VALU_DEP_1) | instskip(NEXT) | instid1(VALU_DEP_1)
	v_mul_f32_e32 v24, 0x37800000, v23
	v_cndmask_b32_e32 v23, v23, v24, vcc_lo
	v_cmp_class_f32_e64 vcc_lo, v21, 0x260
	s_delay_alu instid0(VALU_DEP_2) | instskip(SKIP_1) | instid1(VALU_DEP_2)
	v_cndmask_b32_e32 v21, v23, v21, vcc_lo
	v_cmp_le_f32_e32 vcc_lo, 0, v22
	v_cndmask_b32_e64 v21, v21, -v21, vcc_lo
	s_delay_alu instid0(VALU_DEP_1) | instskip(SKIP_2) | instid1(VALU_DEP_3)
	v_dual_sub_f32 v23, v22, v21 :: v_dual_sub_f32 v22, v21, v22
	v_div_scale_f32 v24, null, v21, v21, -v6
	v_div_scale_f32 v28, s4, -v6, v21, -v6
	v_fmac_f32_e32 v7, v23, v23
	s_delay_alu instid0(VALU_DEP_4) | instskip(NEXT) | instid1(VALU_DEP_4)
	v_div_scale_f32 v25, null, v21, v21, v22
	v_rcp_f32_e32 v29, v24
	v_div_scale_f32 v33, s5, v22, v21, v22
	s_delay_alu instid0(VALU_DEP_3) | instskip(NEXT) | instid1(VALU_DEP_3)
	v_div_scale_f32 v27, null, v7, v7, -v6
	v_rcp_f32_e32 v30, v25
	s_delay_alu instid0(TRANS32_DEP_2) | instskip(NEXT) | instid1(VALU_DEP_2)
	v_fma_f32 v35, -v24, v29, 1.0
	v_rcp_f32_e32 v32, v27
	s_delay_alu instid0(TRANS32_DEP_2) | instskip(NEXT) | instid1(TRANS32_DEP_1)
	v_fma_f32 v36, -v25, v30, 1.0
	v_fma_f32 v38, -v27, v32, 1.0
	s_delay_alu instid0(VALU_DEP_1) | instskip(SKIP_2) | instid1(VALU_DEP_2)
	v_dual_fmac_f32 v30, v36, v30 :: v_dual_fmac_f32 v32, v38, v32
	v_div_scale_f32 v26, null, v7, v7, v23
	v_div_scale_f32 v39, s6, -v6, v7, -v6
	v_rcp_f32_e32 v31, v26
	s_delay_alu instid0(VALU_DEP_1) | instskip(NEXT) | instid1(TRANS32_DEP_1)
	v_mul_f32_e32 v38, v39, v32
	v_fma_f32 v37, -v26, v31, 1.0
	s_delay_alu instid0(VALU_DEP_2) | instskip(NEXT) | instid1(VALU_DEP_2)
	v_fma_f32 v43, -v27, v38, v39
	v_fmac_f32_e32 v31, v37, v31
	v_mul_f32_e32 v37, v33, v30
	v_div_scale_f32 v34, vcc_lo, v23, v7, v23
	v_fmac_f32_e32 v29, v35, v29
	s_delay_alu instid0(VALU_DEP_3) | instskip(NEXT) | instid1(VALU_DEP_2)
	v_dual_fmac_f32 v38, v43, v32 :: v_dual_fma_f32 v42, -v25, v37, v33
	v_dual_mul_f32 v36, v34, v31 :: v_dual_mul_f32 v35, v28, v29
	s_delay_alu instid0(VALU_DEP_2) | instskip(NEXT) | instid1(VALU_DEP_3)
	v_fma_f32 v27, -v27, v38, v39
	v_fmac_f32_e32 v37, v42, v30
	s_delay_alu instid0(VALU_DEP_3) | instskip(NEXT) | instid1(VALU_DEP_2)
	v_dual_fma_f32 v41, -v26, v36, v34 :: v_dual_fma_f32 v40, -v24, v35, v28
	v_fma_f32 v25, -v25, v37, v33
	s_delay_alu instid0(VALU_DEP_2) | instskip(NEXT) | instid1(VALU_DEP_1)
	v_dual_fmac_f32 v36, v41, v31 :: v_dual_fmac_f32 v35, v40, v29
	v_dual_fma_f32 v26, -v26, v36, v34 :: v_dual_fma_f32 v24, -v24, v35, v28
	s_delay_alu instid0(VALU_DEP_1) | instskip(SKIP_3) | instid1(VALU_DEP_2)
	v_div_fmas_f32 v26, v26, v31, v36
	s_mov_b32 vcc_lo, s6
	v_div_fmas_f32 v27, v27, v32, v38
	s_mov_b32 vcc_lo, s5
	v_div_fixup_f32 v23, v26, v7, v23
	v_div_fmas_f32 v25, v25, v30, v37
	s_mov_b32 vcc_lo, s4
	v_div_fmas_f32 v28, v24, v29, v35
	v_mov_b32_e32 v29, s23
	s_delay_alu instid0(VALU_DEP_3)
	v_div_fixup_f32 v24, v25, v21, v22
	v_div_fixup_f32 v22, v27, v7, -v6
	s_and_b32 vcc_lo, exec_lo, s7
	v_div_fixup_f32 v25, v28, v21, -v6
	ds_store_b64 v29, v[24:25]
	s_cbranch_vccz .LBB72_45
; %bb.23:                               ;   in Loop: Header=BB72_9 Depth=1
	v_mov_b32_e32 v6, s31
	global_store_b32 v19, v21, s[18:19]
	ds_store_b32 v6, v20
	s_cbranch_execnz .LBB72_25
.LBB72_24:                              ;   in Loop: Header=BB72_9 Depth=1
	v_mov_b32_e32 v6, s31
	ds_store_b32 v6, v21
.LBB72_25:                              ;   in Loop: Header=BB72_9 Depth=1
	s_or_b32 s35, s35, exec_lo
.LBB72_26:                              ;   in Loop: Header=BB72_9 Depth=1
	s_wait_xcnt 0x0
	s_or_b32 exec_lo, exec_lo, s36
	v_mov_b64_e32 v[6:7], 0
	s_and_saveexec_b32 s4, s35
	s_cbranch_execz .LBB72_28
; %bb.27:                               ;   in Loop: Header=BB72_9 Depth=1
	v_dual_mov_b32 v4, s31 :: v_dual_mov_b32 v5, s23
	ds_store_b32 v4, v19 offset:4
	ds_load_b64 v[6:7], v5
	v_dual_mov_b32 v4, v23 :: v_dual_mov_b32 v5, v22
.LBB72_28:                              ;   in Loop: Header=BB72_9 Depth=1
	s_or_b32 exec_lo, exec_lo, s4
	s_lshl_b64 s[4:5], s[14:15], 3
	v_mov_b32_e32 v21, s23
	s_add_nc_u64 s[4:5], s[10:11], s[4:5]
	s_wait_dscnt 0x0
	global_store_b64 v19, v[6:7], s[4:5]
	s_wait_xcnt 0x0
	v_xor_b32_e32 v7, 0x80000000, v7
	ds_store_2addr_b64 v21, v[6:7], v[4:5] offset1:1
.LBB72_29:                              ;   in Loop: Header=BB72_9 Depth=1
	s_or_b32 exec_lo, exec_lo, s34
	s_wait_storecnt_dscnt 0x0
	s_barrier_signal -1
	s_barrier_wait -1
	s_and_saveexec_b32 s4, s3
	s_cbranch_execz .LBB72_32
; %bb.30:                               ;   in Loop: Header=BB72_9 Depth=1
	v_mov_b32_e32 v4, v0
	s_mov_b32 s3, 0
	s_mov_b32 s5, 0
.LBB72_31:                              ;   Parent Loop BB72_9 Depth=1
                                        ; =>  This Inner Loop Header: Depth=2
	s_delay_alu instid0(SALU_CYCLE_1)
	v_dual_add_nc_u32 v5, s5, v15 :: v_dual_mov_b32 v21, s23
	s_addk_co_i32 s5, 0x800
	ds_load_b64 v[6:7], v5
	ds_load_b64 v[22:23], v21 offset:8
	s_wait_dscnt 0x0
	v_pk_mul_f32 v[24:25], v[22:23], v[6:7] op_sel:[1,1] op_sel_hi:[0,1]
	s_delay_alu instid0(VALU_DEP_1) | instskip(SKIP_2) | instid1(VALU_DEP_3)
	v_pk_fma_f32 v[26:27], v[22:23], v[6:7], v[24:25] op_sel_hi:[1,0,1]
	v_add_nc_u32_e32 v4, 0x100, v4
	v_pk_fma_f32 v[6:7], v[22:23], v[6:7], v[24:25] neg_lo:[0,0,1] neg_hi:[0,0,1]
	v_mov_b32_e32 v7, v27
	s_delay_alu instid0(VALU_DEP_3) | instskip(SKIP_2) | instid1(SALU_CYCLE_1)
	v_cmp_le_i32_e32 vcc_lo, s33, v4
	ds_store_b64 v5, v[6:7]
	s_or_b32 s3, vcc_lo, s3
	s_and_not1_b32 exec_lo, exec_lo, s3
	s_cbranch_execnz .LBB72_31
.LBB72_32:                              ;   in Loop: Header=BB72_9 Depth=1
	s_or_b32 exec_lo, exec_lo, s4
	s_not_b32 s3, s14
	s_mov_b32 s4, exec_lo
	s_add_co_i32 s3, s17, s3
	s_wait_dscnt 0x0
	s_barrier_signal -1
	s_barrier_wait -1
	v_cmpx_gt_i32_e64 s3, v0
	s_cbranch_execz .LBB72_39
; %bb.33:                               ;   in Loop: Header=BB72_9 Depth=1
	v_dual_mov_b32 v6, v16 :: v_dual_mov_b32 v7, v0
	s_cmp_gt_i32 s30, 0
	s_mov_b32 s5, 0
	s_cselect_b32 s6, -1, 0
	s_branch .LBB72_36
.LBB72_34:                              ;   in Loop: Header=BB72_36 Depth=2
	v_mov_b32_e32 v5, 0
	s_delay_alu instid0(VALU_DEP_1)
	v_mov_b32_e32 v4, v5
.LBB72_35:                              ;   in Loop: Header=BB72_36 Depth=2
	s_delay_alu instid0(VALU_DEP_1) | instskip(NEXT) | instid1(VALU_DEP_2)
	v_dual_mov_b32 v21, s23 :: v_dual_mov_b32 v24, v5
	v_dual_mov_b32 v25, v4 :: v_dual_add_nc_u32 v6, s26, v6
	ds_load_b64 v[22:23], v21
	v_lshl_add_u32 v21, v7, 3, s22
	v_add_nc_u32_e32 v7, 0x100, v7
	s_delay_alu instid0(VALU_DEP_1) | instskip(SKIP_3) | instid1(VALU_DEP_1)
	v_cmp_le_i32_e32 vcc_lo, s3, v7
	s_or_b32 s5, vcc_lo, s5
	s_wait_dscnt 0x0
	v_pk_mul_f32 v[24:25], v[24:25], v[22:23] op_sel:[0,1]
	v_pk_fma_f32 v[26:27], v[4:5], v[22:23], v[24:25] op_sel_hi:[1,0,1]
	v_pk_fma_f32 v[4:5], v[4:5], v[22:23], v[24:25] neg_lo:[0,0,1] neg_hi:[0,0,1]
	s_delay_alu instid0(VALU_DEP_2)
	v_mov_b32_e32 v5, v27
	ds_store_b64 v21, v[4:5]
	s_and_not1_b32 exec_lo, exec_lo, s5
	s_cbranch_execz .LBB72_39
.LBB72_36:                              ;   Parent Loop BB72_9 Depth=1
                                        ; =>  This Loop Header: Depth=2
                                        ;       Child Loop BB72_38 Depth 3
	s_and_not1_b32 vcc_lo, exec_lo, s6
	s_cbranch_vccnz .LBB72_34
; %bb.37:                               ;   in Loop: Header=BB72_36 Depth=2
	v_dual_mov_b32 v4, 0 :: v_dual_mov_b32 v21, v6
	s_mov_b32 s18, s27
	s_mov_b32 s19, s29
	s_delay_alu instid0(VALU_DEP_1)
	v_mov_b32_e32 v5, v4
.LBB72_38:                              ;   Parent Loop BB72_9 Depth=1
                                        ;     Parent Loop BB72_36 Depth=2
                                        ; =>    This Inner Loop Header: Depth=3
	v_mov_b32_e32 v24, s18
	s_add_co_i32 s19, s19, -1
	s_add_co_i32 s18, s18, 8
	s_cmp_eq_u32 s19, 0
	ds_load_b64 v[22:23], v21
	ds_load_b64 v[24:25], v24
	s_wait_dscnt 0x1
	v_dual_mov_b32 v28, v23 :: v_dual_add_nc_u32 v21, 8, v21
	s_wait_dscnt 0x0
	v_pk_mul_f32 v[26:27], v[24:25], v[22:23] op_sel_hi:[1,0]
	s_delay_alu instid0(VALU_DEP_1) | instskip(NEXT) | instid1(VALU_DEP_3)
	v_pk_fma_f32 v[22:23], v[24:25], v[22:23], v[26:27] op_sel:[1,1,0] op_sel_hi:[0,1,1] neg_lo:[0,0,1] neg_hi:[0,0,1]
	v_pk_fma_f32 v[24:25], v[24:25], v[28:29], v[26:27] op_sel:[1,0,0] op_sel_hi:[0,1,1]
	s_delay_alu instid0(VALU_DEP_2) | instskip(NEXT) | instid1(VALU_DEP_1)
	v_mov_b32_e32 v25, v23
	v_pk_add_f32 v[4:5], v[4:5], v[24:25]
	s_cbranch_scc0 .LBB72_38
	s_branch .LBB72_35
.LBB72_39:                              ;   in Loop: Header=BB72_9 Depth=1
	s_or_b32 exec_lo, exec_lo, s4
	s_delay_alu instid0(SALU_CYCLE_1)
	s_mov_b32 s4, exec_lo
	s_wait_dscnt 0x0
	s_barrier_signal -1
	s_barrier_wait -1
	v_cmpx_gt_i32_e64 s30, v0
	s_cbranch_execz .LBB72_8
; %bb.40:                               ;   in Loop: Header=BB72_9 Depth=1
	v_dual_mov_b32 v4, v17 :: v_dual_mov_b32 v5, v0
	s_cmp_gt_i32 s3, 0
	s_mov_b32 s3, 0
	s_cselect_b32 s5, -1, 0
	s_branch .LBB72_42
.LBB72_41:                              ;   in Loop: Header=BB72_42 Depth=2
	v_add_nc_u32_e32 v5, 0x100, v5
	v_add_nc_u32_e32 v4, 0x800, v4
	s_delay_alu instid0(VALU_DEP_2) | instskip(SKIP_1) | instid1(SALU_CYCLE_1)
	v_cmp_le_i32_e32 vcc_lo, s30, v5
	s_or_b32 s3, vcc_lo, s3
	s_and_not1_b32 exec_lo, exec_lo, s3
	s_cbranch_execz .LBB72_8
.LBB72_42:                              ;   Parent Loop BB72_9 Depth=1
                                        ; =>  This Loop Header: Depth=2
                                        ;       Child Loop BB72_44 Depth 3
	s_and_not1_b32 vcc_lo, exec_lo, s5
	s_cbranch_vccnz .LBB72_41
; %bb.43:                               ;   in Loop: Header=BB72_42 Depth=2
	v_lshl_add_u32 v6, v5, 3, s31
	v_mov_b32_e32 v7, v4
	s_mov_b32 s6, 1
	s_mov_b32 s18, s22
.LBB72_44:                              ;   Parent Loop BB72_9 Depth=1
                                        ;     Parent Loop BB72_42 Depth=2
                                        ; =>    This Inner Loop Header: Depth=3
	s_delay_alu instid0(SALU_CYCLE_1)
	v_mov_b32_e32 v21, s18
	s_add_co_i32 s6, s6, 1
	s_add_co_i32 s18, s18, 8
	s_cmp_eq_u32 s28, s6
	ds_load_b64 v[22:23], v6
	ds_load_b64 v[24:25], v21
	;; [unrolled: 1-line block ×3, first 2 shown]
	s_wait_dscnt 0x1
	v_pk_mul_f32 v[28:29], v[24:25], v[22:23] op_sel:[1,1] op_sel_hi:[0,1]
	s_delay_alu instid0(VALU_DEP_1) | instskip(SKIP_1) | instid1(VALU_DEP_2)
	v_pk_fma_f32 v[30:31], v[24:25], v[22:23], v[28:29] op_sel_hi:[1,0,1]
	v_pk_fma_f32 v[22:23], v[24:25], v[22:23], v[28:29] neg_lo:[0,0,1] neg_hi:[0,0,1]
	v_mov_b32_e32 v23, v31
	s_wait_dscnt 0x0
	s_delay_alu instid0(VALU_DEP_1)
	v_pk_add_f32 v[22:23], v[26:27], v[22:23] neg_lo:[0,1] neg_hi:[0,1]
	ds_store_b64 v7, v[22:23]
	v_add_nc_u32_e32 v7, s24, v7
	s_cbranch_scc0 .LBB72_44
	s_branch .LBB72_41
.LBB72_45:                              ;   in Loop: Header=BB72_9 Depth=1
	s_branch .LBB72_24
.LBB72_46:
	s_and_saveexec_b32 s1, s0
	s_cbranch_execz .LBB72_52
; %bb.47:
	v_mul_lo_u32 v2, s16, v8
	v_mad_u32 v0, s20, v8, v1
	s_lshl_b32 s1, s20, 1
	s_mov_b32 s2, 0
	s_lshl_b32 s3, s16, 4
	v_cmp_gt_i32_e32 vcc_lo, s17, v8
	s_delay_alu instid0(VALU_DEP_3) | instskip(NEXT) | instid1(VALU_DEP_1)
	v_lshlrev_b32_e32 v2, 3, v2
	v_add3_u32 v2, v2, v9, 0
	s_branch .LBB72_49
.LBB72_48:                              ;   in Loop: Header=BB72_49 Depth=1
	s_or_b32 exec_lo, exec_lo, s4
	v_add_nc_u32_e32 v1, 0x80, v1
	v_add_nc_u32_e32 v0, 0x80, v0
	;; [unrolled: 1-line block ×3, first 2 shown]
	s_delay_alu instid0(VALU_DEP_3) | instskip(SKIP_1) | instid1(SALU_CYCLE_1)
	v_cmp_le_i32_e64 s0, s16, v1
	s_or_b32 s2, s0, s2
	s_and_not1_b32 exec_lo, exec_lo, s2
	s_cbranch_execz .LBB72_52
.LBB72_49:                              ; =>This Loop Header: Depth=1
                                        ;     Child Loop BB72_51 Depth 2
	s_and_saveexec_b32 s4, vcc_lo
	s_cbranch_execz .LBB72_48
; %bb.50:                               ;   in Loop: Header=BB72_49 Depth=1
	s_delay_alu instid0(VALU_DEP_1)
	v_dual_mov_b32 v3, v2 :: v_dual_mov_b32 v4, v0
	v_mov_b32_e32 v5, v8
	s_mov_b32 s5, 0
.LBB72_51:                              ;   Parent Loop BB72_49 Depth=1
                                        ; =>  This Inner Loop Header: Depth=2
	ds_load_b64 v[6:7], v3
	v_dual_add_nc_u32 v5, 2, v5 :: v_dual_add_nc_u32 v3, s3, v3
	s_delay_alu instid0(VALU_DEP_1)
	v_cmp_le_i32_e64 s0, s17, v5
	s_or_b32 s5, s0, s5
	s_wait_dscnt 0x0
	global_store_b64 v4, v[6:7], s[12:13] scale_offset
	s_wait_xcnt 0x0
	v_add_nc_u32_e32 v4, s1, v4
	s_and_not1_b32 exec_lo, exec_lo, s5
	s_cbranch_execnz .LBB72_51
	s_branch .LBB72_48
.LBB72_52:
	s_endpgm
	.section	.rodata,"a",@progbits
	.p2align	6, 0x0
	.amdhsa_kernel _ZN9rocsolver6v33100L18geqr2_kernel_smallILi256E19rocblas_complex_numIfEifPS3_EEvT1_S5_T3_lS5_lPT2_lPT0_l
		.amdhsa_group_segment_fixed_size 0
		.amdhsa_private_segment_fixed_size 0
		.amdhsa_kernarg_size 72
		.amdhsa_user_sgpr_count 2
		.amdhsa_user_sgpr_dispatch_ptr 0
		.amdhsa_user_sgpr_queue_ptr 0
		.amdhsa_user_sgpr_kernarg_segment_ptr 1
		.amdhsa_user_sgpr_dispatch_id 0
		.amdhsa_user_sgpr_kernarg_preload_length 0
		.amdhsa_user_sgpr_kernarg_preload_offset 0
		.amdhsa_user_sgpr_private_segment_size 0
		.amdhsa_wavefront_size32 1
		.amdhsa_uses_dynamic_stack 0
		.amdhsa_enable_private_segment 0
		.amdhsa_system_sgpr_workgroup_id_x 1
		.amdhsa_system_sgpr_workgroup_id_y 0
		.amdhsa_system_sgpr_workgroup_id_z 1
		.amdhsa_system_sgpr_workgroup_info 0
		.amdhsa_system_vgpr_workitem_id 0
		.amdhsa_next_free_vgpr 44
		.amdhsa_next_free_sgpr 37
		.amdhsa_named_barrier_count 0
		.amdhsa_reserve_vcc 1
		.amdhsa_float_round_mode_32 0
		.amdhsa_float_round_mode_16_64 0
		.amdhsa_float_denorm_mode_32 3
		.amdhsa_float_denorm_mode_16_64 3
		.amdhsa_fp16_overflow 0
		.amdhsa_memory_ordered 1
		.amdhsa_forward_progress 1
		.amdhsa_inst_pref_size 24
		.amdhsa_round_robin_scheduling 0
		.amdhsa_exception_fp_ieee_invalid_op 0
		.amdhsa_exception_fp_denorm_src 0
		.amdhsa_exception_fp_ieee_div_zero 0
		.amdhsa_exception_fp_ieee_overflow 0
		.amdhsa_exception_fp_ieee_underflow 0
		.amdhsa_exception_fp_ieee_inexact 0
		.amdhsa_exception_int_div_zero 0
	.end_amdhsa_kernel
	.section	.text._ZN9rocsolver6v33100L18geqr2_kernel_smallILi256E19rocblas_complex_numIfEifPS3_EEvT1_S5_T3_lS5_lPT2_lPT0_l,"axG",@progbits,_ZN9rocsolver6v33100L18geqr2_kernel_smallILi256E19rocblas_complex_numIfEifPS3_EEvT1_S5_T3_lS5_lPT2_lPT0_l,comdat
.Lfunc_end72:
	.size	_ZN9rocsolver6v33100L18geqr2_kernel_smallILi256E19rocblas_complex_numIfEifPS3_EEvT1_S5_T3_lS5_lPT2_lPT0_l, .Lfunc_end72-_ZN9rocsolver6v33100L18geqr2_kernel_smallILi256E19rocblas_complex_numIfEifPS3_EEvT1_S5_T3_lS5_lPT2_lPT0_l
                                        ; -- End function
	.set _ZN9rocsolver6v33100L18geqr2_kernel_smallILi256E19rocblas_complex_numIfEifPS3_EEvT1_S5_T3_lS5_lPT2_lPT0_l.num_vgpr, 44
	.set _ZN9rocsolver6v33100L18geqr2_kernel_smallILi256E19rocblas_complex_numIfEifPS3_EEvT1_S5_T3_lS5_lPT2_lPT0_l.num_agpr, 0
	.set _ZN9rocsolver6v33100L18geqr2_kernel_smallILi256E19rocblas_complex_numIfEifPS3_EEvT1_S5_T3_lS5_lPT2_lPT0_l.numbered_sgpr, 37
	.set _ZN9rocsolver6v33100L18geqr2_kernel_smallILi256E19rocblas_complex_numIfEifPS3_EEvT1_S5_T3_lS5_lPT2_lPT0_l.num_named_barrier, 0
	.set _ZN9rocsolver6v33100L18geqr2_kernel_smallILi256E19rocblas_complex_numIfEifPS3_EEvT1_S5_T3_lS5_lPT2_lPT0_l.private_seg_size, 0
	.set _ZN9rocsolver6v33100L18geqr2_kernel_smallILi256E19rocblas_complex_numIfEifPS3_EEvT1_S5_T3_lS5_lPT2_lPT0_l.uses_vcc, 1
	.set _ZN9rocsolver6v33100L18geqr2_kernel_smallILi256E19rocblas_complex_numIfEifPS3_EEvT1_S5_T3_lS5_lPT2_lPT0_l.uses_flat_scratch, 0
	.set _ZN9rocsolver6v33100L18geqr2_kernel_smallILi256E19rocblas_complex_numIfEifPS3_EEvT1_S5_T3_lS5_lPT2_lPT0_l.has_dyn_sized_stack, 0
	.set _ZN9rocsolver6v33100L18geqr2_kernel_smallILi256E19rocblas_complex_numIfEifPS3_EEvT1_S5_T3_lS5_lPT2_lPT0_l.has_recursion, 0
	.set _ZN9rocsolver6v33100L18geqr2_kernel_smallILi256E19rocblas_complex_numIfEifPS3_EEvT1_S5_T3_lS5_lPT2_lPT0_l.has_indirect_call, 0
	.section	.AMDGPU.csdata,"",@progbits
; Kernel info:
; codeLenInByte = 2980
; TotalNumSgprs: 39
; NumVgprs: 44
; ScratchSize: 0
; MemoryBound: 0
; FloatMode: 240
; IeeeMode: 1
; LDSByteSize: 0 bytes/workgroup (compile time only)
; SGPRBlocks: 0
; VGPRBlocks: 2
; NumSGPRsForWavesPerEU: 39
; NumVGPRsForWavesPerEU: 44
; NamedBarCnt: 0
; Occupancy: 16
; WaveLimiterHint : 0
; COMPUTE_PGM_RSRC2:SCRATCH_EN: 0
; COMPUTE_PGM_RSRC2:USER_SGPR: 2
; COMPUTE_PGM_RSRC2:TRAP_HANDLER: 0
; COMPUTE_PGM_RSRC2:TGID_X_EN: 1
; COMPUTE_PGM_RSRC2:TGID_Y_EN: 0
; COMPUTE_PGM_RSRC2:TGID_Z_EN: 1
; COMPUTE_PGM_RSRC2:TIDIG_COMP_CNT: 0
	.section	.text._ZN9rocsolver6v33100L16reset_batch_infoI19rocblas_complex_numIfEiiPS3_EEvT2_lT0_T1_,"axG",@progbits,_ZN9rocsolver6v33100L16reset_batch_infoI19rocblas_complex_numIfEiiPS3_EEvT2_lT0_T1_,comdat
	.globl	_ZN9rocsolver6v33100L16reset_batch_infoI19rocblas_complex_numIfEiiPS3_EEvT2_lT0_T1_ ; -- Begin function _ZN9rocsolver6v33100L16reset_batch_infoI19rocblas_complex_numIfEiiPS3_EEvT2_lT0_T1_
	.p2align	8
	.type	_ZN9rocsolver6v33100L16reset_batch_infoI19rocblas_complex_numIfEiiPS3_EEvT2_lT0_T1_,@function
_ZN9rocsolver6v33100L16reset_batch_infoI19rocblas_complex_numIfEiiPS3_EEvT2_lT0_T1_: ; @_ZN9rocsolver6v33100L16reset_batch_infoI19rocblas_complex_numIfEiiPS3_EEvT2_lT0_T1_
; %bb.0:
	s_clause 0x1
	s_load_b32 s5, s[0:1], 0x24
	s_load_b64 s[2:3], s[0:1], 0x10
	s_bfe_u32 s4, ttmp6, 0x4000c
	s_and_b32 s6, ttmp6, 15
	s_add_co_i32 s7, s4, 1
	s_getreg_b32 s4, hwreg(HW_REG_IB_STS2, 6, 4)
	s_mul_i32 s7, ttmp9, s7
	s_delay_alu instid0(SALU_CYCLE_1) | instskip(SKIP_4) | instid1(SALU_CYCLE_1)
	s_add_co_i32 s6, s6, s7
	s_wait_kmcnt 0x0
	s_and_b32 s5, s5, 0xffff
	s_cmp_eq_u32 s4, 0
	s_cselect_b32 s6, ttmp9, s6
	v_mad_u32 v0, s6, s5, v0
	s_delay_alu instid0(VALU_DEP_1)
	v_cmp_gt_i32_e32 vcc_lo, s2, v0
	s_and_saveexec_b32 s2, vcc_lo
	s_cbranch_execz .LBB73_2
; %bb.1:
	s_load_b128 s[8:11], s[0:1], 0x0
	s_wait_xcnt 0x0
	s_bfe_u32 s0, ttmp6, 0x40010
	s_bfe_u32 s1, ttmp6, 0x40004
	s_add_co_i32 s0, s0, 1
	s_cvt_f32_i32 s2, s3
	s_mul_i32 s0, ttmp7, s0
	v_mov_b32_e32 v3, 0
	s_add_co_i32 s1, s1, s0
	s_cmp_eq_u32 s4, 0
	v_mov_b32_e32 v2, s2
	s_cselect_b32 s0, ttmp7, s1
	s_delay_alu instid0(SALU_CYCLE_1) | instskip(SKIP_2) | instid1(SALU_CYCLE_1)
	s_ashr_i32 s1, s0, 31
	s_wait_kmcnt 0x0
	s_mul_u64 s[0:1], s[10:11], s[0:1]
	s_lshl_b64 s[0:1], s[0:1], 3
	s_delay_alu instid0(SALU_CYCLE_1)
	s_add_nc_u64 s[0:1], s[8:9], s[0:1]
	global_store_b64 v0, v[2:3], s[0:1] scale_offset
.LBB73_2:
	s_endpgm
	.section	.rodata,"a",@progbits
	.p2align	6, 0x0
	.amdhsa_kernel _ZN9rocsolver6v33100L16reset_batch_infoI19rocblas_complex_numIfEiiPS3_EEvT2_lT0_T1_
		.amdhsa_group_segment_fixed_size 0
		.amdhsa_private_segment_fixed_size 0
		.amdhsa_kernarg_size 280
		.amdhsa_user_sgpr_count 2
		.amdhsa_user_sgpr_dispatch_ptr 0
		.amdhsa_user_sgpr_queue_ptr 0
		.amdhsa_user_sgpr_kernarg_segment_ptr 1
		.amdhsa_user_sgpr_dispatch_id 0
		.amdhsa_user_sgpr_kernarg_preload_length 0
		.amdhsa_user_sgpr_kernarg_preload_offset 0
		.amdhsa_user_sgpr_private_segment_size 0
		.amdhsa_wavefront_size32 1
		.amdhsa_uses_dynamic_stack 0
		.amdhsa_enable_private_segment 0
		.amdhsa_system_sgpr_workgroup_id_x 1
		.amdhsa_system_sgpr_workgroup_id_y 1
		.amdhsa_system_sgpr_workgroup_id_z 0
		.amdhsa_system_sgpr_workgroup_info 0
		.amdhsa_system_vgpr_workitem_id 0
		.amdhsa_next_free_vgpr 4
		.amdhsa_next_free_sgpr 12
		.amdhsa_named_barrier_count 0
		.amdhsa_reserve_vcc 1
		.amdhsa_float_round_mode_32 0
		.amdhsa_float_round_mode_16_64 0
		.amdhsa_float_denorm_mode_32 3
		.amdhsa_float_denorm_mode_16_64 3
		.amdhsa_fp16_overflow 0
		.amdhsa_memory_ordered 1
		.amdhsa_forward_progress 1
		.amdhsa_inst_pref_size 2
		.amdhsa_round_robin_scheduling 0
		.amdhsa_exception_fp_ieee_invalid_op 0
		.amdhsa_exception_fp_denorm_src 0
		.amdhsa_exception_fp_ieee_div_zero 0
		.amdhsa_exception_fp_ieee_overflow 0
		.amdhsa_exception_fp_ieee_underflow 0
		.amdhsa_exception_fp_ieee_inexact 0
		.amdhsa_exception_int_div_zero 0
	.end_amdhsa_kernel
	.section	.text._ZN9rocsolver6v33100L16reset_batch_infoI19rocblas_complex_numIfEiiPS3_EEvT2_lT0_T1_,"axG",@progbits,_ZN9rocsolver6v33100L16reset_batch_infoI19rocblas_complex_numIfEiiPS3_EEvT2_lT0_T1_,comdat
.Lfunc_end73:
	.size	_ZN9rocsolver6v33100L16reset_batch_infoI19rocblas_complex_numIfEiiPS3_EEvT2_lT0_T1_, .Lfunc_end73-_ZN9rocsolver6v33100L16reset_batch_infoI19rocblas_complex_numIfEiiPS3_EEvT2_lT0_T1_
                                        ; -- End function
	.set _ZN9rocsolver6v33100L16reset_batch_infoI19rocblas_complex_numIfEiiPS3_EEvT2_lT0_T1_.num_vgpr, 4
	.set _ZN9rocsolver6v33100L16reset_batch_infoI19rocblas_complex_numIfEiiPS3_EEvT2_lT0_T1_.num_agpr, 0
	.set _ZN9rocsolver6v33100L16reset_batch_infoI19rocblas_complex_numIfEiiPS3_EEvT2_lT0_T1_.numbered_sgpr, 12
	.set _ZN9rocsolver6v33100L16reset_batch_infoI19rocblas_complex_numIfEiiPS3_EEvT2_lT0_T1_.num_named_barrier, 0
	.set _ZN9rocsolver6v33100L16reset_batch_infoI19rocblas_complex_numIfEiiPS3_EEvT2_lT0_T1_.private_seg_size, 0
	.set _ZN9rocsolver6v33100L16reset_batch_infoI19rocblas_complex_numIfEiiPS3_EEvT2_lT0_T1_.uses_vcc, 1
	.set _ZN9rocsolver6v33100L16reset_batch_infoI19rocblas_complex_numIfEiiPS3_EEvT2_lT0_T1_.uses_flat_scratch, 0
	.set _ZN9rocsolver6v33100L16reset_batch_infoI19rocblas_complex_numIfEiiPS3_EEvT2_lT0_T1_.has_dyn_sized_stack, 0
	.set _ZN9rocsolver6v33100L16reset_batch_infoI19rocblas_complex_numIfEiiPS3_EEvT2_lT0_T1_.has_recursion, 0
	.set _ZN9rocsolver6v33100L16reset_batch_infoI19rocblas_complex_numIfEiiPS3_EEvT2_lT0_T1_.has_indirect_call, 0
	.section	.AMDGPU.csdata,"",@progbits
; Kernel info:
; codeLenInByte = 200
; TotalNumSgprs: 14
; NumVgprs: 4
; ScratchSize: 0
; MemoryBound: 0
; FloatMode: 240
; IeeeMode: 1
; LDSByteSize: 0 bytes/workgroup (compile time only)
; SGPRBlocks: 0
; VGPRBlocks: 0
; NumSGPRsForWavesPerEU: 14
; NumVGPRsForWavesPerEU: 4
; NamedBarCnt: 0
; Occupancy: 16
; WaveLimiterHint : 0
; COMPUTE_PGM_RSRC2:SCRATCH_EN: 0
; COMPUTE_PGM_RSRC2:USER_SGPR: 2
; COMPUTE_PGM_RSRC2:TRAP_HANDLER: 0
; COMPUTE_PGM_RSRC2:TGID_X_EN: 1
; COMPUTE_PGM_RSRC2:TGID_Y_EN: 1
; COMPUTE_PGM_RSRC2:TGID_Z_EN: 0
; COMPUTE_PGM_RSRC2:TIDIG_COMP_CNT: 0
	.section	.text._ZN9rocsolver6v33100L8set_diagI19rocblas_complex_numIfEifPS3_TnNSt9enable_ifIXaa18rocblas_is_complexIT_Ent18rocblas_is_complexIT1_EEiE4typeELi0EEEvPS7_llT2_lT0_lSC_b,"axG",@progbits,_ZN9rocsolver6v33100L8set_diagI19rocblas_complex_numIfEifPS3_TnNSt9enable_ifIXaa18rocblas_is_complexIT_Ent18rocblas_is_complexIT1_EEiE4typeELi0EEEvPS7_llT2_lT0_lSC_b,comdat
	.globl	_ZN9rocsolver6v33100L8set_diagI19rocblas_complex_numIfEifPS3_TnNSt9enable_ifIXaa18rocblas_is_complexIT_Ent18rocblas_is_complexIT1_EEiE4typeELi0EEEvPS7_llT2_lT0_lSC_b ; -- Begin function _ZN9rocsolver6v33100L8set_diagI19rocblas_complex_numIfEifPS3_TnNSt9enable_ifIXaa18rocblas_is_complexIT_Ent18rocblas_is_complexIT1_EEiE4typeELi0EEEvPS7_llT2_lT0_lSC_b
	.p2align	8
	.type	_ZN9rocsolver6v33100L8set_diagI19rocblas_complex_numIfEifPS3_TnNSt9enable_ifIXaa18rocblas_is_complexIT_Ent18rocblas_is_complexIT1_EEiE4typeELi0EEEvPS7_llT2_lT0_lSC_b,@function
_ZN9rocsolver6v33100L8set_diagI19rocblas_complex_numIfEifPS3_TnNSt9enable_ifIXaa18rocblas_is_complexIT_Ent18rocblas_is_complexIT1_EEiE4typeELi0EEEvPS7_llT2_lT0_lSC_b: ; @_ZN9rocsolver6v33100L8set_diagI19rocblas_complex_numIfEifPS3_TnNSt9enable_ifIXaa18rocblas_is_complexIT_Ent18rocblas_is_complexIT1_EEiE4typeELi0EEEvPS7_llT2_lT0_lSC_b
; %bb.0:
	s_load_u16 s4, s[0:1], 0x4e
	s_bfe_u32 s2, ttmp6, 0x40010
	s_bfe_u32 s6, ttmp6, 0x40004
	s_add_co_i32 s5, s2, 1
	s_load_b64 s[2:3], s[0:1], 0x38
	s_mul_i32 s5, ttmp7, s5
	s_getreg_b32 s12, hwreg(HW_REG_IB_STS2, 6, 4)
	s_add_co_i32 s6, s6, s5
	v_bfe_u32 v0, v0, 10, 10
	s_cmp_eq_u32 s12, 0
	s_cselect_b32 s5, ttmp7, s6
	s_wait_kmcnt 0x0
	s_delay_alu instid0(VALU_DEP_1) | instskip(NEXT) | instid1(VALU_DEP_1)
	v_mad_u32 v3, s5, s4, v0
	v_cmp_gt_i32_e32 vcc_lo, s2, v3
	s_and_saveexec_b32 s2, vcc_lo
	s_cbranch_execz .LBB74_5
; %bb.1:
	s_clause 0x2
	s_load_b96 s[16:18], s[0:1], 0x20
	s_load_b64 s[14:15], s[0:1], 0x30
	s_load_b256 s[4:11], s[0:1], 0x0
	s_bitcmp1_b32 s3, 0
	s_cselect_b32 s19, -1, 0
	s_wait_xcnt 0x0
	s_bfe_u32 s0, ttmp6, 0x4000c
	s_and_b32 s1, ttmp6, 15
	s_add_co_i32 s0, s0, 1
	s_delay_alu instid0(SALU_CYCLE_1) | instskip(NEXT) | instid1(SALU_CYCLE_1)
	s_mul_i32 s0, ttmp9, s0
	s_add_co_i32 s1, s1, s0
	s_cmp_eq_u32 s12, 0
	s_cselect_b32 s0, ttmp9, s1
	s_and_b32 vcc_lo, exec_lo, s19
	s_ashr_i32 s1, s0, 31
	s_wait_kmcnt 0x0
	v_mad_u32 v0, v3, s18, v3
	s_mul_u64 s[2:3], s[14:15], s[0:1]
	s_lshl_b64 s[12:13], s[16:17], 3
	s_lshl_b64 s[2:3], s[2:3], 3
	s_mul_u64 s[0:1], s[8:9], s[0:1]
	s_add_nc_u64 s[2:3], s[10:11], s[2:3]
	s_lshl_b64 s[0:1], s[0:1], 2
	s_add_nc_u64 s[2:3], s[2:3], s[12:13]
	s_add_nc_u64 s[0:1], s[4:5], s[0:1]
	s_delay_alu instid0(VALU_DEP_1) | instskip(NEXT) | instid1(VALU_DEP_1)
	v_ashrrev_i32_e32 v1, 31, v0
	v_lshl_add_u64 v[0:1], v[0:1], 3, s[2:3]
	s_lshl_b64 s[2:3], s[6:7], 2
	s_delay_alu instid0(SALU_CYCLE_1)
	s_add_nc_u64 s[0:1], s[0:1], s[2:3]
	global_load_b32 v2, v[0:1], off
	s_wait_loadcnt 0x0
	global_store_b32 v3, v2, s[0:1] scale_offset
	s_cbranch_vccnz .LBB74_3
; %bb.2:
	global_load_b32 v3, v[0:1], off offset:4
	s_branch .LBB74_4
.LBB74_3:
	s_wait_xcnt 0x0
	v_dual_mov_b32 v3, 0 :: v_dual_mov_b32 v2, 1.0
.LBB74_4:
	s_wait_loadcnt 0x0
	global_store_b64 v[0:1], v[2:3], off
.LBB74_5:
	s_endpgm
	.section	.rodata,"a",@progbits
	.p2align	6, 0x0
	.amdhsa_kernel _ZN9rocsolver6v33100L8set_diagI19rocblas_complex_numIfEifPS3_TnNSt9enable_ifIXaa18rocblas_is_complexIT_Ent18rocblas_is_complexIT1_EEiE4typeELi0EEEvPS7_llT2_lT0_lSC_b
		.amdhsa_group_segment_fixed_size 0
		.amdhsa_private_segment_fixed_size 0
		.amdhsa_kernarg_size 320
		.amdhsa_user_sgpr_count 2
		.amdhsa_user_sgpr_dispatch_ptr 0
		.amdhsa_user_sgpr_queue_ptr 0
		.amdhsa_user_sgpr_kernarg_segment_ptr 1
		.amdhsa_user_sgpr_dispatch_id 0
		.amdhsa_user_sgpr_kernarg_preload_length 0
		.amdhsa_user_sgpr_kernarg_preload_offset 0
		.amdhsa_user_sgpr_private_segment_size 0
		.amdhsa_wavefront_size32 1
		.amdhsa_uses_dynamic_stack 0
		.amdhsa_enable_private_segment 0
		.amdhsa_system_sgpr_workgroup_id_x 1
		.amdhsa_system_sgpr_workgroup_id_y 1
		.amdhsa_system_sgpr_workgroup_id_z 0
		.amdhsa_system_sgpr_workgroup_info 0
		.amdhsa_system_vgpr_workitem_id 1
		.amdhsa_next_free_vgpr 4
		.amdhsa_next_free_sgpr 20
		.amdhsa_named_barrier_count 0
		.amdhsa_reserve_vcc 1
		.amdhsa_float_round_mode_32 0
		.amdhsa_float_round_mode_16_64 0
		.amdhsa_float_denorm_mode_32 3
		.amdhsa_float_denorm_mode_16_64 3
		.amdhsa_fp16_overflow 0
		.amdhsa_memory_ordered 1
		.amdhsa_forward_progress 1
		.amdhsa_inst_pref_size 3
		.amdhsa_round_robin_scheduling 0
		.amdhsa_exception_fp_ieee_invalid_op 0
		.amdhsa_exception_fp_denorm_src 0
		.amdhsa_exception_fp_ieee_div_zero 0
		.amdhsa_exception_fp_ieee_overflow 0
		.amdhsa_exception_fp_ieee_underflow 0
		.amdhsa_exception_fp_ieee_inexact 0
		.amdhsa_exception_int_div_zero 0
	.end_amdhsa_kernel
	.section	.text._ZN9rocsolver6v33100L8set_diagI19rocblas_complex_numIfEifPS3_TnNSt9enable_ifIXaa18rocblas_is_complexIT_Ent18rocblas_is_complexIT1_EEiE4typeELi0EEEvPS7_llT2_lT0_lSC_b,"axG",@progbits,_ZN9rocsolver6v33100L8set_diagI19rocblas_complex_numIfEifPS3_TnNSt9enable_ifIXaa18rocblas_is_complexIT_Ent18rocblas_is_complexIT1_EEiE4typeELi0EEEvPS7_llT2_lT0_lSC_b,comdat
.Lfunc_end74:
	.size	_ZN9rocsolver6v33100L8set_diagI19rocblas_complex_numIfEifPS3_TnNSt9enable_ifIXaa18rocblas_is_complexIT_Ent18rocblas_is_complexIT1_EEiE4typeELi0EEEvPS7_llT2_lT0_lSC_b, .Lfunc_end74-_ZN9rocsolver6v33100L8set_diagI19rocblas_complex_numIfEifPS3_TnNSt9enable_ifIXaa18rocblas_is_complexIT_Ent18rocblas_is_complexIT1_EEiE4typeELi0EEEvPS7_llT2_lT0_lSC_b
                                        ; -- End function
	.set _ZN9rocsolver6v33100L8set_diagI19rocblas_complex_numIfEifPS3_TnNSt9enable_ifIXaa18rocblas_is_complexIT_Ent18rocblas_is_complexIT1_EEiE4typeELi0EEEvPS7_llT2_lT0_lSC_b.num_vgpr, 4
	.set _ZN9rocsolver6v33100L8set_diagI19rocblas_complex_numIfEifPS3_TnNSt9enable_ifIXaa18rocblas_is_complexIT_Ent18rocblas_is_complexIT1_EEiE4typeELi0EEEvPS7_llT2_lT0_lSC_b.num_agpr, 0
	.set _ZN9rocsolver6v33100L8set_diagI19rocblas_complex_numIfEifPS3_TnNSt9enable_ifIXaa18rocblas_is_complexIT_Ent18rocblas_is_complexIT1_EEiE4typeELi0EEEvPS7_llT2_lT0_lSC_b.numbered_sgpr, 20
	.set _ZN9rocsolver6v33100L8set_diagI19rocblas_complex_numIfEifPS3_TnNSt9enable_ifIXaa18rocblas_is_complexIT_Ent18rocblas_is_complexIT1_EEiE4typeELi0EEEvPS7_llT2_lT0_lSC_b.num_named_barrier, 0
	.set _ZN9rocsolver6v33100L8set_diagI19rocblas_complex_numIfEifPS3_TnNSt9enable_ifIXaa18rocblas_is_complexIT_Ent18rocblas_is_complexIT1_EEiE4typeELi0EEEvPS7_llT2_lT0_lSC_b.private_seg_size, 0
	.set _ZN9rocsolver6v33100L8set_diagI19rocblas_complex_numIfEifPS3_TnNSt9enable_ifIXaa18rocblas_is_complexIT_Ent18rocblas_is_complexIT1_EEiE4typeELi0EEEvPS7_llT2_lT0_lSC_b.uses_vcc, 1
	.set _ZN9rocsolver6v33100L8set_diagI19rocblas_complex_numIfEifPS3_TnNSt9enable_ifIXaa18rocblas_is_complexIT_Ent18rocblas_is_complexIT1_EEiE4typeELi0EEEvPS7_llT2_lT0_lSC_b.uses_flat_scratch, 0
	.set _ZN9rocsolver6v33100L8set_diagI19rocblas_complex_numIfEifPS3_TnNSt9enable_ifIXaa18rocblas_is_complexIT_Ent18rocblas_is_complexIT1_EEiE4typeELi0EEEvPS7_llT2_lT0_lSC_b.has_dyn_sized_stack, 0
	.set _ZN9rocsolver6v33100L8set_diagI19rocblas_complex_numIfEifPS3_TnNSt9enable_ifIXaa18rocblas_is_complexIT_Ent18rocblas_is_complexIT1_EEiE4typeELi0EEEvPS7_llT2_lT0_lSC_b.has_recursion, 0
	.set _ZN9rocsolver6v33100L8set_diagI19rocblas_complex_numIfEifPS3_TnNSt9enable_ifIXaa18rocblas_is_complexIT_Ent18rocblas_is_complexIT1_EEiE4typeELi0EEEvPS7_llT2_lT0_lSC_b.has_indirect_call, 0
	.section	.AMDGPU.csdata,"",@progbits
; Kernel info:
; codeLenInByte = 328
; TotalNumSgprs: 22
; NumVgprs: 4
; ScratchSize: 0
; MemoryBound: 0
; FloatMode: 240
; IeeeMode: 1
; LDSByteSize: 0 bytes/workgroup (compile time only)
; SGPRBlocks: 0
; VGPRBlocks: 0
; NumSGPRsForWavesPerEU: 22
; NumVGPRsForWavesPerEU: 4
; NamedBarCnt: 0
; Occupancy: 16
; WaveLimiterHint : 0
; COMPUTE_PGM_RSRC2:SCRATCH_EN: 0
; COMPUTE_PGM_RSRC2:USER_SGPR: 2
; COMPUTE_PGM_RSRC2:TRAP_HANDLER: 0
; COMPUTE_PGM_RSRC2:TGID_X_EN: 1
; COMPUTE_PGM_RSRC2:TGID_Y_EN: 1
; COMPUTE_PGM_RSRC2:TGID_Z_EN: 0
; COMPUTE_PGM_RSRC2:TIDIG_COMP_CNT: 1
	.section	.text._ZN9rocsolver6v33100L11set_taubetaI19rocblas_complex_numIfEifPS3_EEvPT_lS6_T2_llPT1_ll,"axG",@progbits,_ZN9rocsolver6v33100L11set_taubetaI19rocblas_complex_numIfEifPS3_EEvPT_lS6_T2_llPT1_ll,comdat
	.globl	_ZN9rocsolver6v33100L11set_taubetaI19rocblas_complex_numIfEifPS3_EEvPT_lS6_T2_llPT1_ll ; -- Begin function _ZN9rocsolver6v33100L11set_taubetaI19rocblas_complex_numIfEifPS3_EEvPT_lS6_T2_llPT1_ll
	.p2align	8
	.type	_ZN9rocsolver6v33100L11set_taubetaI19rocblas_complex_numIfEifPS3_EEvPT_lS6_T2_llPT1_ll,@function
_ZN9rocsolver6v33100L11set_taubetaI19rocblas_complex_numIfEifPS3_EEvPT_lS6_T2_llPT1_ll: ; @_ZN9rocsolver6v33100L11set_taubetaI19rocblas_complex_numIfEifPS3_EEvPT_lS6_T2_llPT1_ll
; %bb.0:
	s_load_b512 s[4:19], s[0:1], 0x0
	s_bfe_u32 s2, ttmp6, 0x4000c
	s_and_b32 s3, ttmp6, 15
	s_add_co_i32 s2, s2, 1
	s_getreg_b32 s20, hwreg(HW_REG_IB_STS2, 6, 4)
	s_mul_i32 s2, ttmp9, s2
	s_mov_b32 s22, 0
	s_add_co_i32 s3, s3, s2
	s_cmp_eq_u32 s20, 0
	s_mov_b64 s[20:21], 0
	s_cselect_b32 s2, ttmp9, s3
	s_delay_alu instid0(SALU_CYCLE_1)
	s_ashr_i32 s3, s2, 31
	s_wait_kmcnt 0x0
	s_cmp_eq_u64 s[16:17], 0
	s_cbranch_scc1 .LBB75_2
; %bb.1:
	s_load_b64 s[0:1], s[0:1], 0x40
	s_wait_kmcnt 0x0
	s_mul_u64 s[0:1], s[0:1], s[2:3]
	s_delay_alu instid0(SALU_CYCLE_1) | instskip(NEXT) | instid1(SALU_CYCLE_1)
	s_lshl_b64 s[0:1], s[0:1], 2
	s_add_nc_u64 s[0:1], s[16:17], s[0:1]
	s_lshl_b64 s[16:17], s[18:19], 2
	s_delay_alu instid0(SALU_CYCLE_1)
	s_add_nc_u64 s[20:21], s[0:1], s[16:17]
.LBB75_2:
	s_mul_u64 s[0:1], s[14:15], s[2:3]
	s_lshl_b64 s[14:15], s[2:3], 3
	s_lshl_b64 s[0:1], s[0:1], 3
	;; [unrolled: 1-line block ×3, first 2 shown]
	s_add_nc_u64 s[0:1], s[10:11], s[0:1]
	s_add_nc_u64 s[10:11], s[8:9], s[14:15]
	;; [unrolled: 1-line block ×3, first 2 shown]
	s_load_b32 s0, s[10:11], 0x0
	s_load_b32 s12, s[8:9], 0x4
	s_mul_u64 s[2:3], s[6:7], s[2:3]
	s_mov_b32 s6, -1
	s_lshl_b64 s[2:3], s[2:3], 3
	s_cmp_lg_u64 s[20:21], 0
	s_add_nc_u64 s[4:5], s[4:5], s[2:3]
	s_cselect_b32 s3, -1, 0
	s_mov_b32 s2, 0
	s_wait_kmcnt 0x0
	v_max_num_f32_e64 v0, s0, s0
	s_mul_f32 s1, s12, s12
	s_delay_alu instid0(VALU_DEP_1) | instid1(SALU_CYCLE_3)
	v_max_num_f32_e32 v0, s1, v0
	s_delay_alu instid0(VALU_DEP_1)
	v_cmp_nlt_f32_e32 vcc_lo, 0, v0
	s_cbranch_vccnz .LBB75_6
; %bb.3:
	s_and_b32 vcc_lo, exec_lo, s6
	s_cbranch_vccnz .LBB75_9
.LBB75_4:
	s_and_not1_b32 vcc_lo, exec_lo, s22
	s_cbranch_vccz .LBB75_14
; %bb.5:
	s_endpgm
.LBB75_6:
	v_mov_b64_e32 v[2:3], 0x3f800000
	v_mov_b64_e32 v[4:5], 0
	v_mov_b32_e32 v0, 0
	s_and_b32 vcc_lo, exec_lo, s3
	s_clause 0x1
	global_store_b64 v0, v[2:3], s[10:11]
	global_store_b64 v0, v[4:5], s[4:5]
	s_cbranch_vccz .LBB75_8
; %bb.7:
	global_load_b32 v1, v0, s[8:9]
	s_wait_xcnt 0x2
	v_mov_b32_e32 v2, 1.0
	s_mov_b32 s2, -1
	s_wait_loadcnt 0x0
	s_clause 0x1
	global_store_b32 v0, v1, s[20:21]
	global_store_b32 v0, v2, s[8:9]
.LBB75_8:
	s_mov_b32 s22, s2
	s_branch .LBB75_4
.LBB75_9:
	s_wait_xcnt 0x0
	v_mov_b32_e32 v0, 0
	s_mov_b32 s6, s1
	global_load_b32 v2, v0, s[8:9]
	s_wait_loadcnt 0x0
	v_readfirstlane_b32 s2, v2
	v_cmp_le_f32_e32 vcc_lo, 0, v2
	s_fmac_f32 s6, s2, s2
	s_delay_alu instid0(SALU_CYCLE_3) | instskip(NEXT) | instid1(SALU_CYCLE_3)
	s_add_f32 s0, s0, s6
	s_mul_f32 s2, s0, 0x4f800000
	s_cmp_lt_f32 s0, 0xf800000
	s_delay_alu instid0(SALU_CYCLE_2) | instskip(NEXT) | instid1(SALU_CYCLE_1)
	s_cselect_b32 s2, s2, s0
	v_s_sqrt_f32 s6, s2
	s_mov_b32 s13, s2
	s_delay_alu instid0(TRANS32_DEP_1) | instskip(NEXT) | instid1(SALU_CYCLE_1)
	s_add_co_i32 s7, s6, -1
	s_xor_b32 s14, s7, 0x80000000
	s_delay_alu instid0(SALU_CYCLE_1) | instskip(SKIP_1) | instid1(SALU_CYCLE_2)
	s_fmac_f32 s13, s14, s6
	s_mov_b32 s14, s2
	s_cmp_le_f32 s13, 0
	s_cselect_b32 s7, s7, s6
	s_add_co_i32 s13, s6, 1
	s_delay_alu instid0(SALU_CYCLE_1) | instskip(NEXT) | instid1(SALU_CYCLE_1)
	s_xor_b32 s15, s13, 0x80000000
	s_fmac_f32 s14, s15, s6
	v_cmp_class_f32_e64 s6, s2, 0x260
	s_delay_alu instid0(SALU_CYCLE_2) | instskip(SKIP_3) | instid1(SALU_CYCLE_3)
	s_cmp_gt_f32 s14, 0
	s_cselect_b32 s7, s13, s7
	s_cmp_lt_f32 s0, 0xf800000
	s_mul_f32 s0, s7, 0x37800000
	s_cselect_b32 s0, s0, s7
	s_and_b32 s6, s6, exec_lo
	s_cselect_b32 s0, s2, s0
	s_delay_alu instid0(SALU_CYCLE_1) | instskip(NEXT) | instid1(SALU_CYCLE_1)
	s_xor_b32 s2, s0, 0x80000000
	v_mov_b32_e32 v1, s2
	s_delay_alu instid0(VALU_DEP_1) | instskip(NEXT) | instid1(VALU_DEP_1)
	v_cndmask_b32_e32 v1, s0, v1, vcc_lo
	v_dual_sub_f32 v3, v2, v1 :: v_dual_sub_f32 v4, v1, v2
	v_div_scale_f32 v2, null, v1, v1, -s12
	s_delay_alu instid0(VALU_DEP_2) | instskip(NEXT) | instid1(VALU_DEP_2)
	v_fma_f32 v6, v3, v3, s1
	v_xor_b32_e32 v9, 0x80000000, v2
	v_rcp_f32_e32 v2, v2
	s_delay_alu instid0(VALU_DEP_2) | instskip(SKIP_2) | instid1(TRANS32_DEP_1)
	v_div_scale_f32 v10, null, v6, v6, v3
	v_div_scale_f32 v11, null, v6, v6, -s12
	v_div_scale_f32 v20, s2, -s12, v6, -s12
	v_fma_f32 v16, v9, v2, 1.0
	s_delay_alu instid0(VALU_DEP_4)
	v_xor_b32_e32 v13, 0x80000000, v10
	v_rcp_f32_e32 v10, v10
	v_rcp_f32_e32 v14, v11
	v_nop
	v_xor_b32_e32 v11, 0x80000000, v11
	v_fmac_f32_e32 v2, v16, v2
	v_div_scale_f32 v7, null, v1, v1, v4
	v_div_scale_f32 v8, s1, v4, v1, v4
	v_fma_f32 v18, v13, v10, 1.0
	s_delay_alu instid0(VALU_DEP_3) | instskip(SKIP_4) | instid1(TRANS32_DEP_1)
	v_xor_b32_e32 v12, 0x80000000, v7
	v_rcp_f32_e32 v7, v7
	v_fma_f32 v19, v11, v14, 1.0
	v_div_scale_f32 v5, s0, -s12, v1, -s12
	v_div_scale_f32 v15, vcc_lo, v3, v6, v3
	v_fma_f32 v17, v12, v7, 1.0
	s_delay_alu instid0(VALU_DEP_1) | instskip(NEXT) | instid1(VALU_DEP_1)
	v_dual_fmac_f32 v10, v18, v10 :: v_dual_fmac_f32 v7, v17, v7
	v_dual_fmac_f32 v14, v19, v14 :: v_dual_mul_f32 v18, v8, v7
	s_delay_alu instid0(VALU_DEP_1) | instskip(NEXT) | instid1(VALU_DEP_1)
	v_mul_f32_e32 v19, v20, v14
	v_dual_mul_f32 v16, v5, v2 :: v_dual_fma_f32 v24, v11, v19, v20
	s_delay_alu instid0(VALU_DEP_1) | instskip(NEXT) | instid1(VALU_DEP_1)
	v_dual_mul_f32 v17, v15, v10 :: v_dual_fma_f32 v21, v9, v16, v5
	v_fma_f32 v22, v13, v17, v15
	s_delay_alu instid0(VALU_DEP_2) | instskip(SKIP_2) | instid1(VALU_DEP_4)
	v_fmac_f32_e32 v16, v21, v2
	v_fma_f32 v23, v12, v18, v8
	v_fmac_f32_e32 v19, v24, v14
	v_fmac_f32_e32 v17, v22, v10
	s_delay_alu instid0(VALU_DEP_3) | instskip(NEXT) | instid1(VALU_DEP_2)
	v_dual_fmac_f32 v5, v9, v16 :: v_dual_fmac_f32 v18, v23, v7
	v_dual_fmac_f32 v20, v11, v19 :: v_dual_fmac_f32 v15, v13, v17
	s_delay_alu instid0(VALU_DEP_2) | instskip(NEXT) | instid1(VALU_DEP_2)
	v_fmac_f32_e32 v8, v12, v18
	v_div_fmas_f32 v9, v15, v10, v17
	s_mov_b32 vcc_lo, s2
	s_delay_alu instid0(VALU_DEP_3)
	v_div_fmas_f32 v10, v20, v14, v19
	s_mov_b32 vcc_lo, s1
	v_div_fmas_f32 v7, v8, v7, v18
	s_mov_b32 vcc_lo, s0
	s_mov_b32 s0, -1
	v_div_fmas_f32 v5, v5, v2, v16
	v_div_fixup_f32 v2, v9, v6, v3
	v_div_fixup_f32 v3, v10, v6, -s12
	v_div_fixup_f32 v4, v7, v1, v4
	s_and_b32 vcc_lo, exec_lo, s3
	v_div_fixup_f32 v5, v5, v1, -s12
	s_clause 0x1
	global_store_b64 v0, v[2:3], s[10:11]
	global_store_b64 v0, v[4:5], s[4:5]
	s_cbranch_vccz .LBB75_11
; %bb.10:
	s_wait_xcnt 0x1
	v_mov_b32_e32 v2, 1.0
	global_store_b32 v0, v1, s[20:21]
	s_mov_b32 s0, 0
	global_store_b32 v0, v2, s[8:9]
.LBB75_11:
	s_and_not1_b32 vcc_lo, exec_lo, s0
	s_cbranch_vccnz .LBB75_13
; %bb.12:
	s_wait_xcnt 0x0
	v_mov_b32_e32 v0, 0
	global_store_b32 v0, v1, s[8:9]
.LBB75_13:
.LBB75_14:
	s_wait_xcnt 0x0
	v_mov_b32_e32 v0, 0
	global_store_b32 v0, v0, s[8:9] offset:4
	s_endpgm
	.section	.rodata,"a",@progbits
	.p2align	6, 0x0
	.amdhsa_kernel _ZN9rocsolver6v33100L11set_taubetaI19rocblas_complex_numIfEifPS3_EEvPT_lS6_T2_llPT1_ll
		.amdhsa_group_segment_fixed_size 0
		.amdhsa_private_segment_fixed_size 0
		.amdhsa_kernarg_size 72
		.amdhsa_user_sgpr_count 2
		.amdhsa_user_sgpr_dispatch_ptr 0
		.amdhsa_user_sgpr_queue_ptr 0
		.amdhsa_user_sgpr_kernarg_segment_ptr 1
		.amdhsa_user_sgpr_dispatch_id 0
		.amdhsa_user_sgpr_kernarg_preload_length 0
		.amdhsa_user_sgpr_kernarg_preload_offset 0
		.amdhsa_user_sgpr_private_segment_size 0
		.amdhsa_wavefront_size32 1
		.amdhsa_uses_dynamic_stack 0
		.amdhsa_enable_private_segment 0
		.amdhsa_system_sgpr_workgroup_id_x 1
		.amdhsa_system_sgpr_workgroup_id_y 0
		.amdhsa_system_sgpr_workgroup_id_z 0
		.amdhsa_system_sgpr_workgroup_info 0
		.amdhsa_system_vgpr_workitem_id 0
		.amdhsa_next_free_vgpr 25
		.amdhsa_next_free_sgpr 23
		.amdhsa_named_barrier_count 0
		.amdhsa_reserve_vcc 1
		.amdhsa_float_round_mode_32 0
		.amdhsa_float_round_mode_16_64 0
		.amdhsa_float_denorm_mode_32 3
		.amdhsa_float_denorm_mode_16_64 3
		.amdhsa_fp16_overflow 0
		.amdhsa_memory_ordered 1
		.amdhsa_forward_progress 1
		.amdhsa_inst_pref_size 9
		.amdhsa_round_robin_scheduling 0
		.amdhsa_exception_fp_ieee_invalid_op 0
		.amdhsa_exception_fp_denorm_src 0
		.amdhsa_exception_fp_ieee_div_zero 0
		.amdhsa_exception_fp_ieee_overflow 0
		.amdhsa_exception_fp_ieee_underflow 0
		.amdhsa_exception_fp_ieee_inexact 0
		.amdhsa_exception_int_div_zero 0
	.end_amdhsa_kernel
	.section	.text._ZN9rocsolver6v33100L11set_taubetaI19rocblas_complex_numIfEifPS3_EEvPT_lS6_T2_llPT1_ll,"axG",@progbits,_ZN9rocsolver6v33100L11set_taubetaI19rocblas_complex_numIfEifPS3_EEvPT_lS6_T2_llPT1_ll,comdat
.Lfunc_end75:
	.size	_ZN9rocsolver6v33100L11set_taubetaI19rocblas_complex_numIfEifPS3_EEvPT_lS6_T2_llPT1_ll, .Lfunc_end75-_ZN9rocsolver6v33100L11set_taubetaI19rocblas_complex_numIfEifPS3_EEvPT_lS6_T2_llPT1_ll
                                        ; -- End function
	.set _ZN9rocsolver6v33100L11set_taubetaI19rocblas_complex_numIfEifPS3_EEvPT_lS6_T2_llPT1_ll.num_vgpr, 25
	.set _ZN9rocsolver6v33100L11set_taubetaI19rocblas_complex_numIfEifPS3_EEvPT_lS6_T2_llPT1_ll.num_agpr, 0
	.set _ZN9rocsolver6v33100L11set_taubetaI19rocblas_complex_numIfEifPS3_EEvPT_lS6_T2_llPT1_ll.numbered_sgpr, 23
	.set _ZN9rocsolver6v33100L11set_taubetaI19rocblas_complex_numIfEifPS3_EEvPT_lS6_T2_llPT1_ll.num_named_barrier, 0
	.set _ZN9rocsolver6v33100L11set_taubetaI19rocblas_complex_numIfEifPS3_EEvPT_lS6_T2_llPT1_ll.private_seg_size, 0
	.set _ZN9rocsolver6v33100L11set_taubetaI19rocblas_complex_numIfEifPS3_EEvPT_lS6_T2_llPT1_ll.uses_vcc, 1
	.set _ZN9rocsolver6v33100L11set_taubetaI19rocblas_complex_numIfEifPS3_EEvPT_lS6_T2_llPT1_ll.uses_flat_scratch, 0
	.set _ZN9rocsolver6v33100L11set_taubetaI19rocblas_complex_numIfEifPS3_EEvPT_lS6_T2_llPT1_ll.has_dyn_sized_stack, 0
	.set _ZN9rocsolver6v33100L11set_taubetaI19rocblas_complex_numIfEifPS3_EEvPT_lS6_T2_llPT1_ll.has_recursion, 0
	.set _ZN9rocsolver6v33100L11set_taubetaI19rocblas_complex_numIfEifPS3_EEvPT_lS6_T2_llPT1_ll.has_indirect_call, 0
	.section	.AMDGPU.csdata,"",@progbits
; Kernel info:
; codeLenInByte = 1084
; TotalNumSgprs: 25
; NumVgprs: 25
; ScratchSize: 0
; MemoryBound: 0
; FloatMode: 240
; IeeeMode: 1
; LDSByteSize: 0 bytes/workgroup (compile time only)
; SGPRBlocks: 0
; VGPRBlocks: 1
; NumSGPRsForWavesPerEU: 25
; NumVGPRsForWavesPerEU: 25
; NamedBarCnt: 0
; Occupancy: 16
; WaveLimiterHint : 0
; COMPUTE_PGM_RSRC2:SCRATCH_EN: 0
; COMPUTE_PGM_RSRC2:USER_SGPR: 2
; COMPUTE_PGM_RSRC2:TRAP_HANDLER: 0
; COMPUTE_PGM_RSRC2:TGID_X_EN: 1
; COMPUTE_PGM_RSRC2:TGID_Y_EN: 0
; COMPUTE_PGM_RSRC2:TGID_Z_EN: 0
; COMPUTE_PGM_RSRC2:TIDIG_COMP_CNT: 0
	.section	.text._ZN9rocsolver6v33100L13conj_in_placeI19rocblas_complex_numIfEiPS3_TnNSt9enable_ifIX18rocblas_is_complexIT_EEiE4typeELi0EEEvT0_S9_T1_lS9_l,"axG",@progbits,_ZN9rocsolver6v33100L13conj_in_placeI19rocblas_complex_numIfEiPS3_TnNSt9enable_ifIX18rocblas_is_complexIT_EEiE4typeELi0EEEvT0_S9_T1_lS9_l,comdat
	.globl	_ZN9rocsolver6v33100L13conj_in_placeI19rocblas_complex_numIfEiPS3_TnNSt9enable_ifIX18rocblas_is_complexIT_EEiE4typeELi0EEEvT0_S9_T1_lS9_l ; -- Begin function _ZN9rocsolver6v33100L13conj_in_placeI19rocblas_complex_numIfEiPS3_TnNSt9enable_ifIX18rocblas_is_complexIT_EEiE4typeELi0EEEvT0_S9_T1_lS9_l
	.p2align	8
	.type	_ZN9rocsolver6v33100L13conj_in_placeI19rocblas_complex_numIfEiPS3_TnNSt9enable_ifIX18rocblas_is_complexIT_EEiE4typeELi0EEEvT0_S9_T1_lS9_l,@function
_ZN9rocsolver6v33100L13conj_in_placeI19rocblas_complex_numIfEiPS3_TnNSt9enable_ifIX18rocblas_is_complexIT_EEiE4typeELi0EEEvT0_S9_T1_lS9_l: ; @_ZN9rocsolver6v33100L13conj_in_placeI19rocblas_complex_numIfEiPS3_TnNSt9enable_ifIX18rocblas_is_complexIT_EEiE4typeELi0EEEvT0_S9_T1_lS9_l
; %bb.0:
	s_clause 0x1
	s_load_b32 s5, s[0:1], 0x34
	s_load_b64 s[2:3], s[0:1], 0x0
	s_bfe_u32 s7, ttmp6, 0x40010
	s_bfe_u32 s10, ttmp6, 0x4000c
	s_and_b32 s6, ttmp7, 0xffff
	s_add_co_i32 s7, s7, 1
	s_add_co_i32 s10, s10, 1
	s_bfe_u32 s8, ttmp6, 0x40004
	s_and_b32 s9, ttmp6, 15
	s_mul_i32 s7, s6, s7
	s_mul_i32 s10, ttmp9, s10
	s_getreg_b32 s4, hwreg(HW_REG_IB_STS2, 6, 4)
	v_and_b32_e32 v1, 0x3ff, v0
	v_bfe_u32 v2, v0, 10, 10
	s_add_co_i32 s8, s8, s7
	s_add_co_i32 s9, s9, s10
	s_wait_kmcnt 0x0
	s_lshr_b32 s7, s5, 16
	s_and_b32 s5, s5, 0xffff
	s_cmp_eq_u32 s4, 0
	s_cselect_b32 s9, ttmp9, s9
	s_cselect_b32 s6, s6, s8
	v_mad_u32 v0, s9, s5, v1
	v_mad_u32 v2, s6, s7, v2
	s_delay_alu instid0(VALU_DEP_2) | instskip(NEXT) | instid1(VALU_DEP_2)
	v_cmp_gt_i32_e32 vcc_lo, s2, v0
	v_cmp_gt_i32_e64 s2, s3, v2
	s_mov_b32 s3, 0
	s_and_b32 s2, vcc_lo, s2
	s_delay_alu instid0(SALU_CYCLE_1)
	s_and_saveexec_b32 s5, s2
	s_cbranch_execz .LBB76_2
; %bb.1:
	s_load_b32 s6, s[0:1], 0x18
	v_dual_ashrrev_i32 v3, 31, v2 :: v_dual_ashrrev_i32 v1, 31, v0
	s_clause 0x1
	s_load_b64 s[12:13], s[0:1], 0x20
	s_load_b128 s[8:11], s[0:1], 0x8
	s_wait_xcnt 0x0
	s_bfe_u32 s0, ttmp6, 0x40014
	s_lshr_b32 s1, ttmp7, 16
	s_add_co_i32 s0, s0, 1
	s_bfe_u32 s2, ttmp6, 0x40008
	s_mul_i32 s0, s1, s0
	s_delay_alu instid0(SALU_CYCLE_1)
	s_add_co_i32 s2, s2, s0
	s_wait_kmcnt 0x0
	s_ashr_i32 s7, s6, 31
	s_cmp_eq_u32 s4, 0
	v_mul_u64_e32 v[4:5], s[6:7], v[2:3]
	s_cselect_b32 s2, s1, s2
	s_delay_alu instid0(SALU_CYCLE_1) | instskip(SKIP_2) | instid1(SALU_CYCLE_1)
	s_mul_u64 s[0:1], s[12:13], s[2:3]
	s_lshl_b64 s[2:3], s[10:11], 3
	s_lshl_b64 s[0:1], s[0:1], 3
	s_add_nc_u64 s[0:1], s[8:9], s[0:1]
	s_delay_alu instid0(SALU_CYCLE_1)
	s_add_nc_u64 s[0:1], s[0:1], s[2:3]
	s_delay_alu instid0(VALU_DEP_1) | instid1(SALU_CYCLE_1)
	v_lshl_add_u64 v[4:5], v[4:5], 3, s[0:1]
	s_delay_alu instid0(VALU_DEP_1)
	v_lshl_add_u64 v[4:5], v[0:1], 3, v[4:5]
	v_mad_u32 v0, v2, s6, v0
	global_load_b64 v[4:5], v[4:5], off
	s_wait_loadcnt 0x0
	v_xor_b32_e32 v5, 0x80000000, v5
	global_store_b64 v0, v[4:5], s[0:1] scale_offset
.LBB76_2:
	s_endpgm
	.section	.rodata,"a",@progbits
	.p2align	6, 0x0
	.amdhsa_kernel _ZN9rocsolver6v33100L13conj_in_placeI19rocblas_complex_numIfEiPS3_TnNSt9enable_ifIX18rocblas_is_complexIT_EEiE4typeELi0EEEvT0_S9_T1_lS9_l
		.amdhsa_group_segment_fixed_size 0
		.amdhsa_private_segment_fixed_size 0
		.amdhsa_kernarg_size 296
		.amdhsa_user_sgpr_count 2
		.amdhsa_user_sgpr_dispatch_ptr 0
		.amdhsa_user_sgpr_queue_ptr 0
		.amdhsa_user_sgpr_kernarg_segment_ptr 1
		.amdhsa_user_sgpr_dispatch_id 0
		.amdhsa_user_sgpr_kernarg_preload_length 0
		.amdhsa_user_sgpr_kernarg_preload_offset 0
		.amdhsa_user_sgpr_private_segment_size 0
		.amdhsa_wavefront_size32 1
		.amdhsa_uses_dynamic_stack 0
		.amdhsa_enable_private_segment 0
		.amdhsa_system_sgpr_workgroup_id_x 1
		.amdhsa_system_sgpr_workgroup_id_y 1
		.amdhsa_system_sgpr_workgroup_id_z 1
		.amdhsa_system_sgpr_workgroup_info 0
		.amdhsa_system_vgpr_workitem_id 1
		.amdhsa_next_free_vgpr 6
		.amdhsa_next_free_sgpr 14
		.amdhsa_named_barrier_count 0
		.amdhsa_reserve_vcc 1
		.amdhsa_float_round_mode_32 0
		.amdhsa_float_round_mode_16_64 0
		.amdhsa_float_denorm_mode_32 3
		.amdhsa_float_denorm_mode_16_64 3
		.amdhsa_fp16_overflow 0
		.amdhsa_memory_ordered 1
		.amdhsa_forward_progress 1
		.amdhsa_inst_pref_size 3
		.amdhsa_round_robin_scheduling 0
		.amdhsa_exception_fp_ieee_invalid_op 0
		.amdhsa_exception_fp_denorm_src 0
		.amdhsa_exception_fp_ieee_div_zero 0
		.amdhsa_exception_fp_ieee_overflow 0
		.amdhsa_exception_fp_ieee_underflow 0
		.amdhsa_exception_fp_ieee_inexact 0
		.amdhsa_exception_int_div_zero 0
	.end_amdhsa_kernel
	.section	.text._ZN9rocsolver6v33100L13conj_in_placeI19rocblas_complex_numIfEiPS3_TnNSt9enable_ifIX18rocblas_is_complexIT_EEiE4typeELi0EEEvT0_S9_T1_lS9_l,"axG",@progbits,_ZN9rocsolver6v33100L13conj_in_placeI19rocblas_complex_numIfEiPS3_TnNSt9enable_ifIX18rocblas_is_complexIT_EEiE4typeELi0EEEvT0_S9_T1_lS9_l,comdat
.Lfunc_end76:
	.size	_ZN9rocsolver6v33100L13conj_in_placeI19rocblas_complex_numIfEiPS3_TnNSt9enable_ifIX18rocblas_is_complexIT_EEiE4typeELi0EEEvT0_S9_T1_lS9_l, .Lfunc_end76-_ZN9rocsolver6v33100L13conj_in_placeI19rocblas_complex_numIfEiPS3_TnNSt9enable_ifIX18rocblas_is_complexIT_EEiE4typeELi0EEEvT0_S9_T1_lS9_l
                                        ; -- End function
	.set _ZN9rocsolver6v33100L13conj_in_placeI19rocblas_complex_numIfEiPS3_TnNSt9enable_ifIX18rocblas_is_complexIT_EEiE4typeELi0EEEvT0_S9_T1_lS9_l.num_vgpr, 6
	.set _ZN9rocsolver6v33100L13conj_in_placeI19rocblas_complex_numIfEiPS3_TnNSt9enable_ifIX18rocblas_is_complexIT_EEiE4typeELi0EEEvT0_S9_T1_lS9_l.num_agpr, 0
	.set _ZN9rocsolver6v33100L13conj_in_placeI19rocblas_complex_numIfEiPS3_TnNSt9enable_ifIX18rocblas_is_complexIT_EEiE4typeELi0EEEvT0_S9_T1_lS9_l.numbered_sgpr, 14
	.set _ZN9rocsolver6v33100L13conj_in_placeI19rocblas_complex_numIfEiPS3_TnNSt9enable_ifIX18rocblas_is_complexIT_EEiE4typeELi0EEEvT0_S9_T1_lS9_l.num_named_barrier, 0
	.set _ZN9rocsolver6v33100L13conj_in_placeI19rocblas_complex_numIfEiPS3_TnNSt9enable_ifIX18rocblas_is_complexIT_EEiE4typeELi0EEEvT0_S9_T1_lS9_l.private_seg_size, 0
	.set _ZN9rocsolver6v33100L13conj_in_placeI19rocblas_complex_numIfEiPS3_TnNSt9enable_ifIX18rocblas_is_complexIT_EEiE4typeELi0EEEvT0_S9_T1_lS9_l.uses_vcc, 1
	.set _ZN9rocsolver6v33100L13conj_in_placeI19rocblas_complex_numIfEiPS3_TnNSt9enable_ifIX18rocblas_is_complexIT_EEiE4typeELi0EEEvT0_S9_T1_lS9_l.uses_flat_scratch, 0
	.set _ZN9rocsolver6v33100L13conj_in_placeI19rocblas_complex_numIfEiPS3_TnNSt9enable_ifIX18rocblas_is_complexIT_EEiE4typeELi0EEEvT0_S9_T1_lS9_l.has_dyn_sized_stack, 0
	.set _ZN9rocsolver6v33100L13conj_in_placeI19rocblas_complex_numIfEiPS3_TnNSt9enable_ifIX18rocblas_is_complexIT_EEiE4typeELi0EEEvT0_S9_T1_lS9_l.has_recursion, 0
	.set _ZN9rocsolver6v33100L13conj_in_placeI19rocblas_complex_numIfEiPS3_TnNSt9enable_ifIX18rocblas_is_complexIT_EEiE4typeELi0EEEvT0_S9_T1_lS9_l.has_indirect_call, 0
	.section	.AMDGPU.csdata,"",@progbits
; Kernel info:
; codeLenInByte = 380
; TotalNumSgprs: 16
; NumVgprs: 6
; ScratchSize: 0
; MemoryBound: 0
; FloatMode: 240
; IeeeMode: 1
; LDSByteSize: 0 bytes/workgroup (compile time only)
; SGPRBlocks: 0
; VGPRBlocks: 0
; NumSGPRsForWavesPerEU: 16
; NumVGPRsForWavesPerEU: 6
; NamedBarCnt: 0
; Occupancy: 16
; WaveLimiterHint : 0
; COMPUTE_PGM_RSRC2:SCRATCH_EN: 0
; COMPUTE_PGM_RSRC2:USER_SGPR: 2
; COMPUTE_PGM_RSRC2:TRAP_HANDLER: 0
; COMPUTE_PGM_RSRC2:TGID_X_EN: 1
; COMPUTE_PGM_RSRC2:TGID_Y_EN: 1
; COMPUTE_PGM_RSRC2:TGID_Z_EN: 1
; COMPUTE_PGM_RSRC2:TIDIG_COMP_CNT: 1
	.section	.text._ZN9rocsolver6v33100L16larf_left_kernelILi1024E19rocblas_complex_numIfEiPS3_EEvT1_S5_T2_lS5_lPKT0_lS6_lS5_l,"axG",@progbits,_ZN9rocsolver6v33100L16larf_left_kernelILi1024E19rocblas_complex_numIfEiPS3_EEvT1_S5_T2_lS5_lPKT0_lS6_lS5_l,comdat
	.globl	_ZN9rocsolver6v33100L16larf_left_kernelILi1024E19rocblas_complex_numIfEiPS3_EEvT1_S5_T2_lS5_lPKT0_lS6_lS5_l ; -- Begin function _ZN9rocsolver6v33100L16larf_left_kernelILi1024E19rocblas_complex_numIfEiPS3_EEvT1_S5_T2_lS5_lPKT0_lS6_lS5_l
	.p2align	8
	.type	_ZN9rocsolver6v33100L16larf_left_kernelILi1024E19rocblas_complex_numIfEiPS3_EEvT1_S5_T2_lS5_lPKT0_lS6_lS5_l,@function
_ZN9rocsolver6v33100L16larf_left_kernelILi1024E19rocblas_complex_numIfEiPS3_EEvT1_S5_T2_lS5_lPKT0_lS6_lS5_l: ; @_ZN9rocsolver6v33100L16larf_left_kernelILi1024E19rocblas_complex_numIfEiPS3_EEvT1_S5_T2_lS5_lPKT0_lS6_lS5_l
; %bb.0:
	s_clause 0x3
	s_load_b96 s[12:14], s[0:1], 0x40
	s_load_b64 s[2:3], s[0:1], 0x50
	s_load_b32 s18, s[0:1], 0x0
	s_load_b256 s[4:11], s[0:1], 0x20
	s_bfe_u32 s15, ttmp6, 0x40010
	s_bfe_u32 s21, ttmp6, 0x40014
	s_and_b32 s19, ttmp7, 0xffff
	s_lshr_b32 s20, ttmp7, 16
	s_add_co_i32 s15, s15, 1
	s_add_co_i32 s21, s21, 1
	v_mov_b32_e32 v3, 0
	s_bfe_u32 s16, ttmp6, 0x40004
	s_bfe_u32 s22, ttmp6, 0x40008
	s_mul_i32 s15, s19, s15
	s_mul_i32 s21, s20, s21
	s_getreg_b32 s23, hwreg(HW_REG_IB_STS2, 6, 4)
	s_add_co_i32 s24, s16, s15
	s_add_co_i32 s22, s22, s21
	s_mov_b32 s17, 0
	v_mov_b32_e32 v2, v3
	s_wait_kmcnt 0x0
	s_ashr_i32 s15, s14, 31
	s_cmp_eq_u32 s23, 0
	v_cmp_gt_i32_e32 vcc_lo, s18, v0
	s_cselect_b32 s16, s20, s22
	s_cselect_b32 s20, s19, s24
	s_mov_b32 s21, s17
	s_mul_u64 s[2:3], s[2:3], s[16:17]
	s_mul_u64 s[14:15], s[14:15], s[20:21]
	s_and_saveexec_b32 s19, vcc_lo
	s_cbranch_execz .LBB77_6
; %bb.1:
	s_clause 0x1
	s_load_b32 s24, s[0:1], 0x18
	s_load_b128 s[20:23], s[0:1], 0x8
	v_dual_mov_b32 v1, 0 :: v_dual_mov_b32 v5, v0
	s_wait_xcnt 0x0
	s_sub_co_i32 s1, 1, s18
	s_mul_u64 s[4:5], s[4:5], s[16:17]
	s_wait_kmcnt 0x0
	s_ashr_i32 s25, s24, 31
	s_mul_i32 s1, s24, s1
	v_mul_u64_e32 v[2:3], s[24:25], v[0:1]
	v_cmp_lt_i64_e64 s0, s[24:25], 1
	v_lshlrev_b32_e32 v1, 3, v0
	s_delay_alu instid0(VALU_DEP_1)
	v_add3_u32 v1, v1, 0, 0x100
	s_and_b32 s0, s0, exec_lo
	s_cselect_b32 s0, s1, 0
	s_lshl_b64 s[22:23], s[22:23], 3
	s_ashr_i32 s1, s0, 31
	s_lshl_b64 s[4:5], s[4:5], 3
	s_lshl_b64 s[0:1], s[0:1], 3
	v_mov_b32_e32 v4, v1
	s_add_nc_u64 s[0:1], s[20:21], s[0:1]
	s_delay_alu instid0(SALU_CYCLE_1) | instskip(NEXT) | instid1(SALU_CYCLE_1)
	s_add_nc_u64 s[0:1], s[0:1], s[22:23]
	s_add_nc_u64 s[0:1], s[0:1], s[4:5]
	s_lshl_b64 s[4:5], s[24:25], 13
	v_lshl_add_u64 v[2:3], v[2:3], 3, s[0:1]
	s_mov_b32 s1, s17
.LBB77_2:                               ; =>This Inner Loop Header: Depth=1
	global_load_b64 v[6:7], v[2:3], off
	v_add_nc_u32_e32 v5, 0x400, v5
	s_wait_xcnt 0x0
	v_add_nc_u64_e32 v[2:3], s[4:5], v[2:3]
	s_delay_alu instid0(VALU_DEP_2)
	v_cmp_le_i32_e64 s0, s18, v5
	s_or_b32 s1, s0, s1
	s_wait_loadcnt 0x0
	ds_store_b64 v4, v[6:7]
	v_add_nc_u32_e32 v4, 0x2000, v4
	s_and_not1_b32 exec_lo, exec_lo, s1
	s_cbranch_execnz .LBB77_2
; %bb.3:
	s_or_b32 exec_lo, exec_lo, s1
	s_lshl_b64 s[0:1], s[2:3], 3
	s_lshl_b64 s[4:5], s[14:15], 3
	v_dual_mov_b32 v3, 0 :: v_dual_lshlrev_b32 v2, 3, v0
	s_add_nc_u64 s[0:1], s[0:1], s[4:5]
	s_lshl_b64 s[4:5], s[12:13], 3
	v_mov_b32_e32 v6, v0
	s_add_nc_u64 s[0:1], s[0:1], s[4:5]
	s_delay_alu instid0(SALU_CYCLE_1) | instskip(NEXT) | instid1(SALU_CYCLE_1)
	s_add_nc_u64 s[0:1], s[10:11], s[0:1]
	v_add_nc_u64_e32 v[4:5], s[0:1], v[2:3]
	v_mov_b32_e32 v2, v3
	s_mov_b32 s1, 0
	s_delay_alu instid0(VALU_DEP_2)
	v_add_nc_u64_e32 v[4:5], 4, v[4:5]
.LBB77_4:                               ; =>This Inner Loop Header: Depth=1
	global_load_b64 v[8:9], v[4:5], off offset:-4
	ds_load_b64 v[10:11], v1
	s_wait_xcnt 0x0
	v_add_nc_u64_e32 v[4:5], 0x2000, v[4:5]
	v_add_nc_u32_e32 v1, 0x2000, v1
	s_wait_loadcnt_dscnt 0x0
	v_pk_mul_f32 v[12:13], v[8:9], v[10:11] op_sel:[1,1] op_sel_hi:[1,0]
	s_delay_alu instid0(VALU_DEP_1) | instskip(SKIP_2) | instid1(VALU_DEP_3)
	v_pk_fma_f32 v[14:15], v[8:9], v[10:11], v[12:13] op_sel_hi:[0,1,1] neg_lo:[0,0,1] neg_hi:[0,0,1]
	v_add_nc_u32_e32 v6, 0x400, v6
	v_pk_fma_f32 v[8:9], v[8:9], v[10:11], v[12:13]
	v_mov_b32_e32 v9, v15
	s_delay_alu instid0(VALU_DEP_3) | instskip(NEXT) | instid1(VALU_DEP_2)
	v_cmp_le_i32_e64 s0, s18, v6
	v_pk_add_f32 v[2:3], v[2:3], v[8:9]
	s_or_b32 s1, s0, s1
	s_delay_alu instid0(SALU_CYCLE_1)
	s_and_not1_b32 exec_lo, exec_lo, s1
	s_cbranch_execnz .LBB77_4
; %bb.5:
	s_or_b32 exec_lo, exec_lo, s1
.LBB77_6:
	s_delay_alu instid0(SALU_CYCLE_1) | instskip(SKIP_2) | instid1(VALU_DEP_1)
	s_or_b32 exec_lo, exec_lo, s19
	v_mbcnt_lo_u32_b32 v1, -1, 0
	s_mov_b32 s1, exec_lo
	v_cmp_ne_u32_e64 s0, 31, v1
	s_delay_alu instid0(VALU_DEP_1) | instskip(SKIP_1) | instid1(VALU_DEP_2)
	v_add_co_ci_u32_e64 v4, null, 0, v1, s0
	v_cmp_gt_u32_e64 s0, 30, v1
	v_lshlrev_b32_e32 v5, 2, v4
	s_delay_alu instid0(VALU_DEP_2)
	v_cndmask_b32_e64 v6, 0, 2, s0
	v_cmp_gt_u32_e64 s0, 28, v1
	ds_bpermute_b32 v4, v5, v2
	ds_bpermute_b32 v5, v5, v3
	v_add_lshl_u32 v6, v6, v1, 2
	s_wait_dscnt 0x0
	v_pk_add_f32 v[2:3], v[2:3], v[4:5]
	ds_bpermute_b32 v4, v6, v2
	ds_bpermute_b32 v5, v6, v3
	v_cndmask_b32_e64 v6, 0, 4, s0
	v_cmp_gt_u32_e64 s0, 24, v1
	s_delay_alu instid0(VALU_DEP_2)
	v_add_lshl_u32 v6, v6, v1, 2
	s_wait_dscnt 0x0
	v_pk_add_f32 v[2:3], v[2:3], v[4:5]
	ds_bpermute_b32 v4, v6, v2
	ds_bpermute_b32 v5, v6, v3
	v_cndmask_b32_e64 v6, 0, 8, s0
	s_delay_alu instid0(VALU_DEP_1)
	v_add_lshl_u32 v6, v6, v1, 2
	v_lshl_or_b32 v1, v1, 2, 64
	s_wait_dscnt 0x0
	v_pk_add_f32 v[2:3], v[2:3], v[4:5]
	ds_bpermute_b32 v4, v6, v2
	ds_bpermute_b32 v5, v6, v3
	s_wait_dscnt 0x0
	v_pk_add_f32 v[2:3], v[2:3], v[4:5]
	ds_bpermute_b32 v4, v1, v2
	ds_bpermute_b32 v5, v1, v3
	v_and_b32_e32 v1, 31, v0
	s_wait_dscnt 0x0
	v_pk_add_f32 v[2:3], v[2:3], v[4:5]
	s_delay_alu instid0(VALU_DEP_2)
	v_cmpx_eq_u32_e32 0, v1
; %bb.7:
	v_lshrrev_b32_e32 v1, 2, v0
	s_delay_alu instid0(VALU_DEP_1)
	v_add_nc_u32_e32 v1, 0, v1
	ds_store_2addr_b32 v1, v2, v3 offset1:1
; %bb.8:
	s_or_b32 exec_lo, exec_lo, s1
	s_delay_alu instid0(SALU_CYCLE_1)
	s_mov_b32 s1, exec_lo
	s_wait_dscnt 0x0
	s_barrier_signal -1
	s_barrier_wait -1
	v_cmpx_eq_u32_e32 0, v0
	s_cbranch_execz .LBB77_10
; %bb.9:
	v_mov_b32_e32 v1, 0
	ds_load_2addr_b64 v[4:7], v1 offset0:1 offset1:2
	ds_load_2addr_b64 v[8:11], v1 offset0:3 offset1:4
	;; [unrolled: 1-line block ×3, first 2 shown]
	s_wait_dscnt 0x2
	v_pk_add_f32 v[2:3], v[2:3], v[4:5]
	s_delay_alu instid0(VALU_DEP_1) | instskip(SKIP_3) | instid1(VALU_DEP_1)
	v_pk_add_f32 v[6:7], v[2:3], v[6:7]
	ds_load_2addr_b64 v[2:5], v1 offset0:7 offset1:8
	s_wait_dscnt 0x2
	v_pk_add_f32 v[6:7], v[6:7], v[8:9]
	v_pk_add_f32 v[10:11], v[6:7], v[10:11]
	ds_load_2addr_b64 v[6:9], v1 offset0:9 offset1:10
	s_wait_dscnt 0x2
	v_pk_add_f32 v[10:11], v[10:11], v[12:13]
	s_delay_alu instid0(VALU_DEP_1) | instskip(SKIP_3) | instid1(VALU_DEP_1)
	v_pk_add_f32 v[14:15], v[10:11], v[14:15]
	ds_load_2addr_b64 v[10:13], v1 offset0:11 offset1:12
	s_wait_dscnt 0x2
	v_pk_add_f32 v[2:3], v[14:15], v[2:3]
	v_pk_add_f32 v[14:15], v[2:3], v[4:5]
	ds_load_2addr_b64 v[2:5], v1 offset0:13 offset1:14
	;; [unrolled: 9-line block ×5, first 2 shown]
	s_wait_dscnt 0x2
	v_pk_add_f32 v[6:7], v[14:15], v[6:7]
	s_delay_alu instid0(VALU_DEP_1) | instskip(SKIP_3) | instid1(VALU_DEP_1)
	v_pk_add_f32 v[14:15], v[6:7], v[8:9]
	ds_load_2addr_b64 v[6:9], v1 offset0:27 offset1:28
	s_wait_dscnt 0x2
	v_pk_add_f32 v[10:11], v[14:15], v[10:11]
	v_pk_add_f32 v[10:11], v[10:11], v[12:13]
	s_wait_dscnt 0x1
	s_delay_alu instid0(VALU_DEP_1)
	v_pk_add_f32 v[2:3], v[10:11], v[2:3]
	ds_load_2addr_b64 v[10:13], v1 offset0:29 offset1:30
	v_pk_add_f32 v[2:3], v[2:3], v[4:5]
	ds_load_b64 v[4:5], v1 offset:248
	s_wait_dscnt 0x2
	v_pk_add_f32 v[2:3], v[2:3], v[6:7]
	s_delay_alu instid0(VALU_DEP_1) | instskip(SKIP_1) | instid1(VALU_DEP_1)
	v_pk_add_f32 v[2:3], v[2:3], v[8:9]
	s_wait_dscnt 0x1
	v_pk_add_f32 v[2:3], v[2:3], v[10:11]
	s_delay_alu instid0(VALU_DEP_1) | instskip(SKIP_1) | instid1(VALU_DEP_1)
	v_pk_add_f32 v[2:3], v[2:3], v[12:13]
	s_wait_dscnt 0x0
	v_pk_add_f32 v[2:3], v[2:3], v[4:5]
	ds_store_b64 v1, v[2:3]
.LBB77_10:
	s_or_b32 exec_lo, exec_lo, s1
	s_wait_dscnt 0x0
	s_barrier_signal -1
	s_barrier_wait -1
	s_and_saveexec_b32 s0, vcc_lo
	s_cbranch_execz .LBB77_20
; %bb.11:
	s_mul_u64 s[0:1], s[8:9], s[16:17]
	s_delay_alu instid0(SALU_CYCLE_1) | instskip(NEXT) | instid1(SALU_CYCLE_1)
	s_lshl_b64 s[0:1], s[0:1], 3
	s_add_nc_u64 s[0:1], s[6:7], s[0:1]
	s_load_b64 s[4:5], s[0:1], 0x0
	v_mov_b32_e32 v7, 0
	s_wait_xcnt 0x0
	s_mov_b32 s1, exec_lo
	ds_load_b64 v[8:9], v7
	s_wait_kmcnt 0x0
	s_xor_b32 s0, s4, 0x80000000
	s_wait_dscnt 0x0
	v_mul_f32_e32 v1, s5, v9
	s_delay_alu instid0(VALU_DEP_1) | instskip(SKIP_2) | instid1(VALU_DEP_3)
	v_xor_b32_e32 v2, 0x80000000, v1
	v_mul_f32_e32 v3, s5, v8
	v_xad_u32 v1, v0, -1, s18
	v_fmac_f32_e32 v2, s0, v8
	s_delay_alu instid0(VALU_DEP_3) | instskip(SKIP_1) | instid1(VALU_DEP_1)
	v_xor_b32_e32 v4, 0x80000000, v3
	s_mov_b32 s0, 0
	v_fmac_f32_e32 v4, s4, v9
	v_cmpx_lt_u32_e32 0x3ff, v1
	s_xor_b32 s4, exec_lo, s1
	s_cbranch_execnz .LBB77_14
; %bb.12:
	s_and_not1_saveexec_b32 s1, s4
	s_cbranch_execnz .LBB77_17
.LBB77_13:
	s_or_b32 exec_lo, exec_lo, s1
	s_delay_alu instid0(SALU_CYCLE_1)
	s_and_b32 exec_lo, exec_lo, s0
	s_cbranch_execnz .LBB77_18
	s_branch .LBB77_20
.LBB77_14:
	v_dual_lshrrev_b32 v1, 10, v1 :: v_dual_mov_b32 v3, v2
	s_lshl_b64 s[0:1], s[2:3], 3
	s_lshl_b64 s[6:7], s[12:13], 3
	s_add_nc_u64 s[0:1], s[10:11], s[0:1]
	s_delay_alu instid0(VALU_DEP_1) | instskip(SKIP_3) | instid1(VALU_DEP_2)
	v_dual_add_nc_u32 v10, 1, v1 :: v_dual_lshlrev_b32 v6, 3, v0
	v_or_b32_e32 v1, 0x400, v0
	s_lshl_b64 s[8:9], s[14:15], 3
	s_add_nc_u64 s[0:1], s[0:1], s[6:7]
	v_and_b32_e32 v11, 0x7ffffe, v10
	v_mov_b32_e32 v5, v4
	v_mov_b64_e32 v[8:9], v[0:1]
	v_add3_u32 v12, v6, 0, 0x100
	s_add_nc_u64 s[0:1], s[0:1], s[8:9]
	v_mov_b32_e32 v13, v11
	s_mov_b32 s5, 0
.LBB77_15:                              ; =>This Inner Loop Header: Depth=1
	s_delay_alu instid0(VALU_DEP_3) | instskip(NEXT) | instid1(VALU_DEP_1)
	v_mov_b32_e32 v6, v8
	v_lshl_add_u64 v[18:19], v[6:7], 3, s[0:1]
	v_dual_mov_b32 v6, v9 :: v_dual_add_nc_u32 v9, 0x800, v9
	s_delay_alu instid0(VALU_DEP_1)
	v_lshl_add_u64 v[20:21], v[6:7], 3, s[0:1]
	s_clause 0x1
	global_load_b64 v[22:23], v[18:19], off
	global_load_b64 v[24:25], v[20:21], off
	ds_load_2addr_stride64_b64 v[14:17], v12 offset1:16
	s_wait_dscnt 0x0
	v_dual_mov_b32 v27, v16 :: v_dual_add_nc_u32 v12, 0x4000, v12
	v_dual_mov_b32 v16, v15 :: v_dual_mov_b32 v26, v14
	s_delay_alu instid0(VALU_DEP_1) | instskip(SKIP_1) | instid1(VALU_DEP_2)
	v_pk_mul_f32 v[14:15], v[4:5], v[16:17]
	v_pk_mul_f32 v[16:17], v[2:3], v[16:17]
	v_pk_fma_f32 v[14:15], v[2:3], v[26:27], v[14:15] neg_lo:[0,0,1] neg_hi:[0,0,1]
	s_delay_alu instid0(VALU_DEP_2) | instskip(SKIP_3) | instid1(VALU_DEP_2)
	v_pk_fma_f32 v[16:17], v[4:5], v[26:27], v[16:17]
	s_wait_loadcnt 0x0
	v_dual_mov_b32 v26, v22 :: v_dual_mov_b32 v27, v24
	v_mov_b32_e32 v24, v23
	v_pk_add_f32 v[14:15], v[26:27], v[14:15]
	v_add_nc_u32_e32 v13, -2, v13
	s_delay_alu instid0(VALU_DEP_3) | instskip(SKIP_1) | instid1(VALU_DEP_4)
	v_pk_add_f32 v[16:17], v[16:17], v[24:25]
	v_add_nc_u32_e32 v8, 0x800, v8
	v_mov_b32_e32 v22, v14
	s_delay_alu instid0(VALU_DEP_4) | instskip(NEXT) | instid1(VALU_DEP_4)
	v_cmp_eq_u32_e32 vcc_lo, 0, v13
	v_dual_mov_b32 v23, v16 :: v_dual_mov_b32 v16, v15
	s_clause 0x1
	global_store_b64 v[18:19], v[22:23], off
	global_store_b64 v[20:21], v[16:17], off
	s_or_b32 s5, vcc_lo, s5
	s_wait_xcnt 0x0
	s_and_not1_b32 exec_lo, exec_lo, s5
	s_cbranch_execnz .LBB77_15
; %bb.16:
	s_or_b32 exec_lo, exec_lo, s5
	v_cmp_ne_u32_e32 vcc_lo, v10, v11
	v_lshl_or_b32 v0, v11, 10, v0
	s_and_b32 s0, vcc_lo, exec_lo
	s_and_not1_saveexec_b32 s1, s4
	s_cbranch_execz .LBB77_13
.LBB77_17:
	s_or_b32 s0, s0, exec_lo
	s_or_b32 exec_lo, exec_lo, s1
	s_delay_alu instid0(SALU_CYCLE_1)
	s_and_b32 exec_lo, exec_lo, s0
	s_cbranch_execz .LBB77_20
.LBB77_18:
	s_lshl_b64 s[0:1], s[2:3], 3
	s_lshl_b64 s[2:3], s[14:15], 3
	v_dual_mov_b32 v5, v4 :: v_dual_lshlrev_b32 v6, 3, v0
	s_add_nc_u64 s[0:1], s[0:1], s[2:3]
	s_lshl_b64 s[2:3], s[12:13], 3
	v_dual_mov_b32 v1, 0 :: v_dual_mov_b32 v3, v2
	s_add_nc_u64 s[0:1], s[0:1], s[2:3]
	v_add3_u32 v8, v6, 0, 0x100
	s_add_nc_u64 s[0:1], s[10:11], s[0:1]
	s_delay_alu instid0(VALU_DEP_2) | instid1(SALU_CYCLE_1)
	v_lshl_add_u64 v[6:7], v[0:1], 3, s[0:1]
	s_mov_b32 s0, 0
.LBB77_19:                              ; =>This Inner Loop Header: Depth=1
	global_load_b64 v[10:11], v[6:7], off
	ds_load_b64 v[12:13], v8
	v_add_nc_u32_e32 v8, 0x2000, v8
	v_add_nc_u32_e32 v0, 0x400, v0
	s_delay_alu instid0(VALU_DEP_1) | instskip(SKIP_3) | instid1(VALU_DEP_1)
	v_cmp_le_i32_e32 vcc_lo, s18, v0
	s_or_b32 s0, vcc_lo, s0
	s_wait_dscnt 0x0
	v_pk_mul_f32 v[14:15], v[4:5], v[12:13] op_sel:[0,1] op_sel_hi:[1,0]
	v_pk_fma_f32 v[16:17], v[2:3], v[12:13], v[14:15]
	v_pk_fma_f32 v[12:13], v[2:3], v[12:13], v[14:15] neg_lo:[0,0,1] neg_hi:[0,0,1]
	s_delay_alu instid0(VALU_DEP_2) | instskip(SKIP_1) | instid1(VALU_DEP_1)
	v_mov_b32_e32 v13, v17
	s_wait_loadcnt 0x0
	v_pk_add_f32 v[10:11], v[10:11], v[12:13]
	global_store_b64 v[6:7], v[10:11], off
	s_wait_xcnt 0x0
	v_add_nc_u64_e32 v[6:7], 0x2000, v[6:7]
	s_and_not1_b32 exec_lo, exec_lo, s0
	s_cbranch_execnz .LBB77_19
.LBB77_20:
	s_endpgm
	.section	.rodata,"a",@progbits
	.p2align	6, 0x0
	.amdhsa_kernel _ZN9rocsolver6v33100L16larf_left_kernelILi1024E19rocblas_complex_numIfEiPS3_EEvT1_S5_T2_lS5_lPKT0_lS6_lS5_l
		.amdhsa_group_segment_fixed_size 0
		.amdhsa_private_segment_fixed_size 0
		.amdhsa_kernarg_size 88
		.amdhsa_user_sgpr_count 2
		.amdhsa_user_sgpr_dispatch_ptr 0
		.amdhsa_user_sgpr_queue_ptr 0
		.amdhsa_user_sgpr_kernarg_segment_ptr 1
		.amdhsa_user_sgpr_dispatch_id 0
		.amdhsa_user_sgpr_kernarg_preload_length 0
		.amdhsa_user_sgpr_kernarg_preload_offset 0
		.amdhsa_user_sgpr_private_segment_size 0
		.amdhsa_wavefront_size32 1
		.amdhsa_uses_dynamic_stack 0
		.amdhsa_enable_private_segment 0
		.amdhsa_system_sgpr_workgroup_id_x 1
		.amdhsa_system_sgpr_workgroup_id_y 1
		.amdhsa_system_sgpr_workgroup_id_z 1
		.amdhsa_system_sgpr_workgroup_info 0
		.amdhsa_system_vgpr_workitem_id 0
		.amdhsa_next_free_vgpr 28
		.amdhsa_next_free_sgpr 26
		.amdhsa_named_barrier_count 0
		.amdhsa_reserve_vcc 1
		.amdhsa_float_round_mode_32 0
		.amdhsa_float_round_mode_16_64 0
		.amdhsa_float_denorm_mode_32 3
		.amdhsa_float_denorm_mode_16_64 3
		.amdhsa_fp16_overflow 0
		.amdhsa_memory_ordered 1
		.amdhsa_forward_progress 1
		.amdhsa_inst_pref_size 18
		.amdhsa_round_robin_scheduling 0
		.amdhsa_exception_fp_ieee_invalid_op 0
		.amdhsa_exception_fp_denorm_src 0
		.amdhsa_exception_fp_ieee_div_zero 0
		.amdhsa_exception_fp_ieee_overflow 0
		.amdhsa_exception_fp_ieee_underflow 0
		.amdhsa_exception_fp_ieee_inexact 0
		.amdhsa_exception_int_div_zero 0
	.end_amdhsa_kernel
	.section	.text._ZN9rocsolver6v33100L16larf_left_kernelILi1024E19rocblas_complex_numIfEiPS3_EEvT1_S5_T2_lS5_lPKT0_lS6_lS5_l,"axG",@progbits,_ZN9rocsolver6v33100L16larf_left_kernelILi1024E19rocblas_complex_numIfEiPS3_EEvT1_S5_T2_lS5_lPKT0_lS6_lS5_l,comdat
.Lfunc_end77:
	.size	_ZN9rocsolver6v33100L16larf_left_kernelILi1024E19rocblas_complex_numIfEiPS3_EEvT1_S5_T2_lS5_lPKT0_lS6_lS5_l, .Lfunc_end77-_ZN9rocsolver6v33100L16larf_left_kernelILi1024E19rocblas_complex_numIfEiPS3_EEvT1_S5_T2_lS5_lPKT0_lS6_lS5_l
                                        ; -- End function
	.set _ZN9rocsolver6v33100L16larf_left_kernelILi1024E19rocblas_complex_numIfEiPS3_EEvT1_S5_T2_lS5_lPKT0_lS6_lS5_l.num_vgpr, 28
	.set _ZN9rocsolver6v33100L16larf_left_kernelILi1024E19rocblas_complex_numIfEiPS3_EEvT1_S5_T2_lS5_lPKT0_lS6_lS5_l.num_agpr, 0
	.set _ZN9rocsolver6v33100L16larf_left_kernelILi1024E19rocblas_complex_numIfEiPS3_EEvT1_S5_T2_lS5_lPKT0_lS6_lS5_l.numbered_sgpr, 26
	.set _ZN9rocsolver6v33100L16larf_left_kernelILi1024E19rocblas_complex_numIfEiPS3_EEvT1_S5_T2_lS5_lPKT0_lS6_lS5_l.num_named_barrier, 0
	.set _ZN9rocsolver6v33100L16larf_left_kernelILi1024E19rocblas_complex_numIfEiPS3_EEvT1_S5_T2_lS5_lPKT0_lS6_lS5_l.private_seg_size, 0
	.set _ZN9rocsolver6v33100L16larf_left_kernelILi1024E19rocblas_complex_numIfEiPS3_EEvT1_S5_T2_lS5_lPKT0_lS6_lS5_l.uses_vcc, 1
	.set _ZN9rocsolver6v33100L16larf_left_kernelILi1024E19rocblas_complex_numIfEiPS3_EEvT1_S5_T2_lS5_lPKT0_lS6_lS5_l.uses_flat_scratch, 0
	.set _ZN9rocsolver6v33100L16larf_left_kernelILi1024E19rocblas_complex_numIfEiPS3_EEvT1_S5_T2_lS5_lPKT0_lS6_lS5_l.has_dyn_sized_stack, 0
	.set _ZN9rocsolver6v33100L16larf_left_kernelILi1024E19rocblas_complex_numIfEiPS3_EEvT1_S5_T2_lS5_lPKT0_lS6_lS5_l.has_recursion, 0
	.set _ZN9rocsolver6v33100L16larf_left_kernelILi1024E19rocblas_complex_numIfEiPS3_EEvT1_S5_T2_lS5_lPKT0_lS6_lS5_l.has_indirect_call, 0
	.section	.AMDGPU.csdata,"",@progbits
; Kernel info:
; codeLenInByte = 2184
; TotalNumSgprs: 28
; NumVgprs: 28
; ScratchSize: 0
; MemoryBound: 0
; FloatMode: 240
; IeeeMode: 1
; LDSByteSize: 0 bytes/workgroup (compile time only)
; SGPRBlocks: 0
; VGPRBlocks: 1
; NumSGPRsForWavesPerEU: 28
; NumVGPRsForWavesPerEU: 28
; NamedBarCnt: 0
; Occupancy: 16
; WaveLimiterHint : 0
; COMPUTE_PGM_RSRC2:SCRATCH_EN: 0
; COMPUTE_PGM_RSRC2:USER_SGPR: 2
; COMPUTE_PGM_RSRC2:TRAP_HANDLER: 0
; COMPUTE_PGM_RSRC2:TGID_X_EN: 1
; COMPUTE_PGM_RSRC2:TGID_Y_EN: 1
; COMPUTE_PGM_RSRC2:TGID_Z_EN: 1
; COMPUTE_PGM_RSRC2:TIDIG_COMP_CNT: 0
	.section	.text._ZN9rocsolver6v33100L17larf_right_kernelILi1024E19rocblas_complex_numIfEiPS3_EEvT1_S5_T2_lS5_lPKT0_lS6_lS5_l,"axG",@progbits,_ZN9rocsolver6v33100L17larf_right_kernelILi1024E19rocblas_complex_numIfEiPS3_EEvT1_S5_T2_lS5_lPKT0_lS6_lS5_l,comdat
	.globl	_ZN9rocsolver6v33100L17larf_right_kernelILi1024E19rocblas_complex_numIfEiPS3_EEvT1_S5_T2_lS5_lPKT0_lS6_lS5_l ; -- Begin function _ZN9rocsolver6v33100L17larf_right_kernelILi1024E19rocblas_complex_numIfEiPS3_EEvT1_S5_T2_lS5_lPKT0_lS6_lS5_l
	.p2align	8
	.type	_ZN9rocsolver6v33100L17larf_right_kernelILi1024E19rocblas_complex_numIfEiPS3_EEvT1_S5_T2_lS5_lPKT0_lS6_lS5_l,@function
_ZN9rocsolver6v33100L17larf_right_kernelILi1024E19rocblas_complex_numIfEiPS3_EEvT1_S5_T2_lS5_lPKT0_lS6_lS5_l: ; @_ZN9rocsolver6v33100L17larf_right_kernelILi1024E19rocblas_complex_numIfEiPS3_EEvT1_S5_T2_lS5_lPKT0_lS6_lS5_l
; %bb.0:
	s_clause 0x3
	s_load_b32 s15, s[0:1], 0x4
	s_load_b96 s[12:14], s[0:1], 0x40
	s_load_b64 s[16:17], s[0:1], 0x50
	s_load_b256 s[4:11], s[0:1], 0x20
	s_bfe_u32 s2, ttmp6, 0x40010
	s_bfe_u32 s21, ttmp6, 0x40014
	s_and_b32 s18, ttmp7, 0xffff
	s_lshr_b32 s20, ttmp7, 16
	s_add_co_i32 s2, s2, 1
	s_add_co_i32 s21, s21, 1
	v_dual_mov_b32 v3, 0 :: v_dual_lshlrev_b32 v6, 3, v0
	s_bfe_u32 s19, ttmp6, 0x40004
	s_bfe_u32 s22, ttmp6, 0x40008
	s_mul_i32 s2, s18, s2
	s_mul_i32 s21, s20, s21
	s_getreg_b32 s23, hwreg(HW_REG_IB_STS2, 6, 4)
	s_add_co_i32 s19, s19, s2
	s_add_co_i32 s22, s22, s21
	s_cmp_eq_u32 s23, 0
	v_mov_b32_e32 v2, v3
	s_wait_kmcnt 0x0
	v_cmp_gt_i32_e32 vcc_lo, s15, v0
	s_mov_b32 s3, 0
	s_cselect_b32 s2, s20, s22
	s_cselect_b32 s18, s18, s19
	s_mul_u64 s[16:17], s[16:17], s[2:3]
	s_and_saveexec_b32 s19, vcc_lo
	s_cbranch_execz .LBB78_6
; %bb.1:
	s_clause 0x1
	s_load_b32 s24, s[0:1], 0x18
	s_load_b128 s[20:23], s[0:1], 0x8
	v_add3_u32 v7, v6, 0, 0x100
	v_mov_b32_e32 v1, 0
	s_wait_xcnt 0x0
	s_sub_co_i32 s1, 1, s15
	s_mul_u64 s[4:5], s[4:5], s[2:3]
	v_dual_mov_b32 v5, v0 :: v_dual_mov_b32 v4, v7
	s_wait_kmcnt 0x0
	s_ashr_i32 s25, s24, 31
	s_mul_i32 s1, s24, s1
	v_mul_u64_e32 v[2:3], s[24:25], v[0:1]
	v_cmp_lt_i64_e64 s0, s[24:25], 1
	s_and_b32 s0, s0, exec_lo
	s_cselect_b32 s0, s1, 0
	s_lshl_b64 s[22:23], s[22:23], 3
	s_ashr_i32 s1, s0, 31
	s_lshl_b64 s[4:5], s[4:5], 3
	s_lshl_b64 s[0:1], s[0:1], 3
	s_delay_alu instid0(SALU_CYCLE_1) | instskip(NEXT) | instid1(SALU_CYCLE_1)
	s_add_nc_u64 s[0:1], s[20:21], s[0:1]
	s_add_nc_u64 s[0:1], s[0:1], s[22:23]
	s_delay_alu instid0(SALU_CYCLE_1)
	s_add_nc_u64 s[0:1], s[0:1], s[4:5]
	s_lshl_b64 s[4:5], s[24:25], 13
	v_lshl_add_u64 v[2:3], v[2:3], 3, s[0:1]
	s_mov_b32 s1, s3
.LBB78_2:                               ; =>This Inner Loop Header: Depth=1
	global_load_b64 v[8:9], v[2:3], off
	v_add_nc_u32_e32 v5, 0x400, v5
	s_wait_xcnt 0x0
	v_add_nc_u64_e32 v[2:3], s[4:5], v[2:3]
	s_delay_alu instid0(VALU_DEP_2)
	v_cmp_le_i32_e64 s0, s15, v5
	s_or_b32 s1, s0, s1
	s_wait_loadcnt 0x0
	ds_store_b64 v4, v[8:9]
	v_add_nc_u32_e32 v4, 0x2000, v4
	s_and_not1_b32 exec_lo, exec_lo, s1
	s_cbranch_execnz .LBB78_2
; %bb.3:
	s_or_b32 exec_lo, exec_lo, s1
	s_ashr_i32 s5, s14, 31
	s_mov_b32 s4, s14
	s_lshl_b32 s0, s18, 3
	v_mul_u64_e32 v[4:5], s[4:5], v[0:1]
	s_mov_b32 s1, 0
	s_lshl_b64 s[22:23], s[12:13], 3
	s_add_nc_u64 s[24:25], s[10:11], s[0:1]
	v_dual_mov_b32 v2, 0 :: v_dual_mov_b32 v1, v0
	s_lshl_b64 s[20:21], s[16:17], 3
	s_add_nc_u64 s[22:23], s[24:25], s[22:23]
	s_lshl_b64 s[4:5], s[4:5], 13
	s_add_nc_u64 s[20:21], s[22:23], s[20:21]
	v_mov_b32_e32 v3, v2
	s_delay_alu instid0(VALU_DEP_3)
	v_lshl_add_u64 v[4:5], v[4:5], 3, s[20:21]
.LBB78_4:                               ; =>This Inner Loop Header: Depth=1
	global_load_b64 v[8:9], v[4:5], off
	ds_load_b64 v[10:11], v7
	v_add_nc_u32_e32 v1, 0x400, v1
	s_wait_xcnt 0x0
	v_add_nc_u64_e32 v[4:5], s[4:5], v[4:5]
	v_add_nc_u32_e32 v7, 0x2000, v7
	s_delay_alu instid0(VALU_DEP_3) | instskip(SKIP_3) | instid1(VALU_DEP_1)
	v_cmp_le_i32_e64 s0, s15, v1
	s_or_b32 s1, s0, s1
	s_wait_loadcnt_dscnt 0x0
	v_pk_mul_f32 v[12:13], v[10:11], v[8:9] op_sel:[1,1] op_sel_hi:[0,1]
	v_pk_fma_f32 v[14:15], v[10:11], v[8:9], v[12:13] op_sel_hi:[1,0,1]
	v_pk_fma_f32 v[8:9], v[10:11], v[8:9], v[12:13] neg_lo:[0,0,1] neg_hi:[0,0,1]
	s_delay_alu instid0(VALU_DEP_2) | instskip(NEXT) | instid1(VALU_DEP_1)
	v_mov_b32_e32 v9, v15
	v_pk_add_f32 v[2:3], v[2:3], v[8:9]
	s_and_not1_b32 exec_lo, exec_lo, s1
	s_cbranch_execnz .LBB78_4
; %bb.5:
	s_or_b32 exec_lo, exec_lo, s1
.LBB78_6:
	s_delay_alu instid0(SALU_CYCLE_1) | instskip(SKIP_2) | instid1(VALU_DEP_1)
	s_or_b32 exec_lo, exec_lo, s19
	v_mbcnt_lo_u32_b32 v1, -1, 0
	s_mov_b32 s1, exec_lo
	v_cmp_ne_u32_e64 s0, 31, v1
	s_delay_alu instid0(VALU_DEP_1) | instskip(SKIP_1) | instid1(VALU_DEP_2)
	v_add_co_ci_u32_e64 v4, null, 0, v1, s0
	v_cmp_gt_u32_e64 s0, 30, v1
	v_lshlrev_b32_e32 v5, 2, v4
	s_delay_alu instid0(VALU_DEP_2)
	v_cndmask_b32_e64 v7, 0, 2, s0
	v_cmp_gt_u32_e64 s0, 28, v1
	ds_bpermute_b32 v4, v5, v2
	ds_bpermute_b32 v5, v5, v3
	v_add_lshl_u32 v7, v7, v1, 2
	s_wait_dscnt 0x0
	v_pk_add_f32 v[2:3], v[2:3], v[4:5]
	ds_bpermute_b32 v4, v7, v2
	ds_bpermute_b32 v5, v7, v3
	v_cndmask_b32_e64 v7, 0, 4, s0
	v_cmp_gt_u32_e64 s0, 24, v1
	s_delay_alu instid0(VALU_DEP_2)
	v_add_lshl_u32 v7, v7, v1, 2
	s_wait_dscnt 0x0
	v_pk_add_f32 v[2:3], v[2:3], v[4:5]
	ds_bpermute_b32 v4, v7, v2
	ds_bpermute_b32 v5, v7, v3
	v_cndmask_b32_e64 v7, 0, 8, s0
	s_delay_alu instid0(VALU_DEP_1)
	v_add_lshl_u32 v7, v7, v1, 2
	v_lshl_or_b32 v1, v1, 2, 64
	s_wait_dscnt 0x0
	v_pk_add_f32 v[2:3], v[2:3], v[4:5]
	ds_bpermute_b32 v4, v7, v2
	ds_bpermute_b32 v5, v7, v3
	s_wait_dscnt 0x0
	v_pk_add_f32 v[2:3], v[2:3], v[4:5]
	ds_bpermute_b32 v4, v1, v2
	ds_bpermute_b32 v5, v1, v3
	v_and_b32_e32 v1, 31, v0
	s_wait_dscnt 0x0
	v_pk_add_f32 v[2:3], v[2:3], v[4:5]
	s_delay_alu instid0(VALU_DEP_2)
	v_cmpx_eq_u32_e32 0, v1
; %bb.7:
	v_lshrrev_b32_e32 v1, 2, v0
	s_delay_alu instid0(VALU_DEP_1)
	v_add_nc_u32_e32 v1, 0, v1
	ds_store_2addr_b32 v1, v2, v3 offset1:1
; %bb.8:
	s_or_b32 exec_lo, exec_lo, s1
	s_delay_alu instid0(SALU_CYCLE_1)
	s_mov_b32 s1, exec_lo
	s_wait_dscnt 0x0
	s_barrier_signal -1
	s_barrier_wait -1
	v_cmpx_eq_u32_e32 0, v0
	s_cbranch_execz .LBB78_10
; %bb.9:
	v_mov_b32_e32 v1, 0
	ds_load_2addr_b64 v[8:11], v1 offset0:1 offset1:2
	ds_load_2addr_b64 v[12:15], v1 offset0:3 offset1:4
	;; [unrolled: 1-line block ×3, first 2 shown]
	s_wait_dscnt 0x2
	v_pk_add_f32 v[2:3], v[2:3], v[8:9]
	s_delay_alu instid0(VALU_DEP_1) | instskip(SKIP_3) | instid1(VALU_DEP_1)
	v_pk_add_f32 v[8:9], v[2:3], v[10:11]
	ds_load_2addr_b64 v[2:5], v1 offset0:7 offset1:8
	s_wait_dscnt 0x2
	v_pk_add_f32 v[8:9], v[8:9], v[12:13]
	v_pk_add_f32 v[12:13], v[8:9], v[14:15]
	ds_load_2addr_b64 v[8:11], v1 offset0:9 offset1:10
	s_wait_dscnt 0x2
	v_pk_add_f32 v[12:13], v[12:13], v[16:17]
	s_delay_alu instid0(VALU_DEP_1) | instskip(SKIP_3) | instid1(VALU_DEP_1)
	v_pk_add_f32 v[16:17], v[12:13], v[18:19]
	ds_load_2addr_b64 v[12:15], v1 offset0:11 offset1:12
	s_wait_dscnt 0x2
	v_pk_add_f32 v[2:3], v[16:17], v[2:3]
	v_pk_add_f32 v[16:17], v[2:3], v[4:5]
	ds_load_2addr_b64 v[2:5], v1 offset0:13 offset1:14
	s_wait_dscnt 0x2
	v_pk_add_f32 v[8:9], v[16:17], v[8:9]
	s_delay_alu instid0(VALU_DEP_1) | instskip(SKIP_3) | instid1(VALU_DEP_1)
	v_pk_add_f32 v[16:17], v[8:9], v[10:11]
	ds_load_2addr_b64 v[8:11], v1 offset0:15 offset1:16
	s_wait_dscnt 0x2
	v_pk_add_f32 v[12:13], v[16:17], v[12:13]
	v_pk_add_f32 v[16:17], v[12:13], v[14:15]
	ds_load_2addr_b64 v[12:15], v1 offset0:17 offset1:18
	s_wait_dscnt 0x2
	v_pk_add_f32 v[2:3], v[16:17], v[2:3]
	s_delay_alu instid0(VALU_DEP_1) | instskip(SKIP_3) | instid1(VALU_DEP_1)
	v_pk_add_f32 v[16:17], v[2:3], v[4:5]
	ds_load_2addr_b64 v[2:5], v1 offset0:19 offset1:20
	s_wait_dscnt 0x2
	v_pk_add_f32 v[8:9], v[16:17], v[8:9]
	v_pk_add_f32 v[16:17], v[8:9], v[10:11]
	ds_load_2addr_b64 v[8:11], v1 offset0:21 offset1:22
	s_wait_dscnt 0x2
	v_pk_add_f32 v[12:13], v[16:17], v[12:13]
	s_delay_alu instid0(VALU_DEP_1) | instskip(SKIP_3) | instid1(VALU_DEP_1)
	v_pk_add_f32 v[16:17], v[12:13], v[14:15]
	ds_load_2addr_b64 v[12:15], v1 offset0:23 offset1:24
	s_wait_dscnt 0x2
	v_pk_add_f32 v[2:3], v[16:17], v[2:3]
	v_pk_add_f32 v[16:17], v[2:3], v[4:5]
	ds_load_2addr_b64 v[2:5], v1 offset0:25 offset1:26
	s_wait_dscnt 0x2
	v_pk_add_f32 v[8:9], v[16:17], v[8:9]
	s_delay_alu instid0(VALU_DEP_1) | instskip(SKIP_3) | instid1(VALU_DEP_1)
	v_pk_add_f32 v[16:17], v[8:9], v[10:11]
	ds_load_2addr_b64 v[8:11], v1 offset0:27 offset1:28
	s_wait_dscnt 0x2
	v_pk_add_f32 v[12:13], v[16:17], v[12:13]
	v_pk_add_f32 v[12:13], v[12:13], v[14:15]
	s_wait_dscnt 0x1
	s_delay_alu instid0(VALU_DEP_1)
	v_pk_add_f32 v[2:3], v[12:13], v[2:3]
	ds_load_2addr_b64 v[12:15], v1 offset0:29 offset1:30
	v_pk_add_f32 v[2:3], v[2:3], v[4:5]
	ds_load_b64 v[4:5], v1 offset:248
	s_wait_dscnt 0x2
	v_pk_add_f32 v[2:3], v[2:3], v[8:9]
	s_delay_alu instid0(VALU_DEP_1) | instskip(SKIP_1) | instid1(VALU_DEP_1)
	v_pk_add_f32 v[2:3], v[2:3], v[10:11]
	s_wait_dscnt 0x1
	v_pk_add_f32 v[2:3], v[2:3], v[12:13]
	s_delay_alu instid0(VALU_DEP_1) | instskip(SKIP_1) | instid1(VALU_DEP_1)
	v_pk_add_f32 v[2:3], v[2:3], v[14:15]
	s_wait_dscnt 0x0
	v_pk_add_f32 v[2:3], v[2:3], v[4:5]
	ds_store_b64 v1, v[2:3]
.LBB78_10:
	s_or_b32 exec_lo, exec_lo, s1
	s_wait_dscnt 0x0
	s_barrier_signal -1
	s_barrier_wait -1
	s_and_saveexec_b32 s0, vcc_lo
	s_cbranch_execz .LBB78_13
; %bb.11:
	s_mul_u64 s[0:1], s[8:9], s[2:3]
	s_ashr_i32 s5, s14, 31
	s_lshl_b64 s[0:1], s[0:1], 3
	s_mov_b32 s4, s14
	s_add_nc_u64 s[0:1], s[6:7], s[0:1]
	s_lshl_b64 s[8:9], s[12:13], 3
	s_load_b64 s[2:3], s[0:1], 0x0
	v_mov_b32_e32 v1, 0
	s_wait_xcnt 0x0
	s_mov_b32 s1, 0
	s_lshl_b32 s0, s18, 3
	s_lshl_b64 s[6:7], s[16:17], 3
	s_add_nc_u64 s[10:11], s[10:11], s[0:1]
	ds_load_b64 v[8:9], v1
	s_wait_kmcnt 0x0
	s_xor_b32 s0, s3, 0x80000000
	s_wait_dscnt 0x0
	v_mul_f32_e32 v3, s2, v9
	v_mul_u64_e32 v[10:11], s[4:5], v[0:1]
	v_mul_f32_e32 v1, s2, v8
	s_delay_alu instid0(VALU_DEP_3) | instskip(NEXT) | instid1(VALU_DEP_2)
	v_xor_b32_e32 v4, 0x80000000, v3
	v_xor_b32_e32 v2, 0x80000000, v1
	v_add3_u32 v1, v6, 0, 0x100
	s_delay_alu instid0(VALU_DEP_2) | instskip(SKIP_1) | instid1(SALU_CYCLE_1)
	v_dual_fmac_f32 v2, s3, v9 :: v_dual_fmac_f32 v4, s0, v8
	s_add_nc_u64 s[2:3], s[10:11], s[8:9]
	s_add_nc_u64 s[2:3], s[2:3], s[6:7]
	s_delay_alu instid0(VALU_DEP_1)
	v_dual_mov_b32 v3, v2 :: v_dual_mov_b32 v5, v4
	v_lshl_add_u64 v[6:7], v[10:11], 3, s[2:3]
	s_lshl_b64 s[2:3], s[4:5], 13
.LBB78_12:                              ; =>This Inner Loop Header: Depth=1
	global_load_b64 v[8:9], v[6:7], off
	ds_load_b64 v[10:11], v1
	v_add_nc_u32_e32 v1, 0x2000, v1
	v_add_nc_u32_e32 v0, 0x400, v0
	s_delay_alu instid0(VALU_DEP_1) | instskip(SKIP_3) | instid1(VALU_DEP_1)
	v_cmp_le_i32_e32 vcc_lo, s15, v0
	s_or_b32 s1, vcc_lo, s1
	s_wait_dscnt 0x0
	v_pk_mul_f32 v[12:13], v[2:3], v[10:11]
	v_pk_fma_f32 v[14:15], v[4:5], v[10:11], v[12:13] op_sel:[0,1,0] op_sel_hi:[1,0,1] neg_lo:[0,0,1] neg_hi:[0,0,1]
	v_pk_fma_f32 v[10:11], v[4:5], v[10:11], v[12:13] op_sel:[0,1,0] op_sel_hi:[1,0,1]
	s_delay_alu instid0(VALU_DEP_2) | instskip(SKIP_1) | instid1(VALU_DEP_1)
	v_mov_b32_e32 v11, v15
	s_wait_loadcnt 0x0
	v_pk_add_f32 v[8:9], v[8:9], v[10:11]
	global_store_b64 v[6:7], v[8:9], off
	s_wait_xcnt 0x0
	v_add_nc_u64_e32 v[6:7], s[2:3], v[6:7]
	s_and_not1_b32 exec_lo, exec_lo, s1
	s_cbranch_execnz .LBB78_12
.LBB78_13:
	s_endpgm
	.section	.rodata,"a",@progbits
	.p2align	6, 0x0
	.amdhsa_kernel _ZN9rocsolver6v33100L17larf_right_kernelILi1024E19rocblas_complex_numIfEiPS3_EEvT1_S5_T2_lS5_lPKT0_lS6_lS5_l
		.amdhsa_group_segment_fixed_size 0
		.amdhsa_private_segment_fixed_size 0
		.amdhsa_kernarg_size 88
		.amdhsa_user_sgpr_count 2
		.amdhsa_user_sgpr_dispatch_ptr 0
		.amdhsa_user_sgpr_queue_ptr 0
		.amdhsa_user_sgpr_kernarg_segment_ptr 1
		.amdhsa_user_sgpr_dispatch_id 0
		.amdhsa_user_sgpr_kernarg_preload_length 0
		.amdhsa_user_sgpr_kernarg_preload_offset 0
		.amdhsa_user_sgpr_private_segment_size 0
		.amdhsa_wavefront_size32 1
		.amdhsa_uses_dynamic_stack 0
		.amdhsa_enable_private_segment 0
		.amdhsa_system_sgpr_workgroup_id_x 1
		.amdhsa_system_sgpr_workgroup_id_y 1
		.amdhsa_system_sgpr_workgroup_id_z 1
		.amdhsa_system_sgpr_workgroup_info 0
		.amdhsa_system_vgpr_workitem_id 0
		.amdhsa_next_free_vgpr 20
		.amdhsa_next_free_sgpr 26
		.amdhsa_named_barrier_count 0
		.amdhsa_reserve_vcc 1
		.amdhsa_float_round_mode_32 0
		.amdhsa_float_round_mode_16_64 0
		.amdhsa_float_denorm_mode_32 3
		.amdhsa_float_denorm_mode_16_64 3
		.amdhsa_fp16_overflow 0
		.amdhsa_memory_ordered 1
		.amdhsa_forward_progress 1
		.amdhsa_inst_pref_size 14
		.amdhsa_round_robin_scheduling 0
		.amdhsa_exception_fp_ieee_invalid_op 0
		.amdhsa_exception_fp_denorm_src 0
		.amdhsa_exception_fp_ieee_div_zero 0
		.amdhsa_exception_fp_ieee_overflow 0
		.amdhsa_exception_fp_ieee_underflow 0
		.amdhsa_exception_fp_ieee_inexact 0
		.amdhsa_exception_int_div_zero 0
	.end_amdhsa_kernel
	.section	.text._ZN9rocsolver6v33100L17larf_right_kernelILi1024E19rocblas_complex_numIfEiPS3_EEvT1_S5_T2_lS5_lPKT0_lS6_lS5_l,"axG",@progbits,_ZN9rocsolver6v33100L17larf_right_kernelILi1024E19rocblas_complex_numIfEiPS3_EEvT1_S5_T2_lS5_lPKT0_lS6_lS5_l,comdat
.Lfunc_end78:
	.size	_ZN9rocsolver6v33100L17larf_right_kernelILi1024E19rocblas_complex_numIfEiPS3_EEvT1_S5_T2_lS5_lPKT0_lS6_lS5_l, .Lfunc_end78-_ZN9rocsolver6v33100L17larf_right_kernelILi1024E19rocblas_complex_numIfEiPS3_EEvT1_S5_T2_lS5_lPKT0_lS6_lS5_l
                                        ; -- End function
	.set _ZN9rocsolver6v33100L17larf_right_kernelILi1024E19rocblas_complex_numIfEiPS3_EEvT1_S5_T2_lS5_lPKT0_lS6_lS5_l.num_vgpr, 20
	.set _ZN9rocsolver6v33100L17larf_right_kernelILi1024E19rocblas_complex_numIfEiPS3_EEvT1_S5_T2_lS5_lPKT0_lS6_lS5_l.num_agpr, 0
	.set _ZN9rocsolver6v33100L17larf_right_kernelILi1024E19rocblas_complex_numIfEiPS3_EEvT1_S5_T2_lS5_lPKT0_lS6_lS5_l.numbered_sgpr, 26
	.set _ZN9rocsolver6v33100L17larf_right_kernelILi1024E19rocblas_complex_numIfEiPS3_EEvT1_S5_T2_lS5_lPKT0_lS6_lS5_l.num_named_barrier, 0
	.set _ZN9rocsolver6v33100L17larf_right_kernelILi1024E19rocblas_complex_numIfEiPS3_EEvT1_S5_T2_lS5_lPKT0_lS6_lS5_l.private_seg_size, 0
	.set _ZN9rocsolver6v33100L17larf_right_kernelILi1024E19rocblas_complex_numIfEiPS3_EEvT1_S5_T2_lS5_lPKT0_lS6_lS5_l.uses_vcc, 1
	.set _ZN9rocsolver6v33100L17larf_right_kernelILi1024E19rocblas_complex_numIfEiPS3_EEvT1_S5_T2_lS5_lPKT0_lS6_lS5_l.uses_flat_scratch, 0
	.set _ZN9rocsolver6v33100L17larf_right_kernelILi1024E19rocblas_complex_numIfEiPS3_EEvT1_S5_T2_lS5_lPKT0_lS6_lS5_l.has_dyn_sized_stack, 0
	.set _ZN9rocsolver6v33100L17larf_right_kernelILi1024E19rocblas_complex_numIfEiPS3_EEvT1_S5_T2_lS5_lPKT0_lS6_lS5_l.has_recursion, 0
	.set _ZN9rocsolver6v33100L17larf_right_kernelILi1024E19rocblas_complex_numIfEiPS3_EEvT1_S5_T2_lS5_lPKT0_lS6_lS5_l.has_indirect_call, 0
	.section	.AMDGPU.csdata,"",@progbits
; Kernel info:
; codeLenInByte = 1712
; TotalNumSgprs: 28
; NumVgprs: 20
; ScratchSize: 0
; MemoryBound: 0
; FloatMode: 240
; IeeeMode: 1
; LDSByteSize: 0 bytes/workgroup (compile time only)
; SGPRBlocks: 0
; VGPRBlocks: 1
; NumSGPRsForWavesPerEU: 28
; NumVGPRsForWavesPerEU: 20
; NamedBarCnt: 0
; Occupancy: 16
; WaveLimiterHint : 0
; COMPUTE_PGM_RSRC2:SCRATCH_EN: 0
; COMPUTE_PGM_RSRC2:USER_SGPR: 2
; COMPUTE_PGM_RSRC2:TRAP_HANDLER: 0
; COMPUTE_PGM_RSRC2:TGID_X_EN: 1
; COMPUTE_PGM_RSRC2:TGID_Y_EN: 1
; COMPUTE_PGM_RSRC2:TGID_Z_EN: 1
; COMPUTE_PGM_RSRC2:TIDIG_COMP_CNT: 0
	.section	.text._ZN9rocsolver6v33100L12restore_diagI19rocblas_complex_numIfEifPS3_EEvPT1_llT2_lT0_lS8_,"axG",@progbits,_ZN9rocsolver6v33100L12restore_diagI19rocblas_complex_numIfEifPS3_EEvPT1_llT2_lT0_lS8_,comdat
	.globl	_ZN9rocsolver6v33100L12restore_diagI19rocblas_complex_numIfEifPS3_EEvPT1_llT2_lT0_lS8_ ; -- Begin function _ZN9rocsolver6v33100L12restore_diagI19rocblas_complex_numIfEifPS3_EEvPT1_llT2_lT0_lS8_
	.p2align	8
	.type	_ZN9rocsolver6v33100L12restore_diagI19rocblas_complex_numIfEifPS3_EEvPT1_llT2_lT0_lS8_,@function
_ZN9rocsolver6v33100L12restore_diagI19rocblas_complex_numIfEifPS3_EEvPT1_llT2_lT0_lS8_: ; @_ZN9rocsolver6v33100L12restore_diagI19rocblas_complex_numIfEifPS3_EEvPT1_llT2_lT0_lS8_
; %bb.0:
	s_clause 0x1
	s_load_u16 s3, s[0:1], 0x4e
	s_load_b32 s4, s[0:1], 0x38
	s_bfe_u32 s2, ttmp6, 0x40010
	s_bfe_u32 s5, ttmp6, 0x40004
	s_add_co_i32 s2, s2, 1
	v_bfe_u32 v0, v0, 10, 10
	s_mul_i32 s2, ttmp7, s2
	s_delay_alu instid0(SALU_CYCLE_1) | instskip(SKIP_1) | instid1(SALU_CYCLE_1)
	s_add_co_i32 s5, s5, s2
	s_getreg_b32 s2, hwreg(HW_REG_IB_STS2, 6, 4)
	s_cmp_eq_u32 s2, 0
	s_cselect_b32 s5, ttmp7, s5
	s_wait_kmcnt 0x0
	v_mad_u32 v0, s5, s3, v0
	s_mov_b32 s3, exec_lo
	s_delay_alu instid0(VALU_DEP_1)
	v_cmpx_gt_i32_e64 s4, v0
	s_cbranch_execz .LBB79_2
; %bb.1:
	s_load_b256 s[4:11], s[0:1], 0x0
	s_bfe_u32 s3, ttmp6, 0x4000c
	s_and_b32 s12, ttmp6, 15
	s_add_co_i32 s3, s3, 1
	v_mov_b32_e32 v3, 0
	s_mul_i32 s3, ttmp9, s3
	s_delay_alu instid0(SALU_CYCLE_1) | instskip(SKIP_2) | instid1(SALU_CYCLE_1)
	s_add_co_i32 s12, s12, s3
	s_cmp_eq_u32 s2, 0
	s_cselect_b32 s2, ttmp9, s12
	s_ashr_i32 s3, s2, 31
	s_wait_kmcnt 0x0
	s_mul_u64 s[8:9], s[8:9], s[2:3]
	s_lshl_b64 s[6:7], s[6:7], 2
	s_lshl_b64 s[8:9], s[8:9], 2
	s_delay_alu instid0(SALU_CYCLE_1) | instskip(NEXT) | instid1(SALU_CYCLE_1)
	s_add_nc_u64 s[4:5], s[4:5], s[8:9]
	s_add_nc_u64 s[4:5], s[4:5], s[6:7]
	global_load_b32 v2, v0, s[4:5] scale_offset
	s_wait_xcnt 0x0
	s_clause 0x1
	s_load_b96 s[4:6], s[0:1], 0x20
	s_load_b64 s[8:9], s[0:1], 0x30
	s_wait_kmcnt 0x0
	v_mad_u32 v0, v0, s6, v0
	s_mul_u64 s[0:1], s[8:9], s[2:3]
	s_lshl_b64 s[2:3], s[4:5], 3
	s_lshl_b64 s[0:1], s[0:1], 3
	s_delay_alu instid0(SALU_CYCLE_1) | instskip(NEXT) | instid1(SALU_CYCLE_1)
	s_add_nc_u64 s[0:1], s[10:11], s[0:1]
	s_add_nc_u64 s[0:1], s[0:1], s[2:3]
	s_wait_loadcnt 0x0
	global_store_b64 v0, v[2:3], s[0:1] scale_offset
.LBB79_2:
	s_endpgm
	.section	.rodata,"a",@progbits
	.p2align	6, 0x0
	.amdhsa_kernel _ZN9rocsolver6v33100L12restore_diagI19rocblas_complex_numIfEifPS3_EEvPT1_llT2_lT0_lS8_
		.amdhsa_group_segment_fixed_size 0
		.amdhsa_private_segment_fixed_size 0
		.amdhsa_kernarg_size 320
		.amdhsa_user_sgpr_count 2
		.amdhsa_user_sgpr_dispatch_ptr 0
		.amdhsa_user_sgpr_queue_ptr 0
		.amdhsa_user_sgpr_kernarg_segment_ptr 1
		.amdhsa_user_sgpr_dispatch_id 0
		.amdhsa_user_sgpr_kernarg_preload_length 0
		.amdhsa_user_sgpr_kernarg_preload_offset 0
		.amdhsa_user_sgpr_private_segment_size 0
		.amdhsa_wavefront_size32 1
		.amdhsa_uses_dynamic_stack 0
		.amdhsa_enable_private_segment 0
		.amdhsa_system_sgpr_workgroup_id_x 1
		.amdhsa_system_sgpr_workgroup_id_y 1
		.amdhsa_system_sgpr_workgroup_id_z 0
		.amdhsa_system_sgpr_workgroup_info 0
		.amdhsa_system_vgpr_workitem_id 1
		.amdhsa_next_free_vgpr 4
		.amdhsa_next_free_sgpr 13
		.amdhsa_named_barrier_count 0
		.amdhsa_reserve_vcc 0
		.amdhsa_float_round_mode_32 0
		.amdhsa_float_round_mode_16_64 0
		.amdhsa_float_denorm_mode_32 3
		.amdhsa_float_denorm_mode_16_64 3
		.amdhsa_fp16_overflow 0
		.amdhsa_memory_ordered 1
		.amdhsa_forward_progress 1
		.amdhsa_inst_pref_size 3
		.amdhsa_round_robin_scheduling 0
		.amdhsa_exception_fp_ieee_invalid_op 0
		.amdhsa_exception_fp_denorm_src 0
		.amdhsa_exception_fp_ieee_div_zero 0
		.amdhsa_exception_fp_ieee_overflow 0
		.amdhsa_exception_fp_ieee_underflow 0
		.amdhsa_exception_fp_ieee_inexact 0
		.amdhsa_exception_int_div_zero 0
	.end_amdhsa_kernel
	.section	.text._ZN9rocsolver6v33100L12restore_diagI19rocblas_complex_numIfEifPS3_EEvPT1_llT2_lT0_lS8_,"axG",@progbits,_ZN9rocsolver6v33100L12restore_diagI19rocblas_complex_numIfEifPS3_EEvPT1_llT2_lT0_lS8_,comdat
.Lfunc_end79:
	.size	_ZN9rocsolver6v33100L12restore_diagI19rocblas_complex_numIfEifPS3_EEvPT1_llT2_lT0_lS8_, .Lfunc_end79-_ZN9rocsolver6v33100L12restore_diagI19rocblas_complex_numIfEifPS3_EEvPT1_llT2_lT0_lS8_
                                        ; -- End function
	.set _ZN9rocsolver6v33100L12restore_diagI19rocblas_complex_numIfEifPS3_EEvPT1_llT2_lT0_lS8_.num_vgpr, 4
	.set _ZN9rocsolver6v33100L12restore_diagI19rocblas_complex_numIfEifPS3_EEvPT1_llT2_lT0_lS8_.num_agpr, 0
	.set _ZN9rocsolver6v33100L12restore_diagI19rocblas_complex_numIfEifPS3_EEvPT1_llT2_lT0_lS8_.numbered_sgpr, 13
	.set _ZN9rocsolver6v33100L12restore_diagI19rocblas_complex_numIfEifPS3_EEvPT1_llT2_lT0_lS8_.num_named_barrier, 0
	.set _ZN9rocsolver6v33100L12restore_diagI19rocblas_complex_numIfEifPS3_EEvPT1_llT2_lT0_lS8_.private_seg_size, 0
	.set _ZN9rocsolver6v33100L12restore_diagI19rocblas_complex_numIfEifPS3_EEvPT1_llT2_lT0_lS8_.uses_vcc, 0
	.set _ZN9rocsolver6v33100L12restore_diagI19rocblas_complex_numIfEifPS3_EEvPT1_llT2_lT0_lS8_.uses_flat_scratch, 0
	.set _ZN9rocsolver6v33100L12restore_diagI19rocblas_complex_numIfEifPS3_EEvPT1_llT2_lT0_lS8_.has_dyn_sized_stack, 0
	.set _ZN9rocsolver6v33100L12restore_diagI19rocblas_complex_numIfEifPS3_EEvPT1_llT2_lT0_lS8_.has_recursion, 0
	.set _ZN9rocsolver6v33100L12restore_diagI19rocblas_complex_numIfEifPS3_EEvPT1_llT2_lT0_lS8_.has_indirect_call, 0
	.section	.AMDGPU.csdata,"",@progbits
; Kernel info:
; codeLenInByte = 276
; TotalNumSgprs: 13
; NumVgprs: 4
; ScratchSize: 0
; MemoryBound: 0
; FloatMode: 240
; IeeeMode: 1
; LDSByteSize: 0 bytes/workgroup (compile time only)
; SGPRBlocks: 0
; VGPRBlocks: 0
; NumSGPRsForWavesPerEU: 13
; NumVGPRsForWavesPerEU: 4
; NamedBarCnt: 0
; Occupancy: 16
; WaveLimiterHint : 0
; COMPUTE_PGM_RSRC2:SCRATCH_EN: 0
; COMPUTE_PGM_RSRC2:USER_SGPR: 2
; COMPUTE_PGM_RSRC2:TRAP_HANDLER: 0
; COMPUTE_PGM_RSRC2:TGID_X_EN: 1
; COMPUTE_PGM_RSRC2:TGID_Y_EN: 1
; COMPUTE_PGM_RSRC2:TGID_Z_EN: 0
; COMPUTE_PGM_RSRC2:TIDIG_COMP_CNT: 1
	.section	.text._ZN9rocsolver6v33100L14set_triangularI19rocblas_complex_numIfEPS3_TnNSt9enable_ifIX18rocblas_is_complexIT_EEiE4typeELi0EEEviiT0_iilPS6_lSA_il15rocblas_direct_15rocblas_storev_b,"axG",@progbits,_ZN9rocsolver6v33100L14set_triangularI19rocblas_complex_numIfEPS3_TnNSt9enable_ifIX18rocblas_is_complexIT_EEiE4typeELi0EEEviiT0_iilPS6_lSA_il15rocblas_direct_15rocblas_storev_b,comdat
	.globl	_ZN9rocsolver6v33100L14set_triangularI19rocblas_complex_numIfEPS3_TnNSt9enable_ifIX18rocblas_is_complexIT_EEiE4typeELi0EEEviiT0_iilPS6_lSA_il15rocblas_direct_15rocblas_storev_b ; -- Begin function _ZN9rocsolver6v33100L14set_triangularI19rocblas_complex_numIfEPS3_TnNSt9enable_ifIX18rocblas_is_complexIT_EEiE4typeELi0EEEviiT0_iilPS6_lSA_il15rocblas_direct_15rocblas_storev_b
	.p2align	8
	.type	_ZN9rocsolver6v33100L14set_triangularI19rocblas_complex_numIfEPS3_TnNSt9enable_ifIX18rocblas_is_complexIT_EEiE4typeELi0EEEviiT0_iilPS6_lSA_il15rocblas_direct_15rocblas_storev_b,@function
_ZN9rocsolver6v33100L14set_triangularI19rocblas_complex_numIfEPS3_TnNSt9enable_ifIX18rocblas_is_complexIT_EEiE4typeELi0EEEviiT0_iilPS6_lSA_il15rocblas_direct_15rocblas_storev_b: ; @_ZN9rocsolver6v33100L14set_triangularI19rocblas_complex_numIfEPS3_TnNSt9enable_ifIX18rocblas_is_complexIT_EEiE4typeELi0EEEviiT0_iilPS6_lSA_il15rocblas_direct_15rocblas_storev_b
; %bb.0:
	s_clause 0x1
	s_load_b32 s2, s[0:1], 0x64
	s_load_b64 s[18:19], s[0:1], 0x0
	s_bfe_u32 s5, ttmp6, 0x40010
	s_bfe_u32 s8, ttmp6, 0x4000c
	s_and_b32 s4, ttmp7, 0xffff
	s_add_co_i32 s5, s5, 1
	s_add_co_i32 s8, s8, 1
	s_bfe_u32 s6, ttmp6, 0x40004
	s_and_b32 s7, ttmp6, 15
	s_mul_i32 s5, s4, s5
	s_mul_i32 s8, ttmp9, s8
	s_getreg_b32 s3, hwreg(HW_REG_IB_STS2, 6, 4)
	v_and_b32_e32 v1, 0x3ff, v0
	v_bfe_u32 v2, v0, 10, 10
	s_add_co_i32 s6, s6, s5
	s_add_co_i32 s7, s7, s8
	s_mov_b32 s21, 0
	s_wait_kmcnt 0x0
	s_lshr_b32 s5, s2, 16
	s_and_b32 s2, s2, 0xffff
	s_cmp_eq_u32 s3, 0
	s_cselect_b32 s7, ttmp9, s7
	s_cselect_b32 s4, s4, s6
	v_mad_u32 v0, s7, s2, v1
	v_mad_u32 v2, s4, s5, v2
	s_mov_b32 s2, exec_lo
	s_delay_alu instid0(VALU_DEP_1) | instskip(NEXT) | instid1(VALU_DEP_1)
	v_max_u32_e32 v1, v0, v2
	v_cmpx_gt_u32_e64 s19, v1
	s_cbranch_execz .LBB80_36
; %bb.1:
	s_clause 0x2
	s_load_b256 s[4:11], s[0:1], 0x18
	s_load_b64 s[12:13], s[0:1], 0x40
	s_load_b32 s2, s[0:1], 0x38
	s_bfe_u32 s14, ttmp6, 0x40014
	s_lshr_b32 s15, ttmp7, 16
	s_add_co_i32 s14, s14, 1
	s_bfe_u32 s16, ttmp6, 0x40008
	s_mul_i32 s14, s15, s14
	s_delay_alu instid0(SALU_CYCLE_1)
	s_add_co_i32 s16, s16, s14
	s_cmp_eq_u32 s3, 0
	s_mov_b32 s3, exec_lo
	s_cselect_b32 s20, s15, s16
	s_wait_kmcnt 0x0
	s_mul_u64 s[8:9], s[8:9], s[20:21]
	s_mul_u64 s[12:13], s[12:13], s[20:21]
	s_lshl_b64 s[8:9], s[8:9], 3
	s_lshl_b64 s[12:13], s[12:13], 3
	s_add_nc_u64 s[16:17], s[6:7], s[8:9]
	s_add_nc_u64 s[6:7], s[10:11], s[12:13]
	v_cmpx_ne_u32_e64 v2, v0
	s_xor_b32 s15, exec_lo, s3
	s_cbranch_execz .LBB80_34
; %bb.2:
	s_clause 0x1
	s_load_b128 s[8:11], s[0:1], 0x8
	s_load_b96 s[12:14], s[0:1], 0x48
	s_wait_xcnt 0x0
	s_mul_u64 s[0:1], s[4:5], s[20:21]
	v_mov_b32_e32 v1, 0
	s_lshl_b64 s[0:1], s[0:1], 3
	s_wait_kmcnt 0x0
	s_ashr_i32 s5, s10, 31
	s_mov_b32 s4, s10
	s_add_nc_u64 s[0:1], s[8:9], s[0:1]
	s_lshl_b64 s[4:5], s[4:5], 3
	s_bitcmp1_b32 s14, 0
	s_add_nc_u64 s[0:1], s[0:1], s[4:5]
	s_cselect_b32 s3, -1, 0
	s_delay_alu instid0(SALU_CYCLE_1)
	s_xor_b32 s4, s3, -1
	s_cmp_lg_u32 s12, 0xab
	s_mov_b32 s3, -1
	s_cbranch_scc0 .LBB80_18
; %bb.3:
	s_mov_b32 s3, exec_lo
	v_cmpx_le_u32_e64 v2, v0
	s_xor_b32 s5, exec_lo, s3
	s_cbranch_execz .LBB80_5
; %bb.4:
	s_ashr_i32 s3, s2, 31
	v_mov_b32_e32 v3, 0
	v_mul_u64_e32 v[4:5], s[2:3], v[0:1]
	v_mov_b64_e32 v[6:7], 0
	s_delay_alu instid0(VALU_DEP_2) | instskip(NEXT) | instid1(VALU_DEP_1)
	v_lshl_add_u64 v[4:5], v[4:5], 3, s[6:7]
	v_lshl_add_u64 v[4:5], v[2:3], 3, v[4:5]
	global_store_b64 v[4:5], v[6:7], off
.LBB80_5:
	s_wait_xcnt 0x0
	s_and_not1_saveexec_b32 s5, s5
	s_cbranch_execz .LBB80_17
; %bb.6:
	v_lshl_add_u64 v[4:5], v[0:1], 3, s[16:17]
	s_cmp_lg_u32 s13, 0xb5
	s_mov_b32 s3, -1
	global_load_b64 v[4:5], v[4:5], off
	s_cbranch_scc0 .LBB80_12
; %bb.7:
	v_mov_b32_e32 v3, 0
	s_and_not1_b32 vcc_lo, exec_lo, s4
	s_delay_alu instid0(VALU_DEP_1)
	v_lshlrev_b64_e32 v[6:7], 3, v[2:3]
	s_cbranch_vccnz .LBB80_9
; %bb.8:
	s_sub_co_i32 s3, s18, s19
	s_ashr_i32 s9, s11, 31
	v_dual_mov_b32 v9, v3 :: v_dual_add_nc_u32 v8, s3, v0
	s_mov_b32 s8, s11
	s_ashr_i32 s3, s2, 31
	s_wait_loadcnt 0x0
	v_mov_b32_e32 v12, v5
	v_mul_u64_e32 v[10:11], s[2:3], v[0:1]
	v_mul_u64_e32 v[8:9], s[8:9], v[8:9]
	s_mov_b32 s3, 0
	s_delay_alu instid0(VALU_DEP_2) | instskip(NEXT) | instid1(VALU_DEP_2)
	v_lshl_add_u64 v[10:11], v[10:11], 3, s[6:7]
	v_lshl_add_u64 v[8:9], v[8:9], 3, s[0:1]
	s_delay_alu instid0(VALU_DEP_2) | instskip(NEXT) | instid1(VALU_DEP_2)
	v_add_nc_u64_e32 v[10:11], v[10:11], v[6:7]
	v_add_nc_u64_e32 v[8:9], v[8:9], v[6:7]
	global_load_b64 v[8:9], v[8:9], off
	s_wait_loadcnt 0x0
	v_pk_mul_f32 v[12:13], v[12:13], v[8:9] op_sel_hi:[0,1] neg_lo:[1,0]
	s_wait_xcnt 0x0
	s_delay_alu instid0(VALU_DEP_1)
	v_pk_fma_f32 v[8:9], v[4:5], v[8:9], v[12:13] op_sel:[0,0,1] op_sel_hi:[0,1,0] neg_lo:[1,0,0] neg_hi:[1,0,0]
	global_store_b64 v[10:11], v[8:9], off
.LBB80_9:
	s_and_not1_b32 vcc_lo, exec_lo, s3
	s_cbranch_vccnz .LBB80_11
; %bb.10:
	s_sub_co_i32 s3, s18, s19
	s_wait_xcnt 0x0
	v_dual_mov_b32 v9, 0 :: v_dual_add_nc_u32 v8, s3, v0
	s_ashr_i32 s3, s2, 31
	s_ashr_i32 s9, s11, 31
	s_mov_b32 s8, s11
	v_mul_u64_e32 v[10:11], s[2:3], v[0:1]
	v_mul_u64_e32 v[8:9], s[8:9], v[8:9]
	s_delay_alu instid0(VALU_DEP_2) | instskip(NEXT) | instid1(VALU_DEP_2)
	v_lshl_add_u64 v[10:11], v[10:11], 3, s[6:7]
	v_lshl_add_u64 v[8:9], v[8:9], 3, s[0:1]
	s_delay_alu instid0(VALU_DEP_2) | instskip(NEXT) | instid1(VALU_DEP_2)
	v_add_nc_u64_e32 v[10:11], v[10:11], v[6:7]
	v_add_nc_u64_e32 v[6:7], v[8:9], v[6:7]
	global_load_b64 v[8:9], v[10:11], off
	global_load_b64 v[12:13], v[6:7], off
	s_wait_loadcnt 0x0
	v_pk_add_f32 v[6:7], v[12:13], v[8:9]
	v_mov_b32_e32 v8, v5
	s_delay_alu instid0(VALU_DEP_2) | instskip(NEXT) | instid1(VALU_DEP_1)
	v_pk_mul_f32 v[12:13], v[4:5], v[6:7] op_sel:[0,1] op_sel_hi:[0,0]
	v_pk_fma_f32 v[6:7], v[8:9], v[6:7], v[12:13] op_sel_hi:[0,1,1] neg_lo:[1,0,1] neg_hi:[0,0,1]
	s_delay_alu instid0(VALU_DEP_1)
	v_dual_mov_b32 v8, v7 :: v_dual_mov_b32 v9, v6
	global_store_b64 v[10:11], v[8:9], off
.LBB80_11:
	s_mov_b32 s3, 0
.LBB80_12:
	s_delay_alu instid0(SALU_CYCLE_1)
	s_and_not1_b32 vcc_lo, exec_lo, s3
	s_cbranch_vccnz .LBB80_17
; %bb.13:
	s_and_not1_b32 vcc_lo, exec_lo, s4
	s_mov_b32 s3, -1
	s_cbranch_vccnz .LBB80_15
; %bb.14:
	s_sub_co_i32 s3, s18, s19
	s_delay_alu instid0(SALU_CYCLE_1) | instskip(SKIP_3) | instid1(VALU_DEP_1)
	v_dual_mov_b32 v7, 0 :: v_dual_add_nc_u32 v6, s3, v0
	s_ashr_i32 s9, s11, 31
	s_mov_b32 s8, s11
	s_wait_loadcnt 0x0
	v_dual_mov_b32 v10, v5 :: v_dual_mov_b32 v3, v7
	s_ashr_i32 s3, s2, 31
	s_delay_alu instid0(VALU_DEP_1) | instskip(NEXT) | instid1(VALU_DEP_1)
	v_mul_u64_e32 v[8:9], s[8:9], v[2:3]
	v_lshl_add_u64 v[8:9], v[8:9], 3, s[0:1]
	s_delay_alu instid0(VALU_DEP_1) | instskip(SKIP_4) | instid1(VALU_DEP_1)
	v_lshl_add_u64 v[6:7], v[6:7], 3, v[8:9]
	v_mul_u64_e32 v[8:9], s[2:3], v[0:1]
	s_mov_b32 s3, 0
	global_load_b64 v[6:7], v[6:7], off
	v_lshl_add_u64 v[8:9], v[8:9], 3, s[6:7]
	v_lshl_add_u64 v[8:9], v[2:3], 3, v[8:9]
	s_wait_loadcnt 0x0
	v_pk_mul_f32 v[10:11], v[10:11], v[6:7] op_sel:[0,1] op_sel_hi:[0,0]
	s_wait_xcnt 0x0
	s_delay_alu instid0(VALU_DEP_1)
	v_pk_fma_f32 v[6:7], v[6:7], v[4:5], v[10:11] op_sel_hi:[1,0,1] neg_lo:[0,1,1] neg_hi:[0,0,1]
	global_store_b64 v[8:9], v[6:7], off
.LBB80_15:
	s_and_not1_b32 vcc_lo, exec_lo, s3
	s_cbranch_vccnz .LBB80_17
; %bb.16:
	s_ashr_i32 s3, s2, 31
	s_ashr_i32 s9, s11, 31
	s_wait_xcnt 0x0
	v_mul_u64_e32 v[6:7], s[2:3], v[0:1]
	s_sub_co_i32 s3, s18, s19
	s_delay_alu instid0(SALU_CYCLE_1)
	v_dual_mov_b32 v3, 0 :: v_dual_add_nc_u32 v10, s3, v0
	s_mov_b32 s8, s11
	s_delay_alu instid0(VALU_DEP_1) | instid1(SALU_CYCLE_1)
	v_mul_u64_e32 v[8:9], s[8:9], v[2:3]
	v_mov_b32_e32 v11, v3
	s_delay_alu instid0(VALU_DEP_4) | instskip(NEXT) | instid1(VALU_DEP_1)
	v_lshl_add_u64 v[6:7], v[6:7], 3, s[6:7]
	v_lshl_add_u64 v[6:7], v[2:3], 3, v[6:7]
	s_delay_alu instid0(VALU_DEP_4) | instskip(NEXT) | instid1(VALU_DEP_1)
	v_lshl_add_u64 v[8:9], v[8:9], 3, s[0:1]
	v_lshl_add_u64 v[8:9], v[10:11], 3, v[8:9]
	global_load_b64 v[10:11], v[6:7], off
	global_load_b64 v[12:13], v[8:9], off
	s_wait_loadcnt 0x0
	v_pk_add_f32 v[8:9], v[12:13], v[10:11] op_sel:[1,1] op_sel_hi:[0,0]
	v_pk_add_f32 v[10:11], v[10:11], v[12:13] op_sel:[1,1] op_sel_hi:[0,0] neg_lo:[0,1] neg_hi:[0,1]
	s_delay_alu instid0(VALU_DEP_2) | instskip(NEXT) | instid1(VALU_DEP_2)
	v_dual_mov_b32 v8, v5 :: v_dual_mov_b32 v12, v9
	v_dual_mov_b32 v13, v10 :: v_dual_mov_b32 v11, v9
	s_delay_alu instid0(VALU_DEP_1) | instskip(NEXT) | instid1(VALU_DEP_1)
	v_pk_mul_f32 v[4:5], v[4:5], v[12:13] op_sel_hi:[0,1]
	v_pk_fma_f32 v[4:5], v[8:9], v[10:11], v[4:5] op_sel_hi:[0,1,1] neg_lo:[0,0,1] neg_hi:[1,0,1]
	global_store_b64 v[6:7], v[4:5], off
.LBB80_17:
	s_wait_xcnt 0x0
	s_or_b32 exec_lo, exec_lo, s5
	s_mov_b32 s3, 0
.LBB80_18:
	s_delay_alu instid0(SALU_CYCLE_1)
	s_and_not1_b32 vcc_lo, exec_lo, s3
	s_cbranch_vccnz .LBB80_34
; %bb.19:
	s_mov_b32 s3, exec_lo
	v_cmpx_ge_u32_e64 v2, v0
	s_xor_b32 s5, exec_lo, s3
	s_cbranch_execz .LBB80_21
; %bb.20:
	s_ashr_i32 s3, s2, 31
	v_mov_b32_e32 v3, 0
	v_mul_u64_e32 v[0:1], s[2:3], v[0:1]
	s_wait_loadcnt 0x0
	v_mov_b64_e32 v[4:5], 0
	s_delay_alu instid0(VALU_DEP_2) | instskip(NEXT) | instid1(VALU_DEP_1)
	v_lshl_add_u64 v[0:1], v[0:1], 3, s[6:7]
	v_lshl_add_u64 v[0:1], v[2:3], 3, v[0:1]
                                        ; implicit-def: $vgpr2
	global_store_b64 v[0:1], v[4:5], off
                                        ; implicit-def: $vgpr0_vgpr1
.LBB80_21:
	s_wait_xcnt 0x0
	s_and_not1_saveexec_b32 s5, s5
	s_cbranch_execz .LBB80_33
; %bb.22:
	s_wait_loadcnt 0x0
	v_lshl_add_u64 v[4:5], v[0:1], 3, s[16:17]
	v_cndmask_b32_e64 v3, 0, 1, s4
	s_cmp_lg_u32 s13, 0xb5
	s_mov_b32 s3, -1
	global_load_b64 v[4:5], v[4:5], off
	v_cmp_ne_u32_e32 vcc_lo, 1, v3
	s_cbranch_scc0 .LBB80_28
; %bb.23:
	v_mov_b32_e32 v3, 0
	s_and_b32 vcc_lo, exec_lo, vcc_lo
	s_delay_alu instid0(VALU_DEP_1)
	v_lshlrev_b64_e32 v[6:7], 3, v[2:3]
	s_cbranch_vccnz .LBB80_25
; %bb.24:
	s_ashr_i32 s9, s11, 31
	s_mov_b32 s8, s11
	s_ashr_i32 s3, s2, 31
	v_mul_u64_e32 v[8:9], s[8:9], v[0:1]
	v_mul_u64_e32 v[10:11], s[2:3], v[0:1]
	s_wait_loadcnt 0x0
	v_mov_b32_e32 v12, v5
	s_mov_b32 s3, 0
	s_delay_alu instid0(VALU_DEP_3) | instskip(NEXT) | instid1(VALU_DEP_3)
	v_lshl_add_u64 v[8:9], v[8:9], 3, s[0:1]
	v_lshl_add_u64 v[10:11], v[10:11], 3, s[6:7]
	s_delay_alu instid0(VALU_DEP_2) | instskip(NEXT) | instid1(VALU_DEP_2)
	v_add_nc_u64_e32 v[8:9], v[8:9], v[6:7]
	v_add_nc_u64_e32 v[10:11], v[10:11], v[6:7]
	global_load_b64 v[8:9], v[8:9], off
	s_wait_loadcnt 0x0
	v_pk_mul_f32 v[12:13], v[12:13], v[8:9] op_sel_hi:[0,1] neg_lo:[1,0]
	s_wait_xcnt 0x0
	s_delay_alu instid0(VALU_DEP_1)
	v_pk_fma_f32 v[8:9], v[4:5], v[8:9], v[12:13] op_sel:[0,0,1] op_sel_hi:[0,1,0] neg_lo:[1,0,0] neg_hi:[1,0,0]
	global_store_b64 v[10:11], v[8:9], off
.LBB80_25:
	s_and_not1_b32 vcc_lo, exec_lo, s3
	s_cbranch_vccnz .LBB80_27
; %bb.26:
	s_ashr_i32 s3, s2, 31
	s_ashr_i32 s9, s11, 31
	s_mov_b32 s8, s11
	s_wait_xcnt 0x0
	v_mul_u64_e32 v[8:9], s[2:3], v[0:1]
	v_mul_u64_e32 v[10:11], s[8:9], v[0:1]
	s_delay_alu instid0(VALU_DEP_2) | instskip(NEXT) | instid1(VALU_DEP_2)
	v_lshl_add_u64 v[8:9], v[8:9], 3, s[6:7]
	v_lshl_add_u64 v[10:11], v[10:11], 3, s[0:1]
	s_delay_alu instid0(VALU_DEP_2) | instskip(NEXT) | instid1(VALU_DEP_2)
	v_add_nc_u64_e32 v[8:9], v[8:9], v[6:7]
	v_add_nc_u64_e32 v[6:7], v[10:11], v[6:7]
	global_load_b64 v[10:11], v[8:9], off
	global_load_b64 v[12:13], v[6:7], off
	s_wait_loadcnt 0x0
	v_pk_add_f32 v[6:7], v[12:13], v[10:11]
	v_mov_b32_e32 v10, v5
	s_delay_alu instid0(VALU_DEP_2) | instskip(NEXT) | instid1(VALU_DEP_1)
	v_pk_mul_f32 v[12:13], v[4:5], v[6:7] op_sel:[0,1] op_sel_hi:[0,0]
	v_pk_fma_f32 v[6:7], v[10:11], v[6:7], v[12:13] op_sel_hi:[0,1,1] neg_lo:[1,0,1] neg_hi:[0,0,1]
	s_delay_alu instid0(VALU_DEP_1)
	v_dual_mov_b32 v10, v7 :: v_dual_mov_b32 v11, v6
	global_store_b64 v[8:9], v[10:11], off
.LBB80_27:
	s_mov_b32 s3, 0
.LBB80_28:
	s_delay_alu instid0(SALU_CYCLE_1)
	s_and_not1_b32 vcc_lo, exec_lo, s3
	s_cbranch_vccnz .LBB80_33
; %bb.29:
	v_mov_b32_e32 v3, 0
	s_and_not1_b32 vcc_lo, exec_lo, s4
	s_mov_b32 s3, -1
	s_cbranch_vccnz .LBB80_31
; %bb.30:
	s_ashr_i32 s9, s11, 31
	s_mov_b32 s8, s11
	s_ashr_i32 s3, s2, 31
	v_mul_u64_e32 v[6:7], s[8:9], v[2:3]
	s_wait_xcnt 0x0
	v_mul_u64_e32 v[8:9], s[2:3], v[0:1]
	s_wait_loadcnt 0x0
	v_mov_b32_e32 v10, v5
	s_mov_b32 s3, 0
	s_delay_alu instid0(VALU_DEP_3) | instskip(NEXT) | instid1(VALU_DEP_3)
	v_lshl_add_u64 v[6:7], v[6:7], 3, s[0:1]
	v_lshl_add_u64 v[8:9], v[8:9], 3, s[6:7]
	s_delay_alu instid0(VALU_DEP_2) | instskip(NEXT) | instid1(VALU_DEP_2)
	v_lshl_add_u64 v[6:7], v[0:1], 3, v[6:7]
	v_lshl_add_u64 v[8:9], v[2:3], 3, v[8:9]
	global_load_b64 v[6:7], v[6:7], off
	s_wait_loadcnt 0x0
	v_pk_mul_f32 v[10:11], v[10:11], v[6:7] op_sel:[0,1] op_sel_hi:[0,0]
	s_wait_xcnt 0x0
	s_delay_alu instid0(VALU_DEP_1)
	v_pk_fma_f32 v[6:7], v[6:7], v[4:5], v[10:11] op_sel_hi:[1,0,1] neg_lo:[0,1,1] neg_hi:[0,0,1]
	global_store_b64 v[8:9], v[6:7], off
.LBB80_31:
	s_and_not1_b32 vcc_lo, exec_lo, s3
	s_cbranch_vccnz .LBB80_33
; %bb.32:
	s_ashr_i32 s3, s2, 31
	s_ashr_i32 s9, s11, 31
	s_mov_b32 s8, s11
	s_wait_xcnt 0x0
	v_mul_u64_e32 v[6:7], s[2:3], v[0:1]
	v_mul_u64_e32 v[8:9], s[8:9], v[2:3]
	s_delay_alu instid0(VALU_DEP_2) | instskip(NEXT) | instid1(VALU_DEP_2)
	v_lshl_add_u64 v[6:7], v[6:7], 3, s[6:7]
	v_lshl_add_u64 v[8:9], v[8:9], 3, s[0:1]
	s_delay_alu instid0(VALU_DEP_2) | instskip(NEXT) | instid1(VALU_DEP_2)
	v_lshl_add_u64 v[2:3], v[2:3], 3, v[6:7]
	v_lshl_add_u64 v[0:1], v[0:1], 3, v[8:9]
	global_load_b64 v[6:7], v[2:3], off
	global_load_b64 v[8:9], v[0:1], off
	s_wait_loadcnt 0x0
	v_pk_add_f32 v[0:1], v[8:9], v[6:7] op_sel:[1,1] op_sel_hi:[0,0]
	v_pk_add_f32 v[6:7], v[6:7], v[8:9] op_sel:[1,1] op_sel_hi:[0,0] neg_lo:[0,1] neg_hi:[0,1]
	s_delay_alu instid0(VALU_DEP_2) | instskip(NEXT) | instid1(VALU_DEP_2)
	v_dual_mov_b32 v0, v5 :: v_dual_mov_b32 v7, v1
	v_dual_mov_b32 v8, v1 :: v_dual_mov_b32 v9, v6
	s_delay_alu instid0(VALU_DEP_1) | instskip(NEXT) | instid1(VALU_DEP_1)
	v_pk_mul_f32 v[4:5], v[4:5], v[8:9] op_sel_hi:[0,1]
	v_pk_fma_f32 v[0:1], v[0:1], v[6:7], v[4:5] op_sel_hi:[0,1,1] neg_lo:[0,0,1] neg_hi:[1,0,1]
	global_store_b64 v[2:3], v[0:1], off
.LBB80_33:
	s_wait_xcnt 0x0
	s_or_b32 exec_lo, exec_lo, s5
                                        ; implicit-def: $vgpr0
.LBB80_34:
	s_and_not1_saveexec_b32 s0, s15
	s_cbranch_execz .LBB80_36
; %bb.35:
	global_load_b64 v[2:3], v0, s[16:17] scale_offset
	v_mov_b32_e32 v1, 0
	s_ashr_i32 s3, s2, 31
	s_wait_loadcnt 0x1
	s_delay_alu instid0(VALU_DEP_1) | instskip(SKIP_2) | instid1(VALU_DEP_2)
	v_mul_u64_e32 v[4:5], s[2:3], v[0:1]
	s_wait_xcnt 0x0
	v_lshlrev_b64_e32 v[0:1], 3, v[0:1]
	v_lshl_add_u64 v[4:5], v[4:5], 3, s[6:7]
	s_delay_alu instid0(VALU_DEP_1)
	v_add_nc_u64_e32 v[0:1], v[4:5], v[0:1]
	s_wait_loadcnt 0x0
	global_store_b64 v[0:1], v[2:3], off
.LBB80_36:
	s_endpgm
	.section	.rodata,"a",@progbits
	.p2align	6, 0x0
	.amdhsa_kernel _ZN9rocsolver6v33100L14set_triangularI19rocblas_complex_numIfEPS3_TnNSt9enable_ifIX18rocblas_is_complexIT_EEiE4typeELi0EEEviiT0_iilPS6_lSA_il15rocblas_direct_15rocblas_storev_b
		.amdhsa_group_segment_fixed_size 0
		.amdhsa_private_segment_fixed_size 0
		.amdhsa_kernarg_size 344
		.amdhsa_user_sgpr_count 2
		.amdhsa_user_sgpr_dispatch_ptr 0
		.amdhsa_user_sgpr_queue_ptr 0
		.amdhsa_user_sgpr_kernarg_segment_ptr 1
		.amdhsa_user_sgpr_dispatch_id 0
		.amdhsa_user_sgpr_kernarg_preload_length 0
		.amdhsa_user_sgpr_kernarg_preload_offset 0
		.amdhsa_user_sgpr_private_segment_size 0
		.amdhsa_wavefront_size32 1
		.amdhsa_uses_dynamic_stack 0
		.amdhsa_enable_private_segment 0
		.amdhsa_system_sgpr_workgroup_id_x 1
		.amdhsa_system_sgpr_workgroup_id_y 1
		.amdhsa_system_sgpr_workgroup_id_z 1
		.amdhsa_system_sgpr_workgroup_info 0
		.amdhsa_system_vgpr_workitem_id 1
		.amdhsa_next_free_vgpr 14
		.amdhsa_next_free_sgpr 22
		.amdhsa_named_barrier_count 0
		.amdhsa_reserve_vcc 1
		.amdhsa_float_round_mode_32 0
		.amdhsa_float_round_mode_16_64 0
		.amdhsa_float_denorm_mode_32 3
		.amdhsa_float_denorm_mode_16_64 3
		.amdhsa_fp16_overflow 0
		.amdhsa_memory_ordered 1
		.amdhsa_forward_progress 1
		.amdhsa_inst_pref_size 16
		.amdhsa_round_robin_scheduling 0
		.amdhsa_exception_fp_ieee_invalid_op 0
		.amdhsa_exception_fp_denorm_src 0
		.amdhsa_exception_fp_ieee_div_zero 0
		.amdhsa_exception_fp_ieee_overflow 0
		.amdhsa_exception_fp_ieee_underflow 0
		.amdhsa_exception_fp_ieee_inexact 0
		.amdhsa_exception_int_div_zero 0
	.end_amdhsa_kernel
	.section	.text._ZN9rocsolver6v33100L14set_triangularI19rocblas_complex_numIfEPS3_TnNSt9enable_ifIX18rocblas_is_complexIT_EEiE4typeELi0EEEviiT0_iilPS6_lSA_il15rocblas_direct_15rocblas_storev_b,"axG",@progbits,_ZN9rocsolver6v33100L14set_triangularI19rocblas_complex_numIfEPS3_TnNSt9enable_ifIX18rocblas_is_complexIT_EEiE4typeELi0EEEviiT0_iilPS6_lSA_il15rocblas_direct_15rocblas_storev_b,comdat
.Lfunc_end80:
	.size	_ZN9rocsolver6v33100L14set_triangularI19rocblas_complex_numIfEPS3_TnNSt9enable_ifIX18rocblas_is_complexIT_EEiE4typeELi0EEEviiT0_iilPS6_lSA_il15rocblas_direct_15rocblas_storev_b, .Lfunc_end80-_ZN9rocsolver6v33100L14set_triangularI19rocblas_complex_numIfEPS3_TnNSt9enable_ifIX18rocblas_is_complexIT_EEiE4typeELi0EEEviiT0_iilPS6_lSA_il15rocblas_direct_15rocblas_storev_b
                                        ; -- End function
	.set _ZN9rocsolver6v33100L14set_triangularI19rocblas_complex_numIfEPS3_TnNSt9enable_ifIX18rocblas_is_complexIT_EEiE4typeELi0EEEviiT0_iilPS6_lSA_il15rocblas_direct_15rocblas_storev_b.num_vgpr, 14
	.set _ZN9rocsolver6v33100L14set_triangularI19rocblas_complex_numIfEPS3_TnNSt9enable_ifIX18rocblas_is_complexIT_EEiE4typeELi0EEEviiT0_iilPS6_lSA_il15rocblas_direct_15rocblas_storev_b.num_agpr, 0
	.set _ZN9rocsolver6v33100L14set_triangularI19rocblas_complex_numIfEPS3_TnNSt9enable_ifIX18rocblas_is_complexIT_EEiE4typeELi0EEEviiT0_iilPS6_lSA_il15rocblas_direct_15rocblas_storev_b.numbered_sgpr, 22
	.set _ZN9rocsolver6v33100L14set_triangularI19rocblas_complex_numIfEPS3_TnNSt9enable_ifIX18rocblas_is_complexIT_EEiE4typeELi0EEEviiT0_iilPS6_lSA_il15rocblas_direct_15rocblas_storev_b.num_named_barrier, 0
	.set _ZN9rocsolver6v33100L14set_triangularI19rocblas_complex_numIfEPS3_TnNSt9enable_ifIX18rocblas_is_complexIT_EEiE4typeELi0EEEviiT0_iilPS6_lSA_il15rocblas_direct_15rocblas_storev_b.private_seg_size, 0
	.set _ZN9rocsolver6v33100L14set_triangularI19rocblas_complex_numIfEPS3_TnNSt9enable_ifIX18rocblas_is_complexIT_EEiE4typeELi0EEEviiT0_iilPS6_lSA_il15rocblas_direct_15rocblas_storev_b.uses_vcc, 1
	.set _ZN9rocsolver6v33100L14set_triangularI19rocblas_complex_numIfEPS3_TnNSt9enable_ifIX18rocblas_is_complexIT_EEiE4typeELi0EEEviiT0_iilPS6_lSA_il15rocblas_direct_15rocblas_storev_b.uses_flat_scratch, 0
	.set _ZN9rocsolver6v33100L14set_triangularI19rocblas_complex_numIfEPS3_TnNSt9enable_ifIX18rocblas_is_complexIT_EEiE4typeELi0EEEviiT0_iilPS6_lSA_il15rocblas_direct_15rocblas_storev_b.has_dyn_sized_stack, 0
	.set _ZN9rocsolver6v33100L14set_triangularI19rocblas_complex_numIfEPS3_TnNSt9enable_ifIX18rocblas_is_complexIT_EEiE4typeELi0EEEviiT0_iilPS6_lSA_il15rocblas_direct_15rocblas_storev_b.has_recursion, 0
	.set _ZN9rocsolver6v33100L14set_triangularI19rocblas_complex_numIfEPS3_TnNSt9enable_ifIX18rocblas_is_complexIT_EEiE4typeELi0EEEviiT0_iilPS6_lSA_il15rocblas_direct_15rocblas_storev_b.has_indirect_call, 0
	.section	.AMDGPU.csdata,"",@progbits
; Kernel info:
; codeLenInByte = 2044
; TotalNumSgprs: 24
; NumVgprs: 14
; ScratchSize: 0
; MemoryBound: 0
; FloatMode: 240
; IeeeMode: 1
; LDSByteSize: 0 bytes/workgroup (compile time only)
; SGPRBlocks: 0
; VGPRBlocks: 0
; NumSGPRsForWavesPerEU: 24
; NumVGPRsForWavesPerEU: 14
; NamedBarCnt: 0
; Occupancy: 16
; WaveLimiterHint : 0
; COMPUTE_PGM_RSRC2:SCRATCH_EN: 0
; COMPUTE_PGM_RSRC2:USER_SGPR: 2
; COMPUTE_PGM_RSRC2:TRAP_HANDLER: 0
; COMPUTE_PGM_RSRC2:TGID_X_EN: 1
; COMPUTE_PGM_RSRC2:TGID_Y_EN: 1
; COMPUTE_PGM_RSRC2:TGID_Z_EN: 1
; COMPUTE_PGM_RSRC2:TIDIG_COMP_CNT: 1
	.section	.text._ZN9rocsolver6v33100L7set_tauI19rocblas_complex_numIfEEEviPT_l,"axG",@progbits,_ZN9rocsolver6v33100L7set_tauI19rocblas_complex_numIfEEEviPT_l,comdat
	.globl	_ZN9rocsolver6v33100L7set_tauI19rocblas_complex_numIfEEEviPT_l ; -- Begin function _ZN9rocsolver6v33100L7set_tauI19rocblas_complex_numIfEEEviPT_l
	.p2align	8
	.type	_ZN9rocsolver6v33100L7set_tauI19rocblas_complex_numIfEEEviPT_l,@function
_ZN9rocsolver6v33100L7set_tauI19rocblas_complex_numIfEEEviPT_l: ; @_ZN9rocsolver6v33100L7set_tauI19rocblas_complex_numIfEEEviPT_l
; %bb.0:
	s_clause 0x1
	s_load_b32 s3, s[0:1], 0x24
	s_load_b32 s4, s[0:1], 0x0
	s_bfe_u32 s2, ttmp6, 0x4000c
	s_and_b32 s5, ttmp6, 15
	s_add_co_i32 s6, s2, 1
	s_getreg_b32 s2, hwreg(HW_REG_IB_STS2, 6, 4)
	s_mul_i32 s6, ttmp9, s6
	s_delay_alu instid0(SALU_CYCLE_1) | instskip(SKIP_4) | instid1(SALU_CYCLE_1)
	s_add_co_i32 s5, s5, s6
	s_wait_kmcnt 0x0
	s_and_b32 s3, s3, 0xffff
	s_cmp_eq_u32 s2, 0
	s_cselect_b32 s5, ttmp9, s5
	v_mad_u32 v0, s5, s3, v0
	s_mov_b32 s3, 0
	s_delay_alu instid0(VALU_DEP_1)
	v_cmp_gt_u32_e32 vcc_lo, s4, v0
	s_and_saveexec_b32 s4, vcc_lo
	s_cbranch_execz .LBB81_2
; %bb.1:
	s_load_b128 s[4:7], s[0:1], 0x8
	s_wait_xcnt 0x0
	s_bfe_u32 s0, ttmp6, 0x40010
	s_bfe_u32 s1, ttmp6, 0x40004
	s_add_co_i32 s0, s0, 1
	s_delay_alu instid0(SALU_CYCLE_1) | instskip(NEXT) | instid1(SALU_CYCLE_1)
	s_mul_i32 s0, ttmp7, s0
	s_add_co_i32 s1, s1, s0
	s_cmp_eq_u32 s2, 0
	s_cselect_b32 s2, ttmp7, s1
	s_wait_kmcnt 0x0
	s_mul_u64 s[0:1], s[6:7], s[2:3]
	s_delay_alu instid0(SALU_CYCLE_1) | instskip(NEXT) | instid1(SALU_CYCLE_1)
	s_lshl_b64 s[0:1], s[0:1], 3
	s_add_nc_u64 s[0:1], s[4:5], s[0:1]
	global_load_b64 v[2:3], v0, s[0:1] scale_offset
	s_wait_loadcnt 0x0
	v_pk_add_f32 v[2:3], v[2:3], 0 neg_lo:[1,1] neg_hi:[1,1]
	global_store_b64 v0, v[2:3], s[0:1] scale_offset
.LBB81_2:
	s_endpgm
	.section	.rodata,"a",@progbits
	.p2align	6, 0x0
	.amdhsa_kernel _ZN9rocsolver6v33100L7set_tauI19rocblas_complex_numIfEEEviPT_l
		.amdhsa_group_segment_fixed_size 0
		.amdhsa_private_segment_fixed_size 0
		.amdhsa_kernarg_size 280
		.amdhsa_user_sgpr_count 2
		.amdhsa_user_sgpr_dispatch_ptr 0
		.amdhsa_user_sgpr_queue_ptr 0
		.amdhsa_user_sgpr_kernarg_segment_ptr 1
		.amdhsa_user_sgpr_dispatch_id 0
		.amdhsa_user_sgpr_kernarg_preload_length 0
		.amdhsa_user_sgpr_kernarg_preload_offset 0
		.amdhsa_user_sgpr_private_segment_size 0
		.amdhsa_wavefront_size32 1
		.amdhsa_uses_dynamic_stack 0
		.amdhsa_enable_private_segment 0
		.amdhsa_system_sgpr_workgroup_id_x 1
		.amdhsa_system_sgpr_workgroup_id_y 1
		.amdhsa_system_sgpr_workgroup_id_z 0
		.amdhsa_system_sgpr_workgroup_info 0
		.amdhsa_system_vgpr_workitem_id 0
		.amdhsa_next_free_vgpr 4
		.amdhsa_next_free_sgpr 8
		.amdhsa_named_barrier_count 0
		.amdhsa_reserve_vcc 1
		.amdhsa_float_round_mode_32 0
		.amdhsa_float_round_mode_16_64 0
		.amdhsa_float_denorm_mode_32 3
		.amdhsa_float_denorm_mode_16_64 3
		.amdhsa_fp16_overflow 0
		.amdhsa_memory_ordered 1
		.amdhsa_forward_progress 1
		.amdhsa_inst_pref_size 2
		.amdhsa_round_robin_scheduling 0
		.amdhsa_exception_fp_ieee_invalid_op 0
		.amdhsa_exception_fp_denorm_src 0
		.amdhsa_exception_fp_ieee_div_zero 0
		.amdhsa_exception_fp_ieee_overflow 0
		.amdhsa_exception_fp_ieee_underflow 0
		.amdhsa_exception_fp_ieee_inexact 0
		.amdhsa_exception_int_div_zero 0
	.end_amdhsa_kernel
	.section	.text._ZN9rocsolver6v33100L7set_tauI19rocblas_complex_numIfEEEviPT_l,"axG",@progbits,_ZN9rocsolver6v33100L7set_tauI19rocblas_complex_numIfEEEviPT_l,comdat
.Lfunc_end81:
	.size	_ZN9rocsolver6v33100L7set_tauI19rocblas_complex_numIfEEEviPT_l, .Lfunc_end81-_ZN9rocsolver6v33100L7set_tauI19rocblas_complex_numIfEEEviPT_l
                                        ; -- End function
	.set _ZN9rocsolver6v33100L7set_tauI19rocblas_complex_numIfEEEviPT_l.num_vgpr, 4
	.set _ZN9rocsolver6v33100L7set_tauI19rocblas_complex_numIfEEEviPT_l.num_agpr, 0
	.set _ZN9rocsolver6v33100L7set_tauI19rocblas_complex_numIfEEEviPT_l.numbered_sgpr, 8
	.set _ZN9rocsolver6v33100L7set_tauI19rocblas_complex_numIfEEEviPT_l.num_named_barrier, 0
	.set _ZN9rocsolver6v33100L7set_tauI19rocblas_complex_numIfEEEviPT_l.private_seg_size, 0
	.set _ZN9rocsolver6v33100L7set_tauI19rocblas_complex_numIfEEEviPT_l.uses_vcc, 1
	.set _ZN9rocsolver6v33100L7set_tauI19rocblas_complex_numIfEEEviPT_l.uses_flat_scratch, 0
	.set _ZN9rocsolver6v33100L7set_tauI19rocblas_complex_numIfEEEviPT_l.has_dyn_sized_stack, 0
	.set _ZN9rocsolver6v33100L7set_tauI19rocblas_complex_numIfEEEviPT_l.has_recursion, 0
	.set _ZN9rocsolver6v33100L7set_tauI19rocblas_complex_numIfEEEviPT_l.has_indirect_call, 0
	.section	.AMDGPU.csdata,"",@progbits
; Kernel info:
; codeLenInByte = 212
; TotalNumSgprs: 10
; NumVgprs: 4
; ScratchSize: 0
; MemoryBound: 0
; FloatMode: 240
; IeeeMode: 1
; LDSByteSize: 0 bytes/workgroup (compile time only)
; SGPRBlocks: 0
; VGPRBlocks: 0
; NumSGPRsForWavesPerEU: 10
; NumVGPRsForWavesPerEU: 4
; NamedBarCnt: 0
; Occupancy: 16
; WaveLimiterHint : 0
; COMPUTE_PGM_RSRC2:SCRATCH_EN: 0
; COMPUTE_PGM_RSRC2:USER_SGPR: 2
; COMPUTE_PGM_RSRC2:TRAP_HANDLER: 0
; COMPUTE_PGM_RSRC2:TGID_X_EN: 1
; COMPUTE_PGM_RSRC2:TGID_Y_EN: 1
; COMPUTE_PGM_RSRC2:TGID_Z_EN: 0
; COMPUTE_PGM_RSRC2:TIDIG_COMP_CNT: 0
	.section	.text._ZN9rocsolver6v33100L20larft_kernel_forwardI19rocblas_complex_numIfEPS3_EEv15rocblas_storev_iiT0_iilPT_lS8_il,"axG",@progbits,_ZN9rocsolver6v33100L20larft_kernel_forwardI19rocblas_complex_numIfEPS3_EEv15rocblas_storev_iiT0_iilPT_lS8_il,comdat
	.globl	_ZN9rocsolver6v33100L20larft_kernel_forwardI19rocblas_complex_numIfEPS3_EEv15rocblas_storev_iiT0_iilPT_lS8_il ; -- Begin function _ZN9rocsolver6v33100L20larft_kernel_forwardI19rocblas_complex_numIfEPS3_EEv15rocblas_storev_iiT0_iilPT_lS8_il
	.p2align	8
	.type	_ZN9rocsolver6v33100L20larft_kernel_forwardI19rocblas_complex_numIfEPS3_EEv15rocblas_storev_iiT0_iilPT_lS8_il,@function
_ZN9rocsolver6v33100L20larft_kernel_forwardI19rocblas_complex_numIfEPS3_EEv15rocblas_storev_iiT0_iilPT_lS8_il: ; @_ZN9rocsolver6v33100L20larft_kernel_forwardI19rocblas_complex_numIfEPS3_EEv15rocblas_storev_iiT0_iilPT_lS8_il
; %bb.0:
	s_clause 0x4
	s_load_b32 s2, s[0:1], 0x5c
	s_load_b32 s3, s[0:1], 0x40
	s_load_b64 s[12:13], s[0:1], 0x48
	s_load_b96 s[16:18], s[0:1], 0x0
	s_load_b256 s[4:11], s[0:1], 0x20
	s_bfe_u32 s14, ttmp6, 0x40010
	s_bfe_u32 s15, ttmp6, 0x40004
	s_add_co_i32 s14, s14, 1
	s_getreg_b32 s20, hwreg(HW_REG_IB_STS2, 6, 4)
	s_mul_i32 s14, ttmp7, s14
	v_lshlrev_b32_e32 v2, 3, v0
	s_add_co_i32 s15, s15, s14
	s_wait_kmcnt 0x0
	s_and_b32 s19, s2, 0xffff
	s_cmp_eq_u32 s20, 0
	v_mad_u32 v1, v0, s3, v0
	s_cselect_b32 s20, ttmp7, s15
	v_cmp_gt_i32_e64 s2, s18, v0
	s_ashr_i32 s21, s20, 31
	s_delay_alu instid0(SALU_CYCLE_1) | instskip(NEXT) | instid1(SALU_CYCLE_1)
	s_mul_u64 s[12:13], s[12:13], s[20:21]
	s_lshl_b64 s[14:15], s[12:13], 3
	s_mov_b32 s12, 0
	s_add_nc_u64 s[10:11], s[10:11], s[14:15]
	s_and_saveexec_b32 s13, s2
	s_cbranch_execz .LBB82_5
; %bb.1:
	v_dual_add_nc_u32 v3, 8, v2 :: v_dual_mov_b32 v5, v0
	s_lshl_b32 s14, s18, 3
	s_add_co_i32 s22, s3, 1
	s_add_co_i32 s15, s14, 8
	s_delay_alu instid0(VALU_DEP_1) | instskip(SKIP_3) | instid1(VALU_DEP_2)
	v_mul_lo_u32 v4, s18, v3
	v_mad_u32 v3, v0, s3, v0
	s_mul_i32 s15, s15, s19
	s_mul_i32 s22, s22, s19
	v_add3_u32 v4, v4, v2, 0
.LBB82_2:                               ; =>This Loop Header: Depth=1
                                        ;     Child Loop BB82_3 Depth 2
	s_delay_alu instid0(VALU_DEP_1)
	v_dual_mov_b32 v6, v3 :: v_dual_mov_b32 v7, v4
	v_mov_b32_e32 v8, v5
	s_mov_b32 s23, 0
.LBB82_3:                               ;   Parent Loop BB82_2 Depth=1
                                        ; =>  This Inner Loop Header: Depth=2
	global_load_b64 v[10:11], v6, s[10:11] scale_offset
	s_wait_xcnt 0x0
	v_dual_add_nc_u32 v8, 1, v8 :: v_dual_add_nc_u32 v6, s3, v6
	s_delay_alu instid0(VALU_DEP_1)
	v_cmp_le_i32_e32 vcc_lo, s18, v8
	s_or_b32 s23, vcc_lo, s23
	s_wait_loadcnt 0x0
	ds_store_b64 v7, v[10:11]
	v_add_nc_u32_e32 v7, s14, v7
	s_and_not1_b32 exec_lo, exec_lo, s23
	s_cbranch_execnz .LBB82_3
; %bb.4:                                ;   in Loop: Header=BB82_2 Depth=1
	s_or_b32 exec_lo, exec_lo, s23
	v_dual_add_nc_u32 v5, s19, v5 :: v_dual_add_nc_u32 v4, s15, v4
	v_add_nc_u32_e32 v3, s22, v3
	s_delay_alu instid0(VALU_DEP_2) | instskip(SKIP_1) | instid1(SALU_CYCLE_1)
	v_cmp_le_i32_e32 vcc_lo, s18, v5
	s_or_b32 s12, vcc_lo, s12
	s_and_not1_b32 exec_lo, exec_lo, s12
	s_cbranch_execnz .LBB82_2
.LBB82_5:
	s_or_b32 exec_lo, exec_lo, s13
	s_cmp_lt_i32 s18, 2
	s_wait_dscnt 0x0
	s_barrier_signal -1
	s_barrier_wait -1
	s_cbranch_scc1 .LBB82_31
; %bb.6:
	s_load_b128 s[12:15], s[0:1], 0x10
	v_dual_mov_b32 v3, 0 :: v_dual_add_nc_u32 v4, 8, v2
	s_wait_xcnt 0x0
	s_mul_u64 s[0:1], s[8:9], s[20:21]
	s_lshl_b32 s33, s18, 3
	s_lshl_b64 s[0:1], s[0:1], 3
	s_mul_u64 s[20:21], s[4:5], s[20:21]
	s_add_co_i32 s39, s33, 0
	s_add_nc_u64 s[4:5], s[6:7], s[0:1]
	v_mul_lo_u32 v6, s18, v4
	v_add_nc_u32_e32 v13, 0, v2
	s_mov_b32 s9, 0
	s_mov_b32 s38, 1
	s_delay_alu instid0(VALU_DEP_2)
	v_add3_u32 v12, v6, v2, 0
	s_wait_kmcnt 0x0
	s_ashr_i32 s1, s14, 31
	s_cmp_lg_u32 s16, 0xb5
	s_mov_b32 s0, s14
	s_cselect_b32 s14, -1, 0
	s_lshl_b64 s[26:27], s[20:21], 3
	s_lshl_b64 s[0:1], s[0:1], 3
	v_add_nc_u64_e32 v[4:5], s[26:27], v[2:3]
	v_mul_lo_u32 v3, v0, s15
	s_add_nc_u64 s[22:23], s[12:13], s[0:1]
	s_add_nc_u64 s[0:1], s[26:27], s[0:1]
	s_mov_b32 s24, s15
	s_ashr_i32 s25, s15, 31
	s_add_nc_u64 s[0:1], s[12:13], s[0:1]
	s_add_co_i32 s41, s33, 8
	s_add_co_i32 s16, s17, -2
	s_lshl_b32 s6, s15, 1
	s_add_nc_u64 s[20:21], s[26:27], 8
	s_lshl_b64 s[24:25], s[24:25], 3
	s_lshl_b32 s8, s19, 3
	s_mul_i32 s40, s15, s19
	s_mov_b64 s[12:13], 0xffffffffffffffec
	s_add_nc_u64 s[26:27], s[0:1], 20
	s_mul_i32 s41, s41, s19
	s_mov_b32 s28, s15
	s_branch .LBB82_8
.LBB82_7:                               ;   in Loop: Header=BB82_8 Depth=1
	s_or_b32 exec_lo, exec_lo, s0
	s_add_co_i32 s38, s38, 1
	s_add_co_i32 s16, s16, -1
	s_add_co_i32 s6, s6, s15
	s_add_co_i32 s28, s28, s15
	s_add_nc_u64 s[20:21], s[20:21], 8
	s_cmp_eq_u32 s38, s18
	s_add_nc_u64 s[26:27], s[26:27], 8
	s_wait_dscnt 0x0
	s_barrier_signal -1
	s_barrier_wait -1
	s_cbranch_scc1 .LBB82_31
.LBB82_8:                               ; =>This Loop Header: Depth=1
                                        ;     Child Loop BB82_13 Depth 2
                                        ;       Child Loop BB82_15 Depth 3
                                        ;     Child Loop BB82_22 Depth 2
                                        ;       Child Loop BB82_24 Depth 3
	;; [unrolled: 2-line block ×3, first 2 shown]
	s_mul_i32 s0, s38, s18
	s_not_b32 s1, s38
	s_lshl_b32 s0, s0, 3
	s_add_co_i32 s43, s17, s1
	s_add_co_i32 s42, s39, s0
	v_cmp_gt_u32_e64 s0, s38, v0
	s_and_b32 vcc_lo, exec_lo, s14
	s_mov_b32 s1, -1
	s_cbranch_vccz .LBB82_17
; %bb.9:                                ;   in Loop: Header=BB82_8 Depth=1
	s_and_saveexec_b32 s29, s0
	s_cbranch_execz .LBB82_16
; %bb.10:                               ;   in Loop: Header=BB82_8 Depth=1
	s_load_b64 s[0:1], s[4:5], s38 offset:0x0 scale_offset
	s_ashr_i32 s7, s6, 31
	v_mov_b64_e32 v[6:7], v[4:5]
	v_mov_b32_e32 v10, v0
	s_lshl_b64 s[30:31], s[6:7], 3
	s_cmp_gt_i32 s43, 0
	s_mov_b32 s44, 0
	s_add_nc_u64 s[30:31], s[22:23], s[30:31]
	s_cselect_b32 s7, -1, 0
	s_wait_kmcnt 0x0
	s_mov_b32 s34, s0
	s_mov_b32 s35, s0
	;; [unrolled: 1-line block ×3, first 2 shown]
	s_branch .LBB82_13
.LBB82_11:                              ;   in Loop: Header=BB82_13 Depth=2
	v_mov_b32_e32 v9, 0
	s_delay_alu instid0(VALU_DEP_1)
	v_mov_b32_e32 v8, v9
.LBB82_12:                              ;   in Loop: Header=BB82_13 Depth=2
	s_delay_alu instid0(VALU_DEP_1) | instskip(SKIP_2) | instid1(VALU_DEP_3)
	v_dual_mov_b32 v14, v9 :: v_dual_lshlrev_b32 v11, 3, v10
	v_mov_b64_e32 v[16:17], s[0:1]
	v_add_nc_u64_e32 v[6:7], s[8:9], v[6:7]
	v_dual_mov_b32 v15, v8 :: v_dual_add_nc_u32 v18, s42, v11
	v_add_nc_u32_e32 v11, 0, v11
	s_delay_alu instid0(VALU_DEP_2) | instskip(SKIP_2) | instid1(VALU_DEP_1)
	v_pk_mul_f32 v[14:15], v[14:15], v[16:17]
	ds_load_b64 v[18:19], v18
	v_mov_b64_e32 v[16:17], s[34:35]
	v_pk_fma_f32 v[20:21], v[8:9], v[16:17], v[14:15]
	v_add_nc_u32_e32 v10, s19, v10
	v_pk_fma_f32 v[8:9], v[8:9], v[16:17], v[14:15] neg_lo:[0,0,1] neg_hi:[0,0,1]
	s_delay_alu instid0(VALU_DEP_3) | instskip(NEXT) | instid1(VALU_DEP_3)
	v_mov_b32_e32 v9, v21
	v_cmp_le_u32_e32 vcc_lo, s38, v10
	s_or_b32 s44, vcc_lo, s44
	s_wait_dscnt 0x0
	s_delay_alu instid0(VALU_DEP_2)
	v_pk_add_f32 v[8:9], v[18:19], v[8:9]
	ds_store_b64 v11, v[8:9]
	s_and_not1_b32 exec_lo, exec_lo, s44
	s_cbranch_execz .LBB82_16
.LBB82_13:                              ;   Parent Loop BB82_8 Depth=1
                                        ; =>  This Loop Header: Depth=2
                                        ;       Child Loop BB82_15 Depth 3
	s_and_not1_b32 vcc_lo, exec_lo, s7
	s_cbranch_vccnz .LBB82_11
; %bb.14:                               ;   in Loop: Header=BB82_13 Depth=2
	v_mov_b32_e32 v8, 0
	s_mov_b32 s45, 0
	s_mov_b64 s[36:37], s[30:31]
	s_delay_alu instid0(VALU_DEP_1)
	v_mov_b32_e32 v9, v8
.LBB82_15:                              ;   Parent Loop BB82_8 Depth=1
                                        ;     Parent Loop BB82_13 Depth=2
                                        ; =>    This Inner Loop Header: Depth=3
	v_add_nc_u64_e32 v[14:15], s[36:37], v[6:7]
	s_add_nc_u64 s[46:47], s[36:37], s[20:21]
	s_add_co_i32 s45, s45, 1
	s_add_nc_u64 s[36:37], s[36:37], s[24:25]
	s_cmp_eq_u32 s16, s45
	s_load_b64 s[48:49], s[46:47], 0x0
	global_load_b64 v[14:15], v[14:15], off
	s_wait_kmcnt 0x0
	v_mov_b64_e32 v[16:17], s[48:49]
	s_wait_loadcnt 0x0
	s_delay_alu instid0(VALU_DEP_1) | instskip(SKIP_2) | instid1(VALU_DEP_2)
	v_pk_mul_f32 v[18:19], v[16:17], v[14:15] op_sel_hi:[1,0]
	v_mov_b32_e32 v20, v15
	s_wait_xcnt 0x0
	v_pk_fma_f32 v[14:15], v[16:17], v[14:15], v[18:19] op_sel:[1,1,0] op_sel_hi:[0,1,1] neg_lo:[0,0,1] neg_hi:[0,0,1]
	s_delay_alu instid0(VALU_DEP_2) | instskip(NEXT) | instid1(VALU_DEP_2)
	v_pk_fma_f32 v[16:17], v[16:17], v[20:21], v[18:19] op_sel:[1,0,0] op_sel_hi:[0,1,1]
	v_mov_b32_e32 v17, v15
	s_delay_alu instid0(VALU_DEP_1)
	v_pk_add_f32 v[8:9], v[8:9], v[16:17]
	s_cbranch_scc0 .LBB82_15
	s_branch .LBB82_12
.LBB82_16:                              ;   in Loop: Header=BB82_8 Depth=1
	s_or_b32 exec_lo, exec_lo, s29
	s_mov_b32 s1, 0
.LBB82_17:                              ;   in Loop: Header=BB82_8 Depth=1
	s_delay_alu instid0(SALU_CYCLE_1)
	s_and_not1_b32 vcc_lo, exec_lo, s1
	s_cbranch_vccnz .LBB82_26
; %bb.18:                               ;   in Loop: Header=BB82_8 Depth=1
	s_mov_b32 s7, exec_lo
	v_cmpx_gt_u32_e64 s38, v0
	s_cbranch_execz .LBB82_25
; %bb.19:                               ;   in Loop: Header=BB82_8 Depth=1
	s_load_b64 s[0:1], s[4:5], s38 offset:0x0 scale_offset
	s_ashr_i32 s29, s28, 31
	v_dual_mov_b32 v6, v3 :: v_dual_mov_b32 v14, v0
	s_lshl_b64 s[30:31], s[28:29], 3
	s_cmp_gt_i32 s43, 0
	s_mov_b32 s44, 0
	s_add_nc_u64 s[30:31], s[30:31], 16
	s_cselect_b32 s29, -1, 0
	s_wait_kmcnt 0x0
	s_mov_b32 s34, s0
	s_mov_b32 s35, s0
	s_mov_b32 s0, s1
	s_branch .LBB82_22
.LBB82_20:                              ;   in Loop: Header=BB82_22 Depth=2
	v_mov_b32_e32 v9, 0
	s_delay_alu instid0(VALU_DEP_1)
	v_mov_b32_e32 v8, v9
.LBB82_21:                              ;   in Loop: Header=BB82_22 Depth=2
	s_delay_alu instid0(VALU_DEP_1) | instskip(SKIP_1) | instid1(VALU_DEP_3)
	v_dual_mov_b32 v10, v9 :: v_dual_lshlrev_b32 v7, 3, v14
	v_mov_b64_e32 v[16:17], s[0:1]
	v_dual_mov_b32 v11, v8 :: v_dual_add_nc_u32 v6, s40, v6
	s_delay_alu instid0(VALU_DEP_3) | instskip(NEXT) | instid1(VALU_DEP_2)
	v_dual_add_nc_u32 v15, s42, v7 :: v_dual_add_nc_u32 v7, 0, v7
	v_pk_mul_f32 v[10:11], v[10:11], v[16:17]
	ds_load_b64 v[18:19], v15
	v_mov_b64_e32 v[16:17], s[34:35]
	s_delay_alu instid0(VALU_DEP_1) | instskip(SKIP_2) | instid1(VALU_DEP_3)
	v_pk_fma_f32 v[20:21], v[8:9], v[16:17], v[10:11]
	v_add_nc_u32_e32 v14, s19, v14
	v_pk_fma_f32 v[8:9], v[8:9], v[16:17], v[10:11] neg_lo:[0,0,1] neg_hi:[0,0,1]
	v_mov_b32_e32 v9, v21
	s_delay_alu instid0(VALU_DEP_3) | instskip(SKIP_2) | instid1(VALU_DEP_2)
	v_cmp_le_u32_e32 vcc_lo, s38, v14
	s_or_b32 s44, vcc_lo, s44
	s_wait_dscnt 0x0
	v_pk_add_f32 v[8:9], v[18:19], v[8:9]
	ds_store_b64 v7, v[8:9]
	s_and_not1_b32 exec_lo, exec_lo, s44
	s_cbranch_execz .LBB82_25
.LBB82_22:                              ;   Parent Loop BB82_8 Depth=1
                                        ; =>  This Loop Header: Depth=2
                                        ;       Child Loop BB82_24 Depth 3
	s_and_not1_b32 vcc_lo, exec_lo, s29
	s_cbranch_vccnz .LBB82_20
; %bb.23:                               ;   in Loop: Header=BB82_22 Depth=2
	v_dual_mov_b32 v8, 0 :: v_dual_ashrrev_i32 v7, 31, v6
	s_mov_b32 s43, 0
	s_mov_b64 s[36:37], s[26:27]
	s_delay_alu instid0(VALU_DEP_1) | instskip(NEXT) | instid1(VALU_DEP_2)
	v_lshlrev_b64_e32 v[10:11], 3, v[6:7]
	v_mov_b32_e32 v9, v8
.LBB82_24:                              ;   Parent Loop BB82_8 Depth=1
                                        ;     Parent Loop BB82_22 Depth=2
                                        ; =>    This Inner Loop Header: Depth=3
	s_delay_alu instid0(VALU_DEP_2)
	v_add_nc_u64_e32 v[16:17], s[36:37], v[10:11]
	s_add_nc_u64 s[46:47], s[36:37], s[30:31]
	s_add_co_i32 s43, s43, 1
	s_add_nc_u64 s[46:47], s[46:47], s[12:13]
	s_cmp_eq_u32 s16, s43
	s_add_nc_u64 s[36:37], s[36:37], 8
	s_load_b64 s[48:49], s[46:47], 0x0
	global_load_b64 v[16:17], v[16:17], off offset:-4
	s_wait_kmcnt 0x0
	v_mov_b64_e32 v[18:19], s[48:49]
	s_wait_loadcnt 0x0
	s_delay_alu instid0(VALU_DEP_1) | instskip(NEXT) | instid1(VALU_DEP_1)
	v_pk_mul_f32 v[20:21], v[16:17], v[18:19] op_sel:[1,1] op_sel_hi:[1,0]
	v_pk_fma_f32 v[22:23], v[16:17], v[18:19], v[20:21] op_sel_hi:[0,1,1] neg_lo:[0,0,1] neg_hi:[0,0,1]
	v_pk_fma_f32 v[16:17], v[16:17], v[18:19], v[20:21]
	s_delay_alu instid0(VALU_DEP_2) | instskip(NEXT) | instid1(VALU_DEP_1)
	v_mov_b32_e32 v17, v23
	v_pk_add_f32 v[8:9], v[8:9], v[16:17]
	s_cbranch_scc0 .LBB82_24
	s_branch .LBB82_21
.LBB82_25:                              ;   in Loop: Header=BB82_8 Depth=1
	s_or_b32 exec_lo, exec_lo, s7
.LBB82_26:                              ;   in Loop: Header=BB82_8 Depth=1
	s_delay_alu instid0(SALU_CYCLE_1)
	s_mov_b32 s0, exec_lo
	s_wait_dscnt 0x0
	s_barrier_signal -1
	s_barrier_wait -1
	v_cmpx_gt_u32_e64 s38, v0
	s_cbranch_execz .LBB82_7
; %bb.27:                               ;   in Loop: Header=BB82_8 Depth=1
	v_dual_mov_b32 v8, v13 :: v_dual_mov_b32 v9, v12
	v_mov_b32_e32 v10, v0
	s_mov_b32 s1, 0
.LBB82_28:                              ;   Parent Loop BB82_8 Depth=1
                                        ; =>  This Loop Header: Depth=2
                                        ;       Child Loop BB82_29 Depth 3
	s_delay_alu instid0(VALU_DEP_2) | instskip(NEXT) | instid1(VALU_DEP_2)
	v_dual_mov_b32 v6, 0 :: v_dual_mov_b32 v11, v8
	v_dual_mov_b32 v14, v9 :: v_dual_mov_b32 v15, v10
	s_mov_b32 s7, 0
	s_delay_alu instid0(VALU_DEP_2)
	v_mov_b32_e32 v7, v6
.LBB82_29:                              ;   Parent Loop BB82_8 Depth=1
                                        ;     Parent Loop BB82_28 Depth=2
                                        ; =>    This Inner Loop Header: Depth=3
	ds_load_b64 v[16:17], v14
	ds_load_b64 v[18:19], v11
	v_dual_add_nc_u32 v14, s33, v14 :: v_dual_add_nc_u32 v11, 8, v11
	s_wait_dscnt 0x0
	v_pk_mul_f32 v[20:21], v[18:19], v[16:17] op_sel:[1,1] op_sel_hi:[0,1]
	s_delay_alu instid0(VALU_DEP_1) | instskip(SKIP_2) | instid1(VALU_DEP_3)
	v_pk_fma_f32 v[22:23], v[18:19], v[16:17], v[20:21] op_sel_hi:[1,0,1]
	v_add_nc_u32_e32 v15, 1, v15
	v_pk_fma_f32 v[16:17], v[18:19], v[16:17], v[20:21] neg_lo:[0,0,1] neg_hi:[0,0,1]
	v_mov_b32_e32 v17, v23
	s_delay_alu instid0(VALU_DEP_3) | instskip(NEXT) | instid1(VALU_DEP_2)
	v_cmp_le_u32_e32 vcc_lo, s38, v15
	v_pk_add_f32 v[6:7], v[6:7], v[16:17]
	s_or_b32 s7, vcc_lo, s7
	s_delay_alu instid0(SALU_CYCLE_1)
	s_and_not1_b32 exec_lo, exec_lo, s7
	s_cbranch_execnz .LBB82_29
; %bb.30:                               ;   in Loop: Header=BB82_28 Depth=2
	s_or_b32 exec_lo, exec_lo, s7
	v_lshl_add_u32 v11, v10, 3, s42
	v_dual_add_nc_u32 v10, s19, v10 :: v_dual_add_nc_u32 v9, s41, v9
	v_add_nc_u32_e32 v8, s8, v8
	ds_store_b64 v11, v[6:7]
	v_cmp_le_u32_e32 vcc_lo, s38, v10
	s_or_b32 s1, vcc_lo, s1
	s_delay_alu instid0(SALU_CYCLE_1)
	s_and_not1_b32 exec_lo, exec_lo, s1
	s_cbranch_execnz .LBB82_28
	s_branch .LBB82_7
.LBB82_31:
	s_and_saveexec_b32 s0, s2
	s_cbranch_execz .LBB82_36
; %bb.32:
	v_add_nc_u32_e32 v3, 8, v2
	s_lshl_b32 s1, s18, 3
	s_add_co_i32 s0, s3, 1
	s_add_co_i32 s4, s1, 8
	s_mul_i32 s0, s0, s19
	v_mul_lo_u32 v3, s18, v3
	s_mov_b32 s2, 0
	s_mul_i32 s4, s4, s19
	s_delay_alu instid0(VALU_DEP_1)
	v_add3_u32 v2, v3, v2, 0
.LBB82_33:                              ; =>This Loop Header: Depth=1
                                        ;     Child Loop BB82_34 Depth 2
	s_delay_alu instid0(VALU_DEP_1)
	v_dual_mov_b32 v3, v2 :: v_dual_mov_b32 v4, v1
	v_mov_b32_e32 v5, v0
	s_mov_b32 s5, 0
.LBB82_34:                              ;   Parent Loop BB82_33 Depth=1
                                        ; =>  This Inner Loop Header: Depth=2
	ds_load_b64 v[6:7], v3
	v_dual_add_nc_u32 v5, 1, v5 :: v_dual_add_nc_u32 v3, s1, v3
	s_delay_alu instid0(VALU_DEP_1)
	v_cmp_le_i32_e32 vcc_lo, s18, v5
	s_or_b32 s5, vcc_lo, s5
	s_wait_dscnt 0x0
	global_store_b64 v4, v[6:7], s[10:11] scale_offset
	s_wait_xcnt 0x0
	v_add_nc_u32_e32 v4, s3, v4
	s_and_not1_b32 exec_lo, exec_lo, s5
	s_cbranch_execnz .LBB82_34
; %bb.35:                               ;   in Loop: Header=BB82_33 Depth=1
	s_or_b32 exec_lo, exec_lo, s5
	v_dual_add_nc_u32 v0, s19, v0 :: v_dual_add_nc_u32 v1, s0, v1
	v_add_nc_u32_e32 v2, s4, v2
	s_delay_alu instid0(VALU_DEP_2) | instskip(SKIP_1) | instid1(SALU_CYCLE_1)
	v_cmp_le_i32_e32 vcc_lo, s18, v0
	s_or_b32 s2, vcc_lo, s2
	s_and_not1_b32 exec_lo, exec_lo, s2
	s_cbranch_execnz .LBB82_33
.LBB82_36:
	s_endpgm
	.section	.rodata,"a",@progbits
	.p2align	6, 0x0
	.amdhsa_kernel _ZN9rocsolver6v33100L20larft_kernel_forwardI19rocblas_complex_numIfEPS3_EEv15rocblas_storev_iiT0_iilPT_lS8_il
		.amdhsa_group_segment_fixed_size 0
		.amdhsa_private_segment_fixed_size 0
		.amdhsa_kernarg_size 336
		.amdhsa_user_sgpr_count 2
		.amdhsa_user_sgpr_dispatch_ptr 0
		.amdhsa_user_sgpr_queue_ptr 0
		.amdhsa_user_sgpr_kernarg_segment_ptr 1
		.amdhsa_user_sgpr_dispatch_id 0
		.amdhsa_user_sgpr_kernarg_preload_length 0
		.amdhsa_user_sgpr_kernarg_preload_offset 0
		.amdhsa_user_sgpr_private_segment_size 0
		.amdhsa_wavefront_size32 1
		.amdhsa_uses_dynamic_stack 0
		.amdhsa_enable_private_segment 0
		.amdhsa_system_sgpr_workgroup_id_x 1
		.amdhsa_system_sgpr_workgroup_id_y 1
		.amdhsa_system_sgpr_workgroup_id_z 0
		.amdhsa_system_sgpr_workgroup_info 0
		.amdhsa_system_vgpr_workitem_id 0
		.amdhsa_next_free_vgpr 24
		.amdhsa_next_free_sgpr 50
		.amdhsa_named_barrier_count 0
		.amdhsa_reserve_vcc 1
		.amdhsa_float_round_mode_32 0
		.amdhsa_float_round_mode_16_64 0
		.amdhsa_float_denorm_mode_32 3
		.amdhsa_float_denorm_mode_16_64 3
		.amdhsa_fp16_overflow 0
		.amdhsa_memory_ordered 1
		.amdhsa_forward_progress 1
		.amdhsa_inst_pref_size 15
		.amdhsa_round_robin_scheduling 0
		.amdhsa_exception_fp_ieee_invalid_op 0
		.amdhsa_exception_fp_denorm_src 0
		.amdhsa_exception_fp_ieee_div_zero 0
		.amdhsa_exception_fp_ieee_overflow 0
		.amdhsa_exception_fp_ieee_underflow 0
		.amdhsa_exception_fp_ieee_inexact 0
		.amdhsa_exception_int_div_zero 0
	.end_amdhsa_kernel
	.section	.text._ZN9rocsolver6v33100L20larft_kernel_forwardI19rocblas_complex_numIfEPS3_EEv15rocblas_storev_iiT0_iilPT_lS8_il,"axG",@progbits,_ZN9rocsolver6v33100L20larft_kernel_forwardI19rocblas_complex_numIfEPS3_EEv15rocblas_storev_iiT0_iilPT_lS8_il,comdat
.Lfunc_end82:
	.size	_ZN9rocsolver6v33100L20larft_kernel_forwardI19rocblas_complex_numIfEPS3_EEv15rocblas_storev_iiT0_iilPT_lS8_il, .Lfunc_end82-_ZN9rocsolver6v33100L20larft_kernel_forwardI19rocblas_complex_numIfEPS3_EEv15rocblas_storev_iiT0_iilPT_lS8_il
                                        ; -- End function
	.set _ZN9rocsolver6v33100L20larft_kernel_forwardI19rocblas_complex_numIfEPS3_EEv15rocblas_storev_iiT0_iilPT_lS8_il.num_vgpr, 24
	.set _ZN9rocsolver6v33100L20larft_kernel_forwardI19rocblas_complex_numIfEPS3_EEv15rocblas_storev_iiT0_iilPT_lS8_il.num_agpr, 0
	.set _ZN9rocsolver6v33100L20larft_kernel_forwardI19rocblas_complex_numIfEPS3_EEv15rocblas_storev_iiT0_iilPT_lS8_il.numbered_sgpr, 50
	.set _ZN9rocsolver6v33100L20larft_kernel_forwardI19rocblas_complex_numIfEPS3_EEv15rocblas_storev_iiT0_iilPT_lS8_il.num_named_barrier, 0
	.set _ZN9rocsolver6v33100L20larft_kernel_forwardI19rocblas_complex_numIfEPS3_EEv15rocblas_storev_iiT0_iilPT_lS8_il.private_seg_size, 0
	.set _ZN9rocsolver6v33100L20larft_kernel_forwardI19rocblas_complex_numIfEPS3_EEv15rocblas_storev_iiT0_iilPT_lS8_il.uses_vcc, 1
	.set _ZN9rocsolver6v33100L20larft_kernel_forwardI19rocblas_complex_numIfEPS3_EEv15rocblas_storev_iiT0_iilPT_lS8_il.uses_flat_scratch, 0
	.set _ZN9rocsolver6v33100L20larft_kernel_forwardI19rocblas_complex_numIfEPS3_EEv15rocblas_storev_iiT0_iilPT_lS8_il.has_dyn_sized_stack, 0
	.set _ZN9rocsolver6v33100L20larft_kernel_forwardI19rocblas_complex_numIfEPS3_EEv15rocblas_storev_iiT0_iilPT_lS8_il.has_recursion, 0
	.set _ZN9rocsolver6v33100L20larft_kernel_forwardI19rocblas_complex_numIfEPS3_EEv15rocblas_storev_iiT0_iilPT_lS8_il.has_indirect_call, 0
	.section	.AMDGPU.csdata,"",@progbits
; Kernel info:
; codeLenInByte = 1800
; TotalNumSgprs: 52
; NumVgprs: 24
; ScratchSize: 0
; MemoryBound: 0
; FloatMode: 240
; IeeeMode: 1
; LDSByteSize: 0 bytes/workgroup (compile time only)
; SGPRBlocks: 0
; VGPRBlocks: 1
; NumSGPRsForWavesPerEU: 52
; NumVGPRsForWavesPerEU: 24
; NamedBarCnt: 0
; Occupancy: 16
; WaveLimiterHint : 0
; COMPUTE_PGM_RSRC2:SCRATCH_EN: 0
; COMPUTE_PGM_RSRC2:USER_SGPR: 2
; COMPUTE_PGM_RSRC2:TRAP_HANDLER: 0
; COMPUTE_PGM_RSRC2:TGID_X_EN: 1
; COMPUTE_PGM_RSRC2:TGID_Y_EN: 1
; COMPUTE_PGM_RSRC2:TGID_Z_EN: 0
; COMPUTE_PGM_RSRC2:TIDIG_COMP_CNT: 0
	.section	.text._ZN9rocsolver6v33100L21larft_kernel_backwardI19rocblas_complex_numIfEPS3_EEv15rocblas_storev_iiT0_iilPT_lS8_il,"axG",@progbits,_ZN9rocsolver6v33100L21larft_kernel_backwardI19rocblas_complex_numIfEPS3_EEv15rocblas_storev_iiT0_iilPT_lS8_il,comdat
	.globl	_ZN9rocsolver6v33100L21larft_kernel_backwardI19rocblas_complex_numIfEPS3_EEv15rocblas_storev_iiT0_iilPT_lS8_il ; -- Begin function _ZN9rocsolver6v33100L21larft_kernel_backwardI19rocblas_complex_numIfEPS3_EEv15rocblas_storev_iiT0_iilPT_lS8_il
	.p2align	8
	.type	_ZN9rocsolver6v33100L21larft_kernel_backwardI19rocblas_complex_numIfEPS3_EEv15rocblas_storev_iiT0_iilPT_lS8_il,@function
_ZN9rocsolver6v33100L21larft_kernel_backwardI19rocblas_complex_numIfEPS3_EEv15rocblas_storev_iiT0_iilPT_lS8_il: ; @_ZN9rocsolver6v33100L21larft_kernel_backwardI19rocblas_complex_numIfEPS3_EEv15rocblas_storev_iiT0_iilPT_lS8_il
; %bb.0:
	s_clause 0x4
	s_load_b32 s2, s[0:1], 0x5c
	s_load_b96 s[16:18], s[0:1], 0x0
	s_load_b64 s[12:13], s[0:1], 0x48
	s_load_b256 s[4:11], s[0:1], 0x20
	s_load_b32 s3, s[0:1], 0x40
	s_bfe_u32 s14, ttmp6, 0x40010
	s_bfe_u32 s15, ttmp6, 0x40004
	s_add_co_i32 s14, s14, 1
	s_getreg_b32 s20, hwreg(HW_REG_IB_STS2, 6, 4)
	s_mul_i32 s14, ttmp7, s14
	v_dual_add_nc_u32 v1, 1, v0 :: v_dual_lshlrev_b32 v2, 3, v0
	s_add_co_i32 s15, s15, s14
	s_wait_kmcnt 0x0
	s_and_b32 s19, s2, 0xffff
	s_cmp_eq_u32 s20, 0
	v_cmp_gt_i32_e64 s2, s18, v0
	s_cselect_b32 s20, ttmp7, s15
	s_delay_alu instid0(SALU_CYCLE_1) | instskip(NEXT) | instid1(SALU_CYCLE_1)
	s_ashr_i32 s21, s20, 31
	s_mul_u64 s[12:13], s[12:13], s[20:21]
	s_delay_alu instid0(SALU_CYCLE_1)
	s_lshl_b64 s[14:15], s[12:13], 3
	s_mov_b32 s12, 0
	s_add_nc_u64 s[10:11], s[10:11], s[14:15]
	s_and_saveexec_b32 s13, s2
	s_cbranch_execz .LBB83_5
; %bb.1:
	s_lshl_b32 s14, s18, 3
	v_dual_add_nc_u32 v3, 1, v0 :: v_dual_mov_b32 v5, v0
	v_add3_u32 v4, 0, s14, v2
	s_lshl_b32 s15, s19, 3
.LBB83_2:                               ; =>This Loop Header: Depth=1
                                        ;     Child Loop BB83_3 Depth 2
	s_delay_alu instid0(VALU_DEP_1)
	v_dual_mov_b32 v6, v5 :: v_dual_mov_b32 v7, v4
	s_mov_b32 s22, 0
	s_mov_b32 s23, 0
.LBB83_3:                               ;   Parent Loop BB83_2 Depth=1
                                        ; =>  This Inner Loop Header: Depth=2
	global_load_b64 v[8:9], v6, s[10:11] scale_offset
	s_add_co_i32 s23, s23, 1
	s_wait_xcnt 0x0
	v_add_nc_u32_e32 v6, s3, v6
	v_cmp_eq_u32_e32 vcc_lo, s23, v3
	s_or_b32 s22, vcc_lo, s22
	s_wait_loadcnt 0x0
	ds_store_b64 v7, v[8:9]
	v_add_nc_u32_e32 v7, s14, v7
	s_and_not1_b32 exec_lo, exec_lo, s22
	s_cbranch_execnz .LBB83_3
; %bb.4:                                ;   in Loop: Header=BB83_2 Depth=1
	s_or_b32 exec_lo, exec_lo, s22
	v_dual_add_nc_u32 v5, s19, v5 :: v_dual_add_nc_u32 v3, s19, v3
	v_add_nc_u32_e32 v4, s15, v4
	s_delay_alu instid0(VALU_DEP_2) | instskip(SKIP_1) | instid1(SALU_CYCLE_1)
	v_cmp_le_i32_e32 vcc_lo, s18, v5
	s_or_b32 s12, vcc_lo, s12
	s_and_not1_b32 exec_lo, exec_lo, s12
	s_cbranch_execnz .LBB83_2
.LBB83_5:
	s_or_b32 exec_lo, exec_lo, s13
	s_cmp_lt_i32 s18, 2
	s_wait_dscnt 0x0
	s_barrier_signal -1
	s_barrier_wait -1
	s_cbranch_scc1 .LBB83_31
; %bb.6:
	s_load_b128 s[12:15], s[0:1], 0x10
	s_wait_xcnt 0x0
	s_mul_u64 s[0:1], s[8:9], s[20:21]
	s_lshl_b32 s33, s18, 3
	s_lshl_b64 s[0:1], s[0:1], 3
	s_add_co_i32 s8, s18, -2
	s_sub_co_i32 s38, s17, s18
	s_add_co_i32 s39, s33, 0
	s_add_nc_u64 s[6:7], s[6:7], s[0:1]
	s_mov_b32 s9, 0
	s_mul_u64 s[22:23], s[4:5], s[20:21]
	v_mov_b32_e32 v3, 0
	s_mov_b32 s5, s9
	s_wait_kmcnt 0x0
	s_ashr_i32 s1, s14, 31
	s_mov_b32 s0, s14
	s_cmp_lg_u32 s16, 0xb5
	v_mul_lo_u32 v12, v0, s15
	s_cselect_b32 s14, -1, 0
	s_add_co_i32 s40, s17, -2
	s_lshl_b64 s[16:17], s[22:23], 3
	s_lshl_b64 s[0:1], s[0:1], 3
	;; [unrolled: 1-line block ×3, first 2 shown]
	s_add_nc_u64 s[0:1], s[16:17], s[0:1]
	s_add_nc_u64 s[16:17], s[12:13], s[22:23]
	s_add_co_i32 s9, s33, 8
	s_add_nc_u64 s[16:17], s[16:17], s[0:1]
	s_mov_b32 s24, s15
	v_add_nc_u64_e32 v[4:5], s[16:17], v[2:3]
	s_ashr_i32 s25, s15, 31
	s_mul_i32 s9, s18, s9
	s_lshl_b64 s[16:17], s[24:25], 3
	s_add_nc_u64 s[24:25], s[0:1], s[22:23]
	s_add_nc_u64 s[22:23], s[12:13], s[0:1]
	s_add_co_i32 s0, s9, 0
	v_add_nc_u64_e32 v[4:5], 8, v[4:5]
	v_add3_u32 v3, s0, v2, -8
	s_add_co_i32 s1, s18, -1
	s_mul_i32 s20, s15, s8
	s_lshl_b32 s4, s19, 3
	s_add_nc_u64 s[12:13], s[12:13], s[24:25]
	s_add_nc_u64 s[24:25], s[22:23], 4
	s_mul_i32 s26, s15, s1
	s_mul_i32 s9, s15, s19
	s_xor_b32 s41, s33, -8
	s_branch .LBB83_8
.LBB83_7:                               ;   in Loop: Header=BB83_8 Depth=1
	s_or_b32 exec_lo, exec_lo, s0
	v_add_nc_u64_e32 v[4:5], -8, v[4:5]
	v_add_nc_u32_e32 v3, s41, v3
	s_add_co_i32 s0, s8, -1
	s_add_co_i32 s40, s40, -1
	s_sub_co_i32 s20, s20, s15
	s_sub_co_i32 s26, s26, s15
	s_add_nc_u64 s[12:13], s[12:13], -8
	s_cmp_lt_i32 s8, 1
	s_mov_b32 s8, s0
	s_wait_dscnt 0x0
	s_barrier_signal -1
	s_barrier_wait -1
	s_cbranch_scc1 .LBB83_31
.LBB83_8:                               ; =>This Loop Header: Depth=1
                                        ;     Child Loop BB83_13 Depth 2
                                        ;       Child Loop BB83_15 Depth 3
                                        ;     Child Loop BB83_22 Depth 2
                                        ;       Child Loop BB83_24 Depth 3
	;; [unrolled: 2-line block ×3, first 2 shown]
	s_not_b32 s0, s8
	s_lshl_b32 s1, s8, 3
	s_add_co_i32 s42, s18, s0
	s_mul_i32 s0, s8, s18
	s_add_co_i32 s43, s39, s1
	s_lshl_b32 s0, s0, 3
	s_add_co_i32 s34, s8, s38
	s_add_co_i32 s43, s43, s0
	v_cmp_gt_i32_e64 s0, s42, v0
	s_and_b32 vcc_lo, exec_lo, s14
	s_mov_b32 s1, -1
	s_cbranch_vccz .LBB83_17
; %bb.9:                                ;   in Loop: Header=BB83_8 Depth=1
	s_and_saveexec_b32 s21, s0
	s_cbranch_execz .LBB83_16
; %bb.10:                               ;   in Loop: Header=BB83_8 Depth=1
	s_load_b64 s[0:1], s[6:7], s8 offset:0x0 scale_offset
	v_mov_b64_e32 v[6:7], v[4:5]
	v_mov_b32_e32 v10, v0
	s_cmp_gt_i32 s34, 0
	s_mov_b32 s27, 0
	s_cselect_b32 s35, -1, 0
	s_wait_kmcnt 0x0
	s_mov_b32 s28, s0
	s_mov_b32 s29, s0
	s_mov_b32 s0, s1
	s_branch .LBB83_13
.LBB83_11:                              ;   in Loop: Header=BB83_13 Depth=2
	v_mov_b32_e32 v9, 0
	s_delay_alu instid0(VALU_DEP_1)
	v_mov_b32_e32 v8, v9
.LBB83_12:                              ;   in Loop: Header=BB83_13 Depth=2
	s_delay_alu instid0(VALU_DEP_1) | instskip(SKIP_2) | instid1(VALU_DEP_3)
	v_dual_mov_b32 v14, v9 :: v_dual_lshlrev_b32 v11, 3, v10
	v_mov_b64_e32 v[16:17], s[0:1]
	v_add_nc_u64_e32 v[6:7], s[4:5], v[6:7]
	v_dual_mov_b32 v15, v8 :: v_dual_add_nc_u32 v13, s43, v11
	v_add_nc_u32_e32 v11, 0, v11
	s_delay_alu instid0(VALU_DEP_2) | instskip(SKIP_2) | instid1(VALU_DEP_1)
	v_pk_mul_f32 v[14:15], v[14:15], v[16:17]
	ds_load_b64 v[18:19], v13 offset:8
	v_mov_b64_e32 v[16:17], s[28:29]
	v_pk_fma_f32 v[20:21], v[8:9], v[16:17], v[14:15]
	v_add_nc_u32_e32 v10, s19, v10
	v_pk_fma_f32 v[8:9], v[8:9], v[16:17], v[14:15] neg_lo:[0,0,1] neg_hi:[0,0,1]
	s_delay_alu instid0(VALU_DEP_3) | instskip(NEXT) | instid1(VALU_DEP_3)
	v_mov_b32_e32 v9, v21
	v_cmp_le_i32_e32 vcc_lo, s42, v10
	s_or_b32 s27, vcc_lo, s27
	s_wait_dscnt 0x0
	s_delay_alu instid0(VALU_DEP_2)
	v_pk_add_f32 v[8:9], v[18:19], v[8:9]
	ds_store_b64 v11, v[8:9]
	s_and_not1_b32 exec_lo, exec_lo, s27
	s_cbranch_execz .LBB83_16
.LBB83_13:                              ;   Parent Loop BB83_8 Depth=1
                                        ; =>  This Loop Header: Depth=2
                                        ;       Child Loop BB83_15 Depth 3
	s_and_not1_b32 vcc_lo, exec_lo, s35
	s_cbranch_vccnz .LBB83_11
; %bb.14:                               ;   in Loop: Header=BB83_13 Depth=2
	v_mov_b32_e32 v8, 0
	s_mov_b32 s36, 0
	s_mov_b64 s[30:31], 0
	s_delay_alu instid0(VALU_DEP_1)
	v_mov_b32_e32 v9, v8
.LBB83_15:                              ;   Parent Loop BB83_8 Depth=1
                                        ;     Parent Loop BB83_13 Depth=2
                                        ; =>    This Inner Loop Header: Depth=3
	v_add_nc_u64_e32 v[14:15], s[30:31], v[6:7]
	s_add_nc_u64 s[44:45], s[12:13], s[30:31]
	s_add_co_i32 s36, s36, 1
	s_load_b64 s[46:47], s[44:45], 0x0
	s_cmp_eq_u32 s40, s36
	s_add_nc_u64 s[30:31], s[30:31], s[16:17]
	global_load_b64 v[14:15], v[14:15], off
	s_wait_kmcnt 0x0
	v_mov_b64_e32 v[16:17], s[46:47]
	s_wait_loadcnt 0x0
	s_delay_alu instid0(VALU_DEP_1) | instskip(SKIP_2) | instid1(VALU_DEP_2)
	v_pk_mul_f32 v[18:19], v[16:17], v[14:15] op_sel_hi:[1,0]
	v_mov_b32_e32 v20, v15
	s_wait_xcnt 0x0
	v_pk_fma_f32 v[14:15], v[16:17], v[14:15], v[18:19] op_sel:[1,1,0] op_sel_hi:[0,1,1] neg_lo:[0,0,1] neg_hi:[0,0,1]
	s_delay_alu instid0(VALU_DEP_2) | instskip(NEXT) | instid1(VALU_DEP_2)
	v_pk_fma_f32 v[16:17], v[16:17], v[20:21], v[18:19] op_sel:[1,0,0] op_sel_hi:[0,1,1]
	v_mov_b32_e32 v17, v15
	s_delay_alu instid0(VALU_DEP_1)
	v_pk_add_f32 v[8:9], v[8:9], v[16:17]
	s_cbranch_scc0 .LBB83_15
	s_branch .LBB83_12
.LBB83_16:                              ;   in Loop: Header=BB83_8 Depth=1
	s_or_b32 exec_lo, exec_lo, s21
	s_mov_b32 s1, 0
.LBB83_17:                              ;   in Loop: Header=BB83_8 Depth=1
	s_delay_alu instid0(SALU_CYCLE_1)
	s_and_not1_b32 vcc_lo, exec_lo, s1
	s_cbranch_vccnz .LBB83_26
; %bb.18:                               ;   in Loop: Header=BB83_8 Depth=1
	s_mov_b32 s44, exec_lo
	v_cmpx_gt_i32_e64 s42, v0
	s_cbranch_execz .LBB83_25
; %bb.19:                               ;   in Loop: Header=BB83_8 Depth=1
	s_load_b64 s[0:1], s[6:7], s8 offset:0x0 scale_offset
	s_ashr_i32 s21, s20, 31
	s_ashr_i32 s27, s26, 31
	v_dual_mov_b32 v6, v12 :: v_dual_mov_b32 v13, v0
	s_lshl_b64 s[28:29], s[20:21], 3
	s_lshl_b64 s[36:37], s[26:27], 3
	s_cmp_gt_i32 s34, 0
	s_mov_b32 s45, 0
	s_add_nc_u64 s[28:29], s[22:23], s[28:29]
	s_cselect_b32 s21, -1, 0
	s_add_nc_u64 s[34:35], s[24:25], s[36:37]
	s_wait_kmcnt 0x0
	s_mov_b32 s30, s0
	s_mov_b32 s31, s0
	;; [unrolled: 1-line block ×3, first 2 shown]
	s_branch .LBB83_22
.LBB83_20:                              ;   in Loop: Header=BB83_22 Depth=2
	v_mov_b32_e32 v9, 0
	s_delay_alu instid0(VALU_DEP_1)
	v_mov_b32_e32 v8, v9
.LBB83_21:                              ;   in Loop: Header=BB83_22 Depth=2
	s_delay_alu instid0(VALU_DEP_1) | instskip(SKIP_1) | instid1(VALU_DEP_3)
	v_dual_mov_b32 v10, v9 :: v_dual_lshlrev_b32 v7, 3, v13
	v_mov_b64_e32 v[14:15], s[0:1]
	v_dual_mov_b32 v11, v8 :: v_dual_add_nc_u32 v6, s9, v6
	s_delay_alu instid0(VALU_DEP_3) | instskip(NEXT) | instid1(VALU_DEP_2)
	v_dual_add_nc_u32 v16, s43, v7 :: v_dual_add_nc_u32 v7, 0, v7
	v_pk_mul_f32 v[10:11], v[10:11], v[14:15]
	ds_load_b64 v[16:17], v16 offset:8
	v_mov_b64_e32 v[14:15], s[30:31]
	s_delay_alu instid0(VALU_DEP_1) | instskip(SKIP_2) | instid1(VALU_DEP_3)
	v_pk_fma_f32 v[18:19], v[8:9], v[14:15], v[10:11]
	v_add_nc_u32_e32 v13, s19, v13
	v_pk_fma_f32 v[8:9], v[8:9], v[14:15], v[10:11] neg_lo:[0,0,1] neg_hi:[0,0,1]
	v_mov_b32_e32 v9, v19
	s_delay_alu instid0(VALU_DEP_3) | instskip(SKIP_2) | instid1(VALU_DEP_2)
	v_cmp_le_i32_e32 vcc_lo, s42, v13
	s_or_b32 s45, vcc_lo, s45
	s_wait_dscnt 0x0
	v_pk_add_f32 v[8:9], v[16:17], v[8:9]
	ds_store_b64 v7, v[8:9]
	s_and_not1_b32 exec_lo, exec_lo, s45
	s_cbranch_execz .LBB83_25
.LBB83_22:                              ;   Parent Loop BB83_8 Depth=1
                                        ; =>  This Loop Header: Depth=2
                                        ;       Child Loop BB83_24 Depth 3
	s_and_not1_b32 vcc_lo, exec_lo, s21
	s_cbranch_vccnz .LBB83_20
; %bb.23:                               ;   in Loop: Header=BB83_22 Depth=2
	v_dual_mov_b32 v8, 0 :: v_dual_ashrrev_i32 v7, 31, v6
	s_mov_b32 s27, 0
	s_mov_b64 s[36:37], s[28:29]
	s_delay_alu instid0(VALU_DEP_1) | instskip(NEXT) | instid1(VALU_DEP_2)
	v_lshl_add_u64 v[10:11], v[6:7], 3, s[34:35]
	v_mov_b32_e32 v9, v8
.LBB83_24:                              ;   Parent Loop BB83_8 Depth=1
                                        ;     Parent Loop BB83_22 Depth=2
                                        ; =>    This Inner Loop Header: Depth=3
	global_load_b64 v[14:15], v[10:11], off offset:-4
	s_load_b64 s[46:47], s[36:37], 0x0
	v_add_nc_u64_e32 v[10:11], 8, v[10:11]
	s_add_co_i32 s27, s27, 1
	s_wait_xcnt 0x0
	s_add_nc_u64 s[36:37], s[36:37], 8
	s_cmp_eq_u32 s40, s27
	s_wait_kmcnt 0x0
	v_mov_b64_e32 v[16:17], s[46:47]
	s_wait_loadcnt 0x0
	s_delay_alu instid0(VALU_DEP_1) | instskip(NEXT) | instid1(VALU_DEP_1)
	v_pk_mul_f32 v[18:19], v[14:15], v[16:17] op_sel:[1,1] op_sel_hi:[1,0]
	v_pk_fma_f32 v[20:21], v[14:15], v[16:17], v[18:19] op_sel_hi:[0,1,1] neg_lo:[0,0,1] neg_hi:[0,0,1]
	v_pk_fma_f32 v[14:15], v[14:15], v[16:17], v[18:19]
	s_delay_alu instid0(VALU_DEP_2) | instskip(NEXT) | instid1(VALU_DEP_1)
	v_mov_b32_e32 v15, v21
	v_pk_add_f32 v[8:9], v[8:9], v[14:15]
	s_cbranch_scc0 .LBB83_24
	s_branch .LBB83_21
.LBB83_25:                              ;   in Loop: Header=BB83_8 Depth=1
	s_or_b32 exec_lo, exec_lo, s44
.LBB83_26:                              ;   in Loop: Header=BB83_8 Depth=1
	s_delay_alu instid0(SALU_CYCLE_1)
	s_mov_b32 s0, exec_lo
	s_wait_dscnt 0x0
	s_barrier_signal -1
	s_barrier_wait -1
	v_cmpx_gt_i32_e64 s42, v0
	s_cbranch_execz .LBB83_7
; %bb.27:                               ;   in Loop: Header=BB83_8 Depth=1
	v_dual_mov_b32 v8, v3 :: v_dual_mov_b32 v9, v0
	s_mov_b32 s1, 0
.LBB83_28:                              ;   Parent Loop BB83_8 Depth=1
                                        ; =>  This Loop Header: Depth=2
                                        ;       Child Loop BB83_29 Depth 3
	s_delay_alu instid0(VALU_DEP_1) | instskip(SKIP_3) | instid1(VALU_DEP_1)
	v_dual_mov_b32 v6, 0 :: v_dual_mov_b32 v10, v8
	s_mov_b32 s27, -1
	s_mov_b32 s21, 0
	s_mov_b32 s28, 0
	v_mov_b32_e32 v7, v6
.LBB83_29:                              ;   Parent Loop BB83_8 Depth=1
                                        ;     Parent Loop BB83_28 Depth=2
                                        ; =>    This Inner Loop Header: Depth=3
	v_mov_b32_e32 v11, s28
	s_add_co_i32 s27, s27, 1
	s_add_co_i32 s28, s28, 8
	v_cmp_eq_u32_e32 vcc_lo, s27, v9
	ds_load_b64 v[14:15], v10
	ds_load_b64 v[16:17], v11
	v_add_nc_u32_e32 v10, s33, v10
	s_or_b32 s21, vcc_lo, s21
	s_wait_dscnt 0x0
	v_pk_mul_f32 v[18:19], v[16:17], v[14:15] op_sel:[1,1] op_sel_hi:[0,1]
	s_delay_alu instid0(VALU_DEP_1) | instskip(SKIP_1) | instid1(VALU_DEP_2)
	v_pk_fma_f32 v[20:21], v[16:17], v[14:15], v[18:19] op_sel_hi:[1,0,1]
	v_pk_fma_f32 v[14:15], v[16:17], v[14:15], v[18:19] neg_lo:[0,0,1] neg_hi:[0,0,1]
	v_mov_b32_e32 v15, v21
	s_delay_alu instid0(VALU_DEP_1)
	v_pk_add_f32 v[6:7], v[6:7], v[14:15]
	s_and_not1_b32 exec_lo, exec_lo, s21
	s_cbranch_execnz .LBB83_29
; %bb.30:                               ;   in Loop: Header=BB83_28 Depth=2
	s_or_b32 exec_lo, exec_lo, s21
	v_lshl_add_u32 v10, v9, 3, s43
	v_dual_add_nc_u32 v9, s19, v9 :: v_dual_add_nc_u32 v8, s4, v8
	ds_store_b64 v10, v[6:7] offset:8
	v_cmp_le_i32_e32 vcc_lo, s42, v9
	s_or_b32 s1, vcc_lo, s1
	s_delay_alu instid0(SALU_CYCLE_1)
	s_and_not1_b32 exec_lo, exec_lo, s1
	s_cbranch_execnz .LBB83_28
	s_branch .LBB83_7
.LBB83_31:
	s_and_saveexec_b32 s0, s2
	s_cbranch_execz .LBB83_36
; %bb.32:
	s_lshl_b32 s0, s18, 3
	s_mov_b32 s1, 0
	v_add3_u32 v2, 0, s0, v2
	s_lshl_b32 s2, s19, 3
.LBB83_33:                              ; =>This Loop Header: Depth=1
                                        ;     Child Loop BB83_34 Depth 2
	s_delay_alu instid0(VALU_DEP_1)
	v_dual_mov_b32 v3, v2 :: v_dual_mov_b32 v4, v0
	s_mov_b32 s4, 0
	s_mov_b32 s5, 0
.LBB83_34:                              ;   Parent Loop BB83_33 Depth=1
                                        ; =>  This Inner Loop Header: Depth=2
	ds_load_b64 v[6:7], v3
	s_add_co_i32 s5, s5, 1
	v_add_nc_u32_e32 v3, s0, v3
	v_cmp_eq_u32_e32 vcc_lo, s5, v1
	s_or_b32 s4, vcc_lo, s4
	s_wait_dscnt 0x0
	global_store_b64 v4, v[6:7], s[10:11] scale_offset
	s_wait_xcnt 0x0
	v_add_nc_u32_e32 v4, s3, v4
	s_and_not1_b32 exec_lo, exec_lo, s4
	s_cbranch_execnz .LBB83_34
; %bb.35:                               ;   in Loop: Header=BB83_33 Depth=1
	s_or_b32 exec_lo, exec_lo, s4
	v_dual_add_nc_u32 v0, s19, v0 :: v_dual_add_nc_u32 v1, s19, v1
	v_add_nc_u32_e32 v2, s2, v2
	s_delay_alu instid0(VALU_DEP_2) | instskip(SKIP_1) | instid1(SALU_CYCLE_1)
	v_cmp_le_i32_e32 vcc_lo, s18, v0
	s_or_b32 s1, vcc_lo, s1
	s_and_not1_b32 exec_lo, exec_lo, s1
	s_cbranch_execnz .LBB83_33
.LBB83_36:
	s_endpgm
	.section	.rodata,"a",@progbits
	.p2align	6, 0x0
	.amdhsa_kernel _ZN9rocsolver6v33100L21larft_kernel_backwardI19rocblas_complex_numIfEPS3_EEv15rocblas_storev_iiT0_iilPT_lS8_il
		.amdhsa_group_segment_fixed_size 0
		.amdhsa_private_segment_fixed_size 0
		.amdhsa_kernarg_size 336
		.amdhsa_user_sgpr_count 2
		.amdhsa_user_sgpr_dispatch_ptr 0
		.amdhsa_user_sgpr_queue_ptr 0
		.amdhsa_user_sgpr_kernarg_segment_ptr 1
		.amdhsa_user_sgpr_dispatch_id 0
		.amdhsa_user_sgpr_kernarg_preload_length 0
		.amdhsa_user_sgpr_kernarg_preload_offset 0
		.amdhsa_user_sgpr_private_segment_size 0
		.amdhsa_wavefront_size32 1
		.amdhsa_uses_dynamic_stack 0
		.amdhsa_enable_private_segment 0
		.amdhsa_system_sgpr_workgroup_id_x 1
		.amdhsa_system_sgpr_workgroup_id_y 1
		.amdhsa_system_sgpr_workgroup_id_z 0
		.amdhsa_system_sgpr_workgroup_info 0
		.amdhsa_system_vgpr_workitem_id 0
		.amdhsa_next_free_vgpr 22
		.amdhsa_next_free_sgpr 48
		.amdhsa_named_barrier_count 0
		.amdhsa_reserve_vcc 1
		.amdhsa_float_round_mode_32 0
		.amdhsa_float_round_mode_16_64 0
		.amdhsa_float_denorm_mode_32 3
		.amdhsa_float_denorm_mode_16_64 3
		.amdhsa_fp16_overflow 0
		.amdhsa_memory_ordered 1
		.amdhsa_forward_progress 1
		.amdhsa_inst_pref_size 14
		.amdhsa_round_robin_scheduling 0
		.amdhsa_exception_fp_ieee_invalid_op 0
		.amdhsa_exception_fp_denorm_src 0
		.amdhsa_exception_fp_ieee_div_zero 0
		.amdhsa_exception_fp_ieee_overflow 0
		.amdhsa_exception_fp_ieee_underflow 0
		.amdhsa_exception_fp_ieee_inexact 0
		.amdhsa_exception_int_div_zero 0
	.end_amdhsa_kernel
	.section	.text._ZN9rocsolver6v33100L21larft_kernel_backwardI19rocblas_complex_numIfEPS3_EEv15rocblas_storev_iiT0_iilPT_lS8_il,"axG",@progbits,_ZN9rocsolver6v33100L21larft_kernel_backwardI19rocblas_complex_numIfEPS3_EEv15rocblas_storev_iiT0_iilPT_lS8_il,comdat
.Lfunc_end83:
	.size	_ZN9rocsolver6v33100L21larft_kernel_backwardI19rocblas_complex_numIfEPS3_EEv15rocblas_storev_iiT0_iilPT_lS8_il, .Lfunc_end83-_ZN9rocsolver6v33100L21larft_kernel_backwardI19rocblas_complex_numIfEPS3_EEv15rocblas_storev_iiT0_iilPT_lS8_il
                                        ; -- End function
	.set _ZN9rocsolver6v33100L21larft_kernel_backwardI19rocblas_complex_numIfEPS3_EEv15rocblas_storev_iiT0_iilPT_lS8_il.num_vgpr, 22
	.set _ZN9rocsolver6v33100L21larft_kernel_backwardI19rocblas_complex_numIfEPS3_EEv15rocblas_storev_iiT0_iilPT_lS8_il.num_agpr, 0
	.set _ZN9rocsolver6v33100L21larft_kernel_backwardI19rocblas_complex_numIfEPS3_EEv15rocblas_storev_iiT0_iilPT_lS8_il.numbered_sgpr, 48
	.set _ZN9rocsolver6v33100L21larft_kernel_backwardI19rocblas_complex_numIfEPS3_EEv15rocblas_storev_iiT0_iilPT_lS8_il.num_named_barrier, 0
	.set _ZN9rocsolver6v33100L21larft_kernel_backwardI19rocblas_complex_numIfEPS3_EEv15rocblas_storev_iiT0_iilPT_lS8_il.private_seg_size, 0
	.set _ZN9rocsolver6v33100L21larft_kernel_backwardI19rocblas_complex_numIfEPS3_EEv15rocblas_storev_iiT0_iilPT_lS8_il.uses_vcc, 1
	.set _ZN9rocsolver6v33100L21larft_kernel_backwardI19rocblas_complex_numIfEPS3_EEv15rocblas_storev_iiT0_iilPT_lS8_il.uses_flat_scratch, 0
	.set _ZN9rocsolver6v33100L21larft_kernel_backwardI19rocblas_complex_numIfEPS3_EEv15rocblas_storev_iiT0_iilPT_lS8_il.has_dyn_sized_stack, 0
	.set _ZN9rocsolver6v33100L21larft_kernel_backwardI19rocblas_complex_numIfEPS3_EEv15rocblas_storev_iiT0_iilPT_lS8_il.has_recursion, 0
	.set _ZN9rocsolver6v33100L21larft_kernel_backwardI19rocblas_complex_numIfEPS3_EEv15rocblas_storev_iiT0_iilPT_lS8_il.has_indirect_call, 0
	.section	.AMDGPU.csdata,"",@progbits
; Kernel info:
; codeLenInByte = 1740
; TotalNumSgprs: 50
; NumVgprs: 22
; ScratchSize: 0
; MemoryBound: 0
; FloatMode: 240
; IeeeMode: 1
; LDSByteSize: 0 bytes/workgroup (compile time only)
; SGPRBlocks: 0
; VGPRBlocks: 1
; NumSGPRsForWavesPerEU: 50
; NumVGPRsForWavesPerEU: 22
; NamedBarCnt: 0
; Occupancy: 16
; WaveLimiterHint : 0
; COMPUTE_PGM_RSRC2:SCRATCH_EN: 0
; COMPUTE_PGM_RSRC2:USER_SGPR: 2
; COMPUTE_PGM_RSRC2:TRAP_HANDLER: 0
; COMPUTE_PGM_RSRC2:TGID_X_EN: 1
; COMPUTE_PGM_RSRC2:TGID_Y_EN: 1
; COMPUTE_PGM_RSRC2:TGID_Z_EN: 0
; COMPUTE_PGM_RSRC2:TIDIG_COMP_CNT: 0
	.section	.text._ZN9rocsolver6v33100L9copymatA1I19rocblas_complex_numIfEPS3_EEviiT0_iilPT_,"axG",@progbits,_ZN9rocsolver6v33100L9copymatA1I19rocblas_complex_numIfEPS3_EEviiT0_iilPT_,comdat
	.globl	_ZN9rocsolver6v33100L9copymatA1I19rocblas_complex_numIfEPS3_EEviiT0_iilPT_ ; -- Begin function _ZN9rocsolver6v33100L9copymatA1I19rocblas_complex_numIfEPS3_EEviiT0_iilPT_
	.p2align	8
	.type	_ZN9rocsolver6v33100L9copymatA1I19rocblas_complex_numIfEPS3_EEviiT0_iilPT_,@function
_ZN9rocsolver6v33100L9copymatA1I19rocblas_complex_numIfEPS3_EEviiT0_iilPT_: ; @_ZN9rocsolver6v33100L9copymatA1I19rocblas_complex_numIfEPS3_EEviiT0_iilPT_
; %bb.0:
	s_clause 0x1
	s_load_b32 s2, s[0:1], 0x34
	s_load_b64 s[12:13], s[0:1], 0x0
	s_bfe_u32 s4, ttmp6, 0x40010
	s_bfe_u32 s7, ttmp6, 0x4000c
	s_and_b32 s3, ttmp7, 0xffff
	s_add_co_i32 s4, s4, 1
	s_add_co_i32 s7, s7, 1
	s_bfe_u32 s5, ttmp6, 0x40004
	s_and_b32 s6, ttmp6, 15
	s_mul_i32 s4, s3, s4
	s_mul_i32 s7, ttmp9, s7
	s_getreg_b32 s14, hwreg(HW_REG_IB_STS2, 6, 4)
	v_and_b32_e32 v1, 0x3ff, v0
	v_bfe_u32 v0, v0, 10, 10
	s_add_co_i32 s5, s5, s4
	s_add_co_i32 s6, s6, s7
	s_wait_kmcnt 0x0
	s_lshr_b32 s4, s2, 16
	s_and_b32 s2, s2, 0xffff
	s_cmp_eq_u32 s14, 0
	s_cselect_b32 s3, s3, s5
	s_cselect_b32 s5, ttmp9, s6
	v_mad_u32 v0, s3, s4, v0
	v_mad_u32 v1, s5, s2, v1
	s_mov_b32 s3, 0
	s_delay_alu instid0(VALU_DEP_2) | instskip(NEXT) | instid1(VALU_DEP_2)
	v_cmp_gt_u32_e32 vcc_lo, s12, v0
	v_cmp_gt_u32_e64 s2, s13, v1
	s_and_b32 s2, s2, vcc_lo
	s_delay_alu instid0(SALU_CYCLE_1)
	s_and_saveexec_b32 s4, s2
	s_cbranch_execz .LBB84_2
; %bb.1:
	s_load_b256 s[4:11], s[0:1], 0x8
	s_wait_xcnt 0x0
	s_bfe_u32 s0, ttmp6, 0x40014
	s_lshr_b32 s2, ttmp7, 16
	s_add_co_i32 s0, s0, 1
	s_bfe_u32 s16, ttmp6, 0x40008
	s_mul_i32 s0, s2, s0
	s_ashr_i32 s1, s12, 31
	s_ashr_i32 s15, s13, 31
	s_add_co_i32 s16, s16, s0
	s_cmp_eq_u32 s14, 0
	s_mov_b32 s0, s12
	s_cselect_b32 s2, s2, s16
	s_mov_b32 s14, s13
	s_mul_u64 s[0:1], s[0:1], s[2:3]
	s_delay_alu instid0(SALU_CYCLE_1) | instskip(NEXT) | instid1(SALU_CYCLE_1)
	s_mul_u64 s[0:1], s[0:1], s[14:15]
	s_lshl_b64 s[0:1], s[0:1], 3
	s_wait_kmcnt 0x0
	v_mad_u32 v2, v1, s7, v0
	s_mul_u64 s[8:9], s[8:9], s[2:3]
	s_ashr_i32 s7, s6, 31
	s_lshl_b64 s[8:9], s[8:9], 3
	s_lshl_b64 s[6:7], s[6:7], 3
	s_add_nc_u64 s[4:5], s[4:5], s[8:9]
	v_mad_u32 v0, v1, s12, v0
	s_add_nc_u64 s[4:5], s[4:5], s[6:7]
	s_add_nc_u64 s[0:1], s[10:11], s[0:1]
	global_load_b64 v[2:3], v2, s[4:5] scale_offset
	s_wait_loadcnt 0x0
	global_store_b64 v0, v[2:3], s[0:1] scale_offset
.LBB84_2:
	s_endpgm
	.section	.rodata,"a",@progbits
	.p2align	6, 0x0
	.amdhsa_kernel _ZN9rocsolver6v33100L9copymatA1I19rocblas_complex_numIfEPS3_EEviiT0_iilPT_
		.amdhsa_group_segment_fixed_size 0
		.amdhsa_private_segment_fixed_size 0
		.amdhsa_kernarg_size 296
		.amdhsa_user_sgpr_count 2
		.amdhsa_user_sgpr_dispatch_ptr 0
		.amdhsa_user_sgpr_queue_ptr 0
		.amdhsa_user_sgpr_kernarg_segment_ptr 1
		.amdhsa_user_sgpr_dispatch_id 0
		.amdhsa_user_sgpr_kernarg_preload_length 0
		.amdhsa_user_sgpr_kernarg_preload_offset 0
		.amdhsa_user_sgpr_private_segment_size 0
		.amdhsa_wavefront_size32 1
		.amdhsa_uses_dynamic_stack 0
		.amdhsa_enable_private_segment 0
		.amdhsa_system_sgpr_workgroup_id_x 1
		.amdhsa_system_sgpr_workgroup_id_y 1
		.amdhsa_system_sgpr_workgroup_id_z 1
		.amdhsa_system_sgpr_workgroup_info 0
		.amdhsa_system_vgpr_workitem_id 1
		.amdhsa_next_free_vgpr 4
		.amdhsa_next_free_sgpr 17
		.amdhsa_named_barrier_count 0
		.amdhsa_reserve_vcc 1
		.amdhsa_float_round_mode_32 0
		.amdhsa_float_round_mode_16_64 0
		.amdhsa_float_denorm_mode_32 3
		.amdhsa_float_denorm_mode_16_64 3
		.amdhsa_fp16_overflow 0
		.amdhsa_memory_ordered 1
		.amdhsa_forward_progress 1
		.amdhsa_inst_pref_size 3
		.amdhsa_round_robin_scheduling 0
		.amdhsa_exception_fp_ieee_invalid_op 0
		.amdhsa_exception_fp_denorm_src 0
		.amdhsa_exception_fp_ieee_div_zero 0
		.amdhsa_exception_fp_ieee_overflow 0
		.amdhsa_exception_fp_ieee_underflow 0
		.amdhsa_exception_fp_ieee_inexact 0
		.amdhsa_exception_int_div_zero 0
	.end_amdhsa_kernel
	.section	.text._ZN9rocsolver6v33100L9copymatA1I19rocblas_complex_numIfEPS3_EEviiT0_iilPT_,"axG",@progbits,_ZN9rocsolver6v33100L9copymatA1I19rocblas_complex_numIfEPS3_EEviiT0_iilPT_,comdat
.Lfunc_end84:
	.size	_ZN9rocsolver6v33100L9copymatA1I19rocblas_complex_numIfEPS3_EEviiT0_iilPT_, .Lfunc_end84-_ZN9rocsolver6v33100L9copymatA1I19rocblas_complex_numIfEPS3_EEviiT0_iilPT_
                                        ; -- End function
	.set _ZN9rocsolver6v33100L9copymatA1I19rocblas_complex_numIfEPS3_EEviiT0_iilPT_.num_vgpr, 4
	.set _ZN9rocsolver6v33100L9copymatA1I19rocblas_complex_numIfEPS3_EEviiT0_iilPT_.num_agpr, 0
	.set _ZN9rocsolver6v33100L9copymatA1I19rocblas_complex_numIfEPS3_EEviiT0_iilPT_.numbered_sgpr, 17
	.set _ZN9rocsolver6v33100L9copymatA1I19rocblas_complex_numIfEPS3_EEviiT0_iilPT_.num_named_barrier, 0
	.set _ZN9rocsolver6v33100L9copymatA1I19rocblas_complex_numIfEPS3_EEviiT0_iilPT_.private_seg_size, 0
	.set _ZN9rocsolver6v33100L9copymatA1I19rocblas_complex_numIfEPS3_EEviiT0_iilPT_.uses_vcc, 1
	.set _ZN9rocsolver6v33100L9copymatA1I19rocblas_complex_numIfEPS3_EEviiT0_iilPT_.uses_flat_scratch, 0
	.set _ZN9rocsolver6v33100L9copymatA1I19rocblas_complex_numIfEPS3_EEviiT0_iilPT_.has_dyn_sized_stack, 0
	.set _ZN9rocsolver6v33100L9copymatA1I19rocblas_complex_numIfEPS3_EEviiT0_iilPT_.has_recursion, 0
	.set _ZN9rocsolver6v33100L9copymatA1I19rocblas_complex_numIfEPS3_EEviiT0_iilPT_.has_indirect_call, 0
	.section	.AMDGPU.csdata,"",@progbits
; Kernel info:
; codeLenInByte = 344
; TotalNumSgprs: 19
; NumVgprs: 4
; ScratchSize: 0
; MemoryBound: 0
; FloatMode: 240
; IeeeMode: 1
; LDSByteSize: 0 bytes/workgroup (compile time only)
; SGPRBlocks: 0
; VGPRBlocks: 0
; NumSGPRsForWavesPerEU: 19
; NumVGPRsForWavesPerEU: 4
; NamedBarCnt: 0
; Occupancy: 16
; WaveLimiterHint : 0
; COMPUTE_PGM_RSRC2:SCRATCH_EN: 0
; COMPUTE_PGM_RSRC2:USER_SGPR: 2
; COMPUTE_PGM_RSRC2:TRAP_HANDLER: 0
; COMPUTE_PGM_RSRC2:TGID_X_EN: 1
; COMPUTE_PGM_RSRC2:TGID_Y_EN: 1
; COMPUTE_PGM_RSRC2:TGID_Z_EN: 1
; COMPUTE_PGM_RSRC2:TIDIG_COMP_CNT: 1
	.section	.text._ZN9rocsolver6v33100L8addmatA1I19rocblas_complex_numIfEPS3_EEviiT0_iilPT_,"axG",@progbits,_ZN9rocsolver6v33100L8addmatA1I19rocblas_complex_numIfEPS3_EEviiT0_iilPT_,comdat
	.globl	_ZN9rocsolver6v33100L8addmatA1I19rocblas_complex_numIfEPS3_EEviiT0_iilPT_ ; -- Begin function _ZN9rocsolver6v33100L8addmatA1I19rocblas_complex_numIfEPS3_EEviiT0_iilPT_
	.p2align	8
	.type	_ZN9rocsolver6v33100L8addmatA1I19rocblas_complex_numIfEPS3_EEviiT0_iilPT_,@function
_ZN9rocsolver6v33100L8addmatA1I19rocblas_complex_numIfEPS3_EEviiT0_iilPT_: ; @_ZN9rocsolver6v33100L8addmatA1I19rocblas_complex_numIfEPS3_EEviiT0_iilPT_
; %bb.0:
	s_clause 0x1
	s_load_b32 s2, s[0:1], 0x34
	s_load_b64 s[12:13], s[0:1], 0x0
	s_bfe_u32 s4, ttmp6, 0x40010
	s_bfe_u32 s7, ttmp6, 0x4000c
	s_and_b32 s3, ttmp7, 0xffff
	s_add_co_i32 s4, s4, 1
	s_add_co_i32 s7, s7, 1
	s_bfe_u32 s5, ttmp6, 0x40004
	s_and_b32 s6, ttmp6, 15
	s_mul_i32 s4, s3, s4
	s_mul_i32 s7, ttmp9, s7
	s_getreg_b32 s14, hwreg(HW_REG_IB_STS2, 6, 4)
	v_and_b32_e32 v1, 0x3ff, v0
	v_bfe_u32 v0, v0, 10, 10
	s_add_co_i32 s5, s5, s4
	s_add_co_i32 s6, s6, s7
	s_wait_kmcnt 0x0
	s_lshr_b32 s4, s2, 16
	s_and_b32 s2, s2, 0xffff
	s_cmp_eq_u32 s14, 0
	s_cselect_b32 s3, s3, s5
	s_cselect_b32 s5, ttmp9, s6
	v_mad_u32 v0, s3, s4, v0
	v_mad_u32 v1, s5, s2, v1
	s_mov_b32 s3, 0
	s_delay_alu instid0(VALU_DEP_2) | instskip(NEXT) | instid1(VALU_DEP_2)
	v_cmp_gt_u32_e32 vcc_lo, s12, v0
	v_cmp_gt_u32_e64 s2, s13, v1
	s_and_b32 s2, s2, vcc_lo
	s_delay_alu instid0(SALU_CYCLE_1)
	s_and_saveexec_b32 s4, s2
	s_cbranch_execz .LBB85_2
; %bb.1:
	s_load_b256 s[4:11], s[0:1], 0x8
	s_wait_xcnt 0x0
	s_bfe_u32 s0, ttmp6, 0x40014
	s_lshr_b32 s2, ttmp7, 16
	s_add_co_i32 s0, s0, 1
	s_bfe_u32 s16, ttmp6, 0x40008
	s_mul_i32 s0, s2, s0
	s_ashr_i32 s1, s12, 31
	s_ashr_i32 s15, s13, 31
	s_add_co_i32 s16, s16, s0
	s_cmp_eq_u32 s14, 0
	v_mad_u32 v4, v1, s12, v0
	s_mov_b32 s0, s12
	s_cselect_b32 s2, s2, s16
	s_mov_b32 s14, s13
	s_mul_u64 s[0:1], s[0:1], s[2:3]
	s_delay_alu instid0(SALU_CYCLE_1) | instskip(NEXT) | instid1(SALU_CYCLE_1)
	s_mul_u64 s[0:1], s[0:1], s[14:15]
	s_lshl_b64 s[0:1], s[0:1], 3
	s_wait_kmcnt 0x0
	v_mad_u32 v5, v1, s7, v0
	s_mul_u64 s[2:3], s[8:9], s[2:3]
	s_ashr_i32 s7, s6, 31
	s_lshl_b64 s[2:3], s[2:3], 3
	s_add_nc_u64 s[0:1], s[10:11], s[0:1]
	s_add_nc_u64 s[2:3], s[4:5], s[2:3]
	s_lshl_b64 s[4:5], s[6:7], 3
	s_delay_alu instid0(SALU_CYCLE_1)
	s_add_nc_u64 s[2:3], s[2:3], s[4:5]
	global_load_b64 v[0:1], v4, s[0:1] scale_offset
	global_load_b64 v[2:3], v5, s[2:3] scale_offset
	s_wait_loadcnt 0x0
	v_pk_add_f32 v[0:1], v[2:3], v[0:1] neg_lo:[0,1] neg_hi:[0,1]
	global_store_b64 v5, v[0:1], s[2:3] scale_offset
.LBB85_2:
	s_endpgm
	.section	.rodata,"a",@progbits
	.p2align	6, 0x0
	.amdhsa_kernel _ZN9rocsolver6v33100L8addmatA1I19rocblas_complex_numIfEPS3_EEviiT0_iilPT_
		.amdhsa_group_segment_fixed_size 0
		.amdhsa_private_segment_fixed_size 0
		.amdhsa_kernarg_size 296
		.amdhsa_user_sgpr_count 2
		.amdhsa_user_sgpr_dispatch_ptr 0
		.amdhsa_user_sgpr_queue_ptr 0
		.amdhsa_user_sgpr_kernarg_segment_ptr 1
		.amdhsa_user_sgpr_dispatch_id 0
		.amdhsa_user_sgpr_kernarg_preload_length 0
		.amdhsa_user_sgpr_kernarg_preload_offset 0
		.amdhsa_user_sgpr_private_segment_size 0
		.amdhsa_wavefront_size32 1
		.amdhsa_uses_dynamic_stack 0
		.amdhsa_enable_private_segment 0
		.amdhsa_system_sgpr_workgroup_id_x 1
		.amdhsa_system_sgpr_workgroup_id_y 1
		.amdhsa_system_sgpr_workgroup_id_z 1
		.amdhsa_system_sgpr_workgroup_info 0
		.amdhsa_system_vgpr_workitem_id 1
		.amdhsa_next_free_vgpr 6
		.amdhsa_next_free_sgpr 17
		.amdhsa_named_barrier_count 0
		.amdhsa_reserve_vcc 1
		.amdhsa_float_round_mode_32 0
		.amdhsa_float_round_mode_16_64 0
		.amdhsa_float_denorm_mode_32 3
		.amdhsa_float_denorm_mode_16_64 3
		.amdhsa_fp16_overflow 0
		.amdhsa_memory_ordered 1
		.amdhsa_forward_progress 1
		.amdhsa_inst_pref_size 3
		.amdhsa_round_robin_scheduling 0
		.amdhsa_exception_fp_ieee_invalid_op 0
		.amdhsa_exception_fp_denorm_src 0
		.amdhsa_exception_fp_ieee_div_zero 0
		.amdhsa_exception_fp_ieee_overflow 0
		.amdhsa_exception_fp_ieee_underflow 0
		.amdhsa_exception_fp_ieee_inexact 0
		.amdhsa_exception_int_div_zero 0
	.end_amdhsa_kernel
	.section	.text._ZN9rocsolver6v33100L8addmatA1I19rocblas_complex_numIfEPS3_EEviiT0_iilPT_,"axG",@progbits,_ZN9rocsolver6v33100L8addmatA1I19rocblas_complex_numIfEPS3_EEviiT0_iilPT_,comdat
.Lfunc_end85:
	.size	_ZN9rocsolver6v33100L8addmatA1I19rocblas_complex_numIfEPS3_EEviiT0_iilPT_, .Lfunc_end85-_ZN9rocsolver6v33100L8addmatA1I19rocblas_complex_numIfEPS3_EEviiT0_iilPT_
                                        ; -- End function
	.set _ZN9rocsolver6v33100L8addmatA1I19rocblas_complex_numIfEPS3_EEviiT0_iilPT_.num_vgpr, 6
	.set _ZN9rocsolver6v33100L8addmatA1I19rocblas_complex_numIfEPS3_EEviiT0_iilPT_.num_agpr, 0
	.set _ZN9rocsolver6v33100L8addmatA1I19rocblas_complex_numIfEPS3_EEviiT0_iilPT_.numbered_sgpr, 17
	.set _ZN9rocsolver6v33100L8addmatA1I19rocblas_complex_numIfEPS3_EEviiT0_iilPT_.num_named_barrier, 0
	.set _ZN9rocsolver6v33100L8addmatA1I19rocblas_complex_numIfEPS3_EEviiT0_iilPT_.private_seg_size, 0
	.set _ZN9rocsolver6v33100L8addmatA1I19rocblas_complex_numIfEPS3_EEviiT0_iilPT_.uses_vcc, 1
	.set _ZN9rocsolver6v33100L8addmatA1I19rocblas_complex_numIfEPS3_EEviiT0_iilPT_.uses_flat_scratch, 0
	.set _ZN9rocsolver6v33100L8addmatA1I19rocblas_complex_numIfEPS3_EEviiT0_iilPT_.has_dyn_sized_stack, 0
	.set _ZN9rocsolver6v33100L8addmatA1I19rocblas_complex_numIfEPS3_EEviiT0_iilPT_.has_recursion, 0
	.set _ZN9rocsolver6v33100L8addmatA1I19rocblas_complex_numIfEPS3_EEviiT0_iilPT_.has_indirect_call, 0
	.section	.AMDGPU.csdata,"",@progbits
; Kernel info:
; codeLenInByte = 368
; TotalNumSgprs: 19
; NumVgprs: 6
; ScratchSize: 0
; MemoryBound: 0
; FloatMode: 240
; IeeeMode: 1
; LDSByteSize: 0 bytes/workgroup (compile time only)
; SGPRBlocks: 0
; VGPRBlocks: 0
; NumSGPRsForWavesPerEU: 19
; NumVGPRsForWavesPerEU: 6
; NamedBarCnt: 0
; Occupancy: 16
; WaveLimiterHint : 0
; COMPUTE_PGM_RSRC2:SCRATCH_EN: 0
; COMPUTE_PGM_RSRC2:USER_SGPR: 2
; COMPUTE_PGM_RSRC2:TRAP_HANDLER: 0
; COMPUTE_PGM_RSRC2:TGID_X_EN: 1
; COMPUTE_PGM_RSRC2:TGID_Y_EN: 1
; COMPUTE_PGM_RSRC2:TGID_Z_EN: 1
; COMPUTE_PGM_RSRC2:TIDIG_COMP_CNT: 1
	.section	.text._ZN9rocsolver6v33100L8set_diagI19rocblas_complex_numIfEiS3_PS3_TnNSt9enable_ifIXoont18rocblas_is_complexIT_E18rocblas_is_complexIT1_EEiE4typeELi0EEEvPS7_llT2_lT0_lSC_b,"axG",@progbits,_ZN9rocsolver6v33100L8set_diagI19rocblas_complex_numIfEiS3_PS3_TnNSt9enable_ifIXoont18rocblas_is_complexIT_E18rocblas_is_complexIT1_EEiE4typeELi0EEEvPS7_llT2_lT0_lSC_b,comdat
	.globl	_ZN9rocsolver6v33100L8set_diagI19rocblas_complex_numIfEiS3_PS3_TnNSt9enable_ifIXoont18rocblas_is_complexIT_E18rocblas_is_complexIT1_EEiE4typeELi0EEEvPS7_llT2_lT0_lSC_b ; -- Begin function _ZN9rocsolver6v33100L8set_diagI19rocblas_complex_numIfEiS3_PS3_TnNSt9enable_ifIXoont18rocblas_is_complexIT_E18rocblas_is_complexIT1_EEiE4typeELi0EEEvPS7_llT2_lT0_lSC_b
	.p2align	8
	.type	_ZN9rocsolver6v33100L8set_diagI19rocblas_complex_numIfEiS3_PS3_TnNSt9enable_ifIXoont18rocblas_is_complexIT_E18rocblas_is_complexIT1_EEiE4typeELi0EEEvPS7_llT2_lT0_lSC_b,@function
_ZN9rocsolver6v33100L8set_diagI19rocblas_complex_numIfEiS3_PS3_TnNSt9enable_ifIXoont18rocblas_is_complexIT_E18rocblas_is_complexIT1_EEiE4typeELi0EEEvPS7_llT2_lT0_lSC_b: ; @_ZN9rocsolver6v33100L8set_diagI19rocblas_complex_numIfEiS3_PS3_TnNSt9enable_ifIXoont18rocblas_is_complexIT_E18rocblas_is_complexIT1_EEiE4typeELi0EEEvPS7_llT2_lT0_lSC_b
; %bb.0:
	s_load_u16 s4, s[0:1], 0x4e
	s_bfe_u32 s2, ttmp6, 0x40010
	s_bfe_u32 s6, ttmp6, 0x40004
	s_add_co_i32 s5, s2, 1
	s_load_b64 s[2:3], s[0:1], 0x38
	s_mul_i32 s5, ttmp7, s5
	s_getreg_b32 s12, hwreg(HW_REG_IB_STS2, 6, 4)
	s_add_co_i32 s6, s6, s5
	v_bfe_u32 v0, v0, 10, 10
	s_cmp_eq_u32 s12, 0
	s_cselect_b32 s5, ttmp7, s6
	s_wait_kmcnt 0x0
	s_delay_alu instid0(VALU_DEP_1) | instskip(NEXT) | instid1(VALU_DEP_1)
	v_mad_u32 v2, s5, s4, v0
	v_cmp_gt_i32_e32 vcc_lo, s2, v2
	s_and_saveexec_b32 s2, vcc_lo
	s_cbranch_execz .LBB86_5
; %bb.1:
	s_clause 0x2
	s_load_b96 s[16:18], s[0:1], 0x20
	s_load_b64 s[14:15], s[0:1], 0x30
	s_load_b256 s[4:11], s[0:1], 0x0
	s_bitcmp1_b32 s3, 0
	s_cselect_b32 s19, -1, 0
	s_wait_xcnt 0x0
	s_bfe_u32 s0, ttmp6, 0x4000c
	s_and_b32 s1, ttmp6, 15
	s_add_co_i32 s0, s0, 1
	s_delay_alu instid0(SALU_CYCLE_1) | instskip(NEXT) | instid1(SALU_CYCLE_1)
	s_mul_i32 s0, ttmp9, s0
	s_add_co_i32 s1, s1, s0
	s_cmp_eq_u32 s12, 0
	s_cselect_b32 s0, ttmp9, s1
	s_and_b32 vcc_lo, exec_lo, s19
	s_ashr_i32 s1, s0, 31
	s_wait_kmcnt 0x0
	v_mad_u32 v0, v2, s18, v2
	s_mul_u64 s[2:3], s[14:15], s[0:1]
	s_lshl_b64 s[12:13], s[16:17], 3
	s_lshl_b64 s[2:3], s[2:3], 3
	s_mul_u64 s[0:1], s[8:9], s[0:1]
	s_add_nc_u64 s[2:3], s[10:11], s[2:3]
	s_lshl_b64 s[0:1], s[0:1], 3
	s_add_nc_u64 s[2:3], s[2:3], s[12:13]
	s_lshl_b64 s[6:7], s[6:7], 3
	s_add_nc_u64 s[0:1], s[4:5], s[0:1]
	s_delay_alu instid0(SALU_CYCLE_1) | instskip(SKIP_3) | instid1(VALU_DEP_1)
	s_add_nc_u64 s[0:1], s[0:1], s[6:7]
	global_load_b64 v[4:5], v0, s[2:3] scale_offset
	v_ashrrev_i32_e32 v1, 31, v0
	s_wait_xcnt 0x0
	v_lshl_add_u64 v[0:1], v[0:1], 3, s[2:3]
	s_wait_loadcnt 0x0
	global_store_b64 v2, v[4:5], s[0:1] scale_offset
	s_cbranch_vccnz .LBB86_3
; %bb.2:
	global_load_b64 v[2:3], v[0:1], off
	s_branch .LBB86_4
.LBB86_3:
	s_wait_xcnt 0x0
	v_dual_mov_b32 v3, 0 :: v_dual_mov_b32 v2, 1.0
.LBB86_4:
	s_wait_loadcnt 0x0
	global_store_b64 v[0:1], v[2:3], off
.LBB86_5:
	s_endpgm
	.section	.rodata,"a",@progbits
	.p2align	6, 0x0
	.amdhsa_kernel _ZN9rocsolver6v33100L8set_diagI19rocblas_complex_numIfEiS3_PS3_TnNSt9enable_ifIXoont18rocblas_is_complexIT_E18rocblas_is_complexIT1_EEiE4typeELi0EEEvPS7_llT2_lT0_lSC_b
		.amdhsa_group_segment_fixed_size 0
		.amdhsa_private_segment_fixed_size 0
		.amdhsa_kernarg_size 320
		.amdhsa_user_sgpr_count 2
		.amdhsa_user_sgpr_dispatch_ptr 0
		.amdhsa_user_sgpr_queue_ptr 0
		.amdhsa_user_sgpr_kernarg_segment_ptr 1
		.amdhsa_user_sgpr_dispatch_id 0
		.amdhsa_user_sgpr_kernarg_preload_length 0
		.amdhsa_user_sgpr_kernarg_preload_offset 0
		.amdhsa_user_sgpr_private_segment_size 0
		.amdhsa_wavefront_size32 1
		.amdhsa_uses_dynamic_stack 0
		.amdhsa_enable_private_segment 0
		.amdhsa_system_sgpr_workgroup_id_x 1
		.amdhsa_system_sgpr_workgroup_id_y 1
		.amdhsa_system_sgpr_workgroup_id_z 0
		.amdhsa_system_sgpr_workgroup_info 0
		.amdhsa_system_vgpr_workitem_id 1
		.amdhsa_next_free_vgpr 6
		.amdhsa_next_free_sgpr 20
		.amdhsa_named_barrier_count 0
		.amdhsa_reserve_vcc 1
		.amdhsa_float_round_mode_32 0
		.amdhsa_float_round_mode_16_64 0
		.amdhsa_float_denorm_mode_32 3
		.amdhsa_float_denorm_mode_16_64 3
		.amdhsa_fp16_overflow 0
		.amdhsa_memory_ordered 1
		.amdhsa_forward_progress 1
		.amdhsa_inst_pref_size 3
		.amdhsa_round_robin_scheduling 0
		.amdhsa_exception_fp_ieee_invalid_op 0
		.amdhsa_exception_fp_denorm_src 0
		.amdhsa_exception_fp_ieee_div_zero 0
		.amdhsa_exception_fp_ieee_overflow 0
		.amdhsa_exception_fp_ieee_underflow 0
		.amdhsa_exception_fp_ieee_inexact 0
		.amdhsa_exception_int_div_zero 0
	.end_amdhsa_kernel
	.section	.text._ZN9rocsolver6v33100L8set_diagI19rocblas_complex_numIfEiS3_PS3_TnNSt9enable_ifIXoont18rocblas_is_complexIT_E18rocblas_is_complexIT1_EEiE4typeELi0EEEvPS7_llT2_lT0_lSC_b,"axG",@progbits,_ZN9rocsolver6v33100L8set_diagI19rocblas_complex_numIfEiS3_PS3_TnNSt9enable_ifIXoont18rocblas_is_complexIT_E18rocblas_is_complexIT1_EEiE4typeELi0EEEvPS7_llT2_lT0_lSC_b,comdat
.Lfunc_end86:
	.size	_ZN9rocsolver6v33100L8set_diagI19rocblas_complex_numIfEiS3_PS3_TnNSt9enable_ifIXoont18rocblas_is_complexIT_E18rocblas_is_complexIT1_EEiE4typeELi0EEEvPS7_llT2_lT0_lSC_b, .Lfunc_end86-_ZN9rocsolver6v33100L8set_diagI19rocblas_complex_numIfEiS3_PS3_TnNSt9enable_ifIXoont18rocblas_is_complexIT_E18rocblas_is_complexIT1_EEiE4typeELi0EEEvPS7_llT2_lT0_lSC_b
                                        ; -- End function
	.set _ZN9rocsolver6v33100L8set_diagI19rocblas_complex_numIfEiS3_PS3_TnNSt9enable_ifIXoont18rocblas_is_complexIT_E18rocblas_is_complexIT1_EEiE4typeELi0EEEvPS7_llT2_lT0_lSC_b.num_vgpr, 6
	.set _ZN9rocsolver6v33100L8set_diagI19rocblas_complex_numIfEiS3_PS3_TnNSt9enable_ifIXoont18rocblas_is_complexIT_E18rocblas_is_complexIT1_EEiE4typeELi0EEEvPS7_llT2_lT0_lSC_b.num_agpr, 0
	.set _ZN9rocsolver6v33100L8set_diagI19rocblas_complex_numIfEiS3_PS3_TnNSt9enable_ifIXoont18rocblas_is_complexIT_E18rocblas_is_complexIT1_EEiE4typeELi0EEEvPS7_llT2_lT0_lSC_b.numbered_sgpr, 20
	.set _ZN9rocsolver6v33100L8set_diagI19rocblas_complex_numIfEiS3_PS3_TnNSt9enable_ifIXoont18rocblas_is_complexIT_E18rocblas_is_complexIT1_EEiE4typeELi0EEEvPS7_llT2_lT0_lSC_b.num_named_barrier, 0
	.set _ZN9rocsolver6v33100L8set_diagI19rocblas_complex_numIfEiS3_PS3_TnNSt9enable_ifIXoont18rocblas_is_complexIT_E18rocblas_is_complexIT1_EEiE4typeELi0EEEvPS7_llT2_lT0_lSC_b.private_seg_size, 0
	.set _ZN9rocsolver6v33100L8set_diagI19rocblas_complex_numIfEiS3_PS3_TnNSt9enable_ifIXoont18rocblas_is_complexIT_E18rocblas_is_complexIT1_EEiE4typeELi0EEEvPS7_llT2_lT0_lSC_b.uses_vcc, 1
	.set _ZN9rocsolver6v33100L8set_diagI19rocblas_complex_numIfEiS3_PS3_TnNSt9enable_ifIXoont18rocblas_is_complexIT_E18rocblas_is_complexIT1_EEiE4typeELi0EEEvPS7_llT2_lT0_lSC_b.uses_flat_scratch, 0
	.set _ZN9rocsolver6v33100L8set_diagI19rocblas_complex_numIfEiS3_PS3_TnNSt9enable_ifIXoont18rocblas_is_complexIT_E18rocblas_is_complexIT1_EEiE4typeELi0EEEvPS7_llT2_lT0_lSC_b.has_dyn_sized_stack, 0
	.set _ZN9rocsolver6v33100L8set_diagI19rocblas_complex_numIfEiS3_PS3_TnNSt9enable_ifIXoont18rocblas_is_complexIT_E18rocblas_is_complexIT1_EEiE4typeELi0EEEvPS7_llT2_lT0_lSC_b.has_recursion, 0
	.set _ZN9rocsolver6v33100L8set_diagI19rocblas_complex_numIfEiS3_PS3_TnNSt9enable_ifIXoont18rocblas_is_complexIT_E18rocblas_is_complexIT1_EEiE4typeELi0EEEvPS7_llT2_lT0_lSC_b.has_indirect_call, 0
	.section	.AMDGPU.csdata,"",@progbits
; Kernel info:
; codeLenInByte = 328
; TotalNumSgprs: 22
; NumVgprs: 6
; ScratchSize: 0
; MemoryBound: 0
; FloatMode: 240
; IeeeMode: 1
; LDSByteSize: 0 bytes/workgroup (compile time only)
; SGPRBlocks: 0
; VGPRBlocks: 0
; NumSGPRsForWavesPerEU: 22
; NumVGPRsForWavesPerEU: 6
; NamedBarCnt: 0
; Occupancy: 16
; WaveLimiterHint : 0
; COMPUTE_PGM_RSRC2:SCRATCH_EN: 0
; COMPUTE_PGM_RSRC2:USER_SGPR: 2
; COMPUTE_PGM_RSRC2:TRAP_HANDLER: 0
; COMPUTE_PGM_RSRC2:TGID_X_EN: 1
; COMPUTE_PGM_RSRC2:TGID_Y_EN: 1
; COMPUTE_PGM_RSRC2:TGID_Z_EN: 0
; COMPUTE_PGM_RSRC2:TIDIG_COMP_CNT: 1
	.section	.text._ZN9rocsolver6v33100L12restore_diagI19rocblas_complex_numIfEiS3_PS3_EEvPT1_llT2_lT0_lS8_,"axG",@progbits,_ZN9rocsolver6v33100L12restore_diagI19rocblas_complex_numIfEiS3_PS3_EEvPT1_llT2_lT0_lS8_,comdat
	.globl	_ZN9rocsolver6v33100L12restore_diagI19rocblas_complex_numIfEiS3_PS3_EEvPT1_llT2_lT0_lS8_ ; -- Begin function _ZN9rocsolver6v33100L12restore_diagI19rocblas_complex_numIfEiS3_PS3_EEvPT1_llT2_lT0_lS8_
	.p2align	8
	.type	_ZN9rocsolver6v33100L12restore_diagI19rocblas_complex_numIfEiS3_PS3_EEvPT1_llT2_lT0_lS8_,@function
_ZN9rocsolver6v33100L12restore_diagI19rocblas_complex_numIfEiS3_PS3_EEvPT1_llT2_lT0_lS8_: ; @_ZN9rocsolver6v33100L12restore_diagI19rocblas_complex_numIfEiS3_PS3_EEvPT1_llT2_lT0_lS8_
; %bb.0:
	s_clause 0x1
	s_load_u16 s3, s[0:1], 0x4e
	s_load_b32 s4, s[0:1], 0x38
	s_bfe_u32 s2, ttmp6, 0x40010
	s_bfe_u32 s5, ttmp6, 0x40004
	s_add_co_i32 s2, s2, 1
	v_bfe_u32 v0, v0, 10, 10
	s_mul_i32 s2, ttmp7, s2
	s_delay_alu instid0(SALU_CYCLE_1) | instskip(SKIP_1) | instid1(SALU_CYCLE_1)
	s_add_co_i32 s5, s5, s2
	s_getreg_b32 s2, hwreg(HW_REG_IB_STS2, 6, 4)
	s_cmp_eq_u32 s2, 0
	s_cselect_b32 s5, ttmp7, s5
	s_wait_kmcnt 0x0
	v_mad_u32 v0, s5, s3, v0
	s_mov_b32 s3, exec_lo
	s_delay_alu instid0(VALU_DEP_1)
	v_cmpx_gt_i32_e64 s4, v0
	s_cbranch_execz .LBB87_2
; %bb.1:
	s_load_b256 s[4:11], s[0:1], 0x0
	s_bfe_u32 s3, ttmp6, 0x4000c
	s_and_b32 s12, ttmp6, 15
	s_add_co_i32 s3, s3, 1
	s_delay_alu instid0(SALU_CYCLE_1) | instskip(NEXT) | instid1(SALU_CYCLE_1)
	s_mul_i32 s3, ttmp9, s3
	s_add_co_i32 s12, s12, s3
	s_cmp_eq_u32 s2, 0
	s_cselect_b32 s2, ttmp9, s12
	s_delay_alu instid0(SALU_CYCLE_1) | instskip(SKIP_4) | instid1(SALU_CYCLE_1)
	s_ashr_i32 s3, s2, 31
	s_wait_kmcnt 0x0
	s_mul_u64 s[8:9], s[8:9], s[2:3]
	s_lshl_b64 s[6:7], s[6:7], 3
	s_lshl_b64 s[8:9], s[8:9], 3
	s_add_nc_u64 s[4:5], s[4:5], s[8:9]
	s_delay_alu instid0(SALU_CYCLE_1)
	s_add_nc_u64 s[4:5], s[4:5], s[6:7]
	global_load_b64 v[2:3], v0, s[4:5] scale_offset
	s_wait_xcnt 0x0
	s_clause 0x1
	s_load_b96 s[4:6], s[0:1], 0x20
	s_load_b64 s[8:9], s[0:1], 0x30
	s_wait_kmcnt 0x0
	v_mad_u32 v0, v0, s6, v0
	s_mul_u64 s[0:1], s[8:9], s[2:3]
	s_lshl_b64 s[2:3], s[4:5], 3
	s_lshl_b64 s[0:1], s[0:1], 3
	s_delay_alu instid0(SALU_CYCLE_1) | instskip(NEXT) | instid1(SALU_CYCLE_1)
	s_add_nc_u64 s[0:1], s[10:11], s[0:1]
	s_add_nc_u64 s[0:1], s[0:1], s[2:3]
	s_wait_loadcnt 0x0
	global_store_b64 v0, v[2:3], s[0:1] scale_offset
.LBB87_2:
	s_endpgm
	.section	.rodata,"a",@progbits
	.p2align	6, 0x0
	.amdhsa_kernel _ZN9rocsolver6v33100L12restore_diagI19rocblas_complex_numIfEiS3_PS3_EEvPT1_llT2_lT0_lS8_
		.amdhsa_group_segment_fixed_size 0
		.amdhsa_private_segment_fixed_size 0
		.amdhsa_kernarg_size 320
		.amdhsa_user_sgpr_count 2
		.amdhsa_user_sgpr_dispatch_ptr 0
		.amdhsa_user_sgpr_queue_ptr 0
		.amdhsa_user_sgpr_kernarg_segment_ptr 1
		.amdhsa_user_sgpr_dispatch_id 0
		.amdhsa_user_sgpr_kernarg_preload_length 0
		.amdhsa_user_sgpr_kernarg_preload_offset 0
		.amdhsa_user_sgpr_private_segment_size 0
		.amdhsa_wavefront_size32 1
		.amdhsa_uses_dynamic_stack 0
		.amdhsa_enable_private_segment 0
		.amdhsa_system_sgpr_workgroup_id_x 1
		.amdhsa_system_sgpr_workgroup_id_y 1
		.amdhsa_system_sgpr_workgroup_id_z 0
		.amdhsa_system_sgpr_workgroup_info 0
		.amdhsa_system_vgpr_workitem_id 1
		.amdhsa_next_free_vgpr 4
		.amdhsa_next_free_sgpr 13
		.amdhsa_named_barrier_count 0
		.amdhsa_reserve_vcc 0
		.amdhsa_float_round_mode_32 0
		.amdhsa_float_round_mode_16_64 0
		.amdhsa_float_denorm_mode_32 3
		.amdhsa_float_denorm_mode_16_64 3
		.amdhsa_fp16_overflow 0
		.amdhsa_memory_ordered 1
		.amdhsa_forward_progress 1
		.amdhsa_inst_pref_size 3
		.amdhsa_round_robin_scheduling 0
		.amdhsa_exception_fp_ieee_invalid_op 0
		.amdhsa_exception_fp_denorm_src 0
		.amdhsa_exception_fp_ieee_div_zero 0
		.amdhsa_exception_fp_ieee_overflow 0
		.amdhsa_exception_fp_ieee_underflow 0
		.amdhsa_exception_fp_ieee_inexact 0
		.amdhsa_exception_int_div_zero 0
	.end_amdhsa_kernel
	.section	.text._ZN9rocsolver6v33100L12restore_diagI19rocblas_complex_numIfEiS3_PS3_EEvPT1_llT2_lT0_lS8_,"axG",@progbits,_ZN9rocsolver6v33100L12restore_diagI19rocblas_complex_numIfEiS3_PS3_EEvPT1_llT2_lT0_lS8_,comdat
.Lfunc_end87:
	.size	_ZN9rocsolver6v33100L12restore_diagI19rocblas_complex_numIfEiS3_PS3_EEvPT1_llT2_lT0_lS8_, .Lfunc_end87-_ZN9rocsolver6v33100L12restore_diagI19rocblas_complex_numIfEiS3_PS3_EEvPT1_llT2_lT0_lS8_
                                        ; -- End function
	.set _ZN9rocsolver6v33100L12restore_diagI19rocblas_complex_numIfEiS3_PS3_EEvPT1_llT2_lT0_lS8_.num_vgpr, 4
	.set _ZN9rocsolver6v33100L12restore_diagI19rocblas_complex_numIfEiS3_PS3_EEvPT1_llT2_lT0_lS8_.num_agpr, 0
	.set _ZN9rocsolver6v33100L12restore_diagI19rocblas_complex_numIfEiS3_PS3_EEvPT1_llT2_lT0_lS8_.numbered_sgpr, 13
	.set _ZN9rocsolver6v33100L12restore_diagI19rocblas_complex_numIfEiS3_PS3_EEvPT1_llT2_lT0_lS8_.num_named_barrier, 0
	.set _ZN9rocsolver6v33100L12restore_diagI19rocblas_complex_numIfEiS3_PS3_EEvPT1_llT2_lT0_lS8_.private_seg_size, 0
	.set _ZN9rocsolver6v33100L12restore_diagI19rocblas_complex_numIfEiS3_PS3_EEvPT1_llT2_lT0_lS8_.uses_vcc, 0
	.set _ZN9rocsolver6v33100L12restore_diagI19rocblas_complex_numIfEiS3_PS3_EEvPT1_llT2_lT0_lS8_.uses_flat_scratch, 0
	.set _ZN9rocsolver6v33100L12restore_diagI19rocblas_complex_numIfEiS3_PS3_EEvPT1_llT2_lT0_lS8_.has_dyn_sized_stack, 0
	.set _ZN9rocsolver6v33100L12restore_diagI19rocblas_complex_numIfEiS3_PS3_EEvPT1_llT2_lT0_lS8_.has_recursion, 0
	.set _ZN9rocsolver6v33100L12restore_diagI19rocblas_complex_numIfEiS3_PS3_EEvPT1_llT2_lT0_lS8_.has_indirect_call, 0
	.section	.AMDGPU.csdata,"",@progbits
; Kernel info:
; codeLenInByte = 276
; TotalNumSgprs: 13
; NumVgprs: 4
; ScratchSize: 0
; MemoryBound: 0
; FloatMode: 240
; IeeeMode: 1
; LDSByteSize: 0 bytes/workgroup (compile time only)
; SGPRBlocks: 0
; VGPRBlocks: 0
; NumSGPRsForWavesPerEU: 13
; NumVGPRsForWavesPerEU: 4
; NamedBarCnt: 0
; Occupancy: 16
; WaveLimiterHint : 0
; COMPUTE_PGM_RSRC2:SCRATCH_EN: 0
; COMPUTE_PGM_RSRC2:USER_SGPR: 2
; COMPUTE_PGM_RSRC2:TRAP_HANDLER: 0
; COMPUTE_PGM_RSRC2:TGID_X_EN: 1
; COMPUTE_PGM_RSRC2:TGID_Y_EN: 1
; COMPUTE_PGM_RSRC2:TGID_Z_EN: 0
; COMPUTE_PGM_RSRC2:TIDIG_COMP_CNT: 1
	.section	.text._ZN9rocsolver6v33100L8set_zeroI19rocblas_complex_numIfEPS3_EEviiT0_iil13rocblas_fill_,"axG",@progbits,_ZN9rocsolver6v33100L8set_zeroI19rocblas_complex_numIfEPS3_EEviiT0_iil13rocblas_fill_,comdat
	.globl	_ZN9rocsolver6v33100L8set_zeroI19rocblas_complex_numIfEPS3_EEviiT0_iil13rocblas_fill_ ; -- Begin function _ZN9rocsolver6v33100L8set_zeroI19rocblas_complex_numIfEPS3_EEviiT0_iil13rocblas_fill_
	.p2align	8
	.type	_ZN9rocsolver6v33100L8set_zeroI19rocblas_complex_numIfEPS3_EEviiT0_iil13rocblas_fill_,@function
_ZN9rocsolver6v33100L8set_zeroI19rocblas_complex_numIfEPS3_EEviiT0_iil13rocblas_fill_: ; @_ZN9rocsolver6v33100L8set_zeroI19rocblas_complex_numIfEPS3_EEviiT0_iil13rocblas_fill_
; %bb.0:
	s_clause 0x1
	s_load_b32 s2, s[0:1], 0x34
	s_load_b64 s[4:5], s[0:1], 0x0
	s_bfe_u32 s7, ttmp6, 0x40010
	s_bfe_u32 s10, ttmp6, 0x4000c
	s_and_b32 s6, ttmp7, 0xffff
	s_add_co_i32 s7, s7, 1
	s_add_co_i32 s10, s10, 1
	s_bfe_u32 s8, ttmp6, 0x40004
	s_and_b32 s9, ttmp6, 15
	s_mul_i32 s7, s6, s7
	s_mul_i32 s10, ttmp9, s10
	s_getreg_b32 s3, hwreg(HW_REG_IB_STS2, 6, 4)
	v_and_b32_e32 v1, 0x3ff, v0
	v_bfe_u32 v2, v0, 10, 10
	s_add_co_i32 s8, s8, s7
	s_add_co_i32 s9, s9, s10
	s_wait_kmcnt 0x0
	s_lshr_b32 s7, s2, 16
	s_and_b32 s2, s2, 0xffff
	s_cmp_eq_u32 s3, 0
	s_cselect_b32 s9, ttmp9, s9
	s_cselect_b32 s6, s6, s8
	v_mad_u32 v0, s9, s2, v1
	v_mad_u32 v1, s6, s7, v2
	s_delay_alu instid0(VALU_DEP_2) | instskip(NEXT) | instid1(VALU_DEP_2)
	v_cmp_gt_u32_e32 vcc_lo, s4, v0
	v_cmp_gt_u32_e64 s2, s5, v1
	s_and_b32 s2, vcc_lo, s2
	s_delay_alu instid0(SALU_CYCLE_1)
	s_and_saveexec_b32 s4, s2
	s_cbranch_execz .LBB88_12
; %bb.1:
	s_load_b32 s4, s[0:1], 0x20
	s_wait_kmcnt 0x0
	s_cmp_lt_i32 s4, 0x7a
	s_cbranch_scc1 .LBB88_4
; %bb.2:
	s_cmp_gt_i32 s4, 0x7a
	s_cbranch_scc0 .LBB88_5
; %bb.3:
	s_cmp_eq_u32 s4, 0x7b
	s_cselect_b32 s2, -1, 0
	s_cbranch_execz .LBB88_6
	s_branch .LBB88_7
.LBB88_4:
	s_mov_b32 s2, 0
	s_cbranch_execnz .LBB88_8
	s_branch .LBB88_10
.LBB88_5:
	s_mov_b32 s2, 0
.LBB88_6:
	v_cmp_gt_u32_e32 vcc_lo, v1, v0
	s_and_not1_b32 s2, s2, exec_lo
	s_and_b32 s5, vcc_lo, exec_lo
	s_delay_alu instid0(SALU_CYCLE_1)
	s_or_b32 s2, s2, s5
.LBB88_7:
	s_branch .LBB88_10
.LBB88_8:
	s_cmp_eq_u32 s4, 0x79
	s_cbranch_scc0 .LBB88_10
; %bb.9:
	v_cmp_gt_u32_e32 vcc_lo, v0, v1
	s_and_not1_b32 s2, s2, exec_lo
	s_and_b32 s4, vcc_lo, exec_lo
	s_delay_alu instid0(SALU_CYCLE_1)
	s_or_b32 s2, s2, s4
.LBB88_10:
	s_delay_alu instid0(SALU_CYCLE_1)
	s_and_b32 exec_lo, exec_lo, s2
	s_cbranch_execz .LBB88_12
; %bb.11:
	s_clause 0x1
	s_load_b128 s[4:7], s[0:1], 0x8
	s_load_b64 s[8:9], s[0:1], 0x18
	s_wait_xcnt 0x0
	s_bfe_u32 s0, ttmp6, 0x40014
	s_lshr_b32 s2, ttmp7, 16
	s_add_co_i32 s0, s0, 1
	s_bfe_u32 s10, ttmp6, 0x40008
	s_mul_i32 s0, s2, s0
	s_mov_b32 s1, 0
	s_add_co_i32 s10, s10, s0
	s_wait_kmcnt 0x0
	s_ashr_i32 s11, s6, 31
	s_cmp_eq_u32 s3, 0
	v_mad_u32 v2, v1, s7, v0
	s_cselect_b32 s0, s2, s10
	v_mov_b64_e32 v[0:1], 0
	s_mul_u64 s[0:1], s[8:9], s[0:1]
	s_mov_b32 s10, s6
	s_lshl_b64 s[0:1], s[0:1], 3
	s_lshl_b64 s[2:3], s[10:11], 3
	s_add_nc_u64 s[0:1], s[4:5], s[0:1]
	s_delay_alu instid0(SALU_CYCLE_1)
	s_add_nc_u64 s[0:1], s[0:1], s[2:3]
	global_store_b64 v2, v[0:1], s[0:1] scale_offset
.LBB88_12:
	s_endpgm
	.section	.rodata,"a",@progbits
	.p2align	6, 0x0
	.amdhsa_kernel _ZN9rocsolver6v33100L8set_zeroI19rocblas_complex_numIfEPS3_EEviiT0_iil13rocblas_fill_
		.amdhsa_group_segment_fixed_size 0
		.amdhsa_private_segment_fixed_size 0
		.amdhsa_kernarg_size 296
		.amdhsa_user_sgpr_count 2
		.amdhsa_user_sgpr_dispatch_ptr 0
		.amdhsa_user_sgpr_queue_ptr 0
		.amdhsa_user_sgpr_kernarg_segment_ptr 1
		.amdhsa_user_sgpr_dispatch_id 0
		.amdhsa_user_sgpr_kernarg_preload_length 0
		.amdhsa_user_sgpr_kernarg_preload_offset 0
		.amdhsa_user_sgpr_private_segment_size 0
		.amdhsa_wavefront_size32 1
		.amdhsa_uses_dynamic_stack 0
		.amdhsa_enable_private_segment 0
		.amdhsa_system_sgpr_workgroup_id_x 1
		.amdhsa_system_sgpr_workgroup_id_y 1
		.amdhsa_system_sgpr_workgroup_id_z 1
		.amdhsa_system_sgpr_workgroup_info 0
		.amdhsa_system_vgpr_workitem_id 1
		.amdhsa_next_free_vgpr 3
		.amdhsa_next_free_sgpr 12
		.amdhsa_named_barrier_count 0
		.amdhsa_reserve_vcc 1
		.amdhsa_float_round_mode_32 0
		.amdhsa_float_round_mode_16_64 0
		.amdhsa_float_denorm_mode_32 3
		.amdhsa_float_denorm_mode_16_64 3
		.amdhsa_fp16_overflow 0
		.amdhsa_memory_ordered 1
		.amdhsa_forward_progress 1
		.amdhsa_inst_pref_size 4
		.amdhsa_round_robin_scheduling 0
		.amdhsa_exception_fp_ieee_invalid_op 0
		.amdhsa_exception_fp_denorm_src 0
		.amdhsa_exception_fp_ieee_div_zero 0
		.amdhsa_exception_fp_ieee_overflow 0
		.amdhsa_exception_fp_ieee_underflow 0
		.amdhsa_exception_fp_ieee_inexact 0
		.amdhsa_exception_int_div_zero 0
	.end_amdhsa_kernel
	.section	.text._ZN9rocsolver6v33100L8set_zeroI19rocblas_complex_numIfEPS3_EEviiT0_iil13rocblas_fill_,"axG",@progbits,_ZN9rocsolver6v33100L8set_zeroI19rocblas_complex_numIfEPS3_EEviiT0_iil13rocblas_fill_,comdat
.Lfunc_end88:
	.size	_ZN9rocsolver6v33100L8set_zeroI19rocblas_complex_numIfEPS3_EEviiT0_iil13rocblas_fill_, .Lfunc_end88-_ZN9rocsolver6v33100L8set_zeroI19rocblas_complex_numIfEPS3_EEviiT0_iil13rocblas_fill_
                                        ; -- End function
	.set _ZN9rocsolver6v33100L8set_zeroI19rocblas_complex_numIfEPS3_EEviiT0_iil13rocblas_fill_.num_vgpr, 3
	.set _ZN9rocsolver6v33100L8set_zeroI19rocblas_complex_numIfEPS3_EEviiT0_iil13rocblas_fill_.num_agpr, 0
	.set _ZN9rocsolver6v33100L8set_zeroI19rocblas_complex_numIfEPS3_EEviiT0_iil13rocblas_fill_.numbered_sgpr, 12
	.set _ZN9rocsolver6v33100L8set_zeroI19rocblas_complex_numIfEPS3_EEviiT0_iil13rocblas_fill_.num_named_barrier, 0
	.set _ZN9rocsolver6v33100L8set_zeroI19rocblas_complex_numIfEPS3_EEviiT0_iil13rocblas_fill_.private_seg_size, 0
	.set _ZN9rocsolver6v33100L8set_zeroI19rocblas_complex_numIfEPS3_EEviiT0_iil13rocblas_fill_.uses_vcc, 1
	.set _ZN9rocsolver6v33100L8set_zeroI19rocblas_complex_numIfEPS3_EEviiT0_iil13rocblas_fill_.uses_flat_scratch, 0
	.set _ZN9rocsolver6v33100L8set_zeroI19rocblas_complex_numIfEPS3_EEviiT0_iil13rocblas_fill_.has_dyn_sized_stack, 0
	.set _ZN9rocsolver6v33100L8set_zeroI19rocblas_complex_numIfEPS3_EEviiT0_iil13rocblas_fill_.has_recursion, 0
	.set _ZN9rocsolver6v33100L8set_zeroI19rocblas_complex_numIfEPS3_EEviiT0_iil13rocblas_fill_.has_indirect_call, 0
	.section	.AMDGPU.csdata,"",@progbits
; Kernel info:
; codeLenInByte = 448
; TotalNumSgprs: 14
; NumVgprs: 3
; ScratchSize: 0
; MemoryBound: 0
; FloatMode: 240
; IeeeMode: 1
; LDSByteSize: 0 bytes/workgroup (compile time only)
; SGPRBlocks: 0
; VGPRBlocks: 0
; NumSGPRsForWavesPerEU: 14
; NumVGPRsForWavesPerEU: 3
; NamedBarCnt: 0
; Occupancy: 16
; WaveLimiterHint : 0
; COMPUTE_PGM_RSRC2:SCRATCH_EN: 0
; COMPUTE_PGM_RSRC2:USER_SGPR: 2
; COMPUTE_PGM_RSRC2:TRAP_HANDLER: 0
; COMPUTE_PGM_RSRC2:TGID_X_EN: 1
; COMPUTE_PGM_RSRC2:TGID_Y_EN: 1
; COMPUTE_PGM_RSRC2:TGID_Z_EN: 1
; COMPUTE_PGM_RSRC2:TIDIG_COMP_CNT: 1
	.section	.text._ZN9rocsolver6v33100L16org2r_init_identI19rocblas_complex_numIfEPS3_EEviiiT0_iil,"axG",@progbits,_ZN9rocsolver6v33100L16org2r_init_identI19rocblas_complex_numIfEPS3_EEviiiT0_iil,comdat
	.globl	_ZN9rocsolver6v33100L16org2r_init_identI19rocblas_complex_numIfEPS3_EEviiiT0_iil ; -- Begin function _ZN9rocsolver6v33100L16org2r_init_identI19rocblas_complex_numIfEPS3_EEviiiT0_iil
	.p2align	8
	.type	_ZN9rocsolver6v33100L16org2r_init_identI19rocblas_complex_numIfEPS3_EEviiiT0_iil,@function
_ZN9rocsolver6v33100L16org2r_init_identI19rocblas_complex_numIfEPS3_EEviiiT0_iil: ; @_ZN9rocsolver6v33100L16org2r_init_identI19rocblas_complex_numIfEPS3_EEviiiT0_iil
; %bb.0:
	s_clause 0x1
	s_load_b32 s2, s[0:1], 0x34
	s_load_b96 s[8:10], s[0:1], 0x0
	s_bfe_u32 s4, ttmp6, 0x4000c
	s_bfe_u32 s6, ttmp6, 0x40010
	s_and_b32 s5, ttmp7, 0xffff
	s_add_co_i32 s4, s4, 1
	s_add_co_i32 s6, s6, 1
	s_and_b32 s3, ttmp6, 15
	s_bfe_u32 s7, ttmp6, 0x40004
	s_mul_i32 s4, ttmp9, s4
	s_mul_i32 s6, s5, s6
	s_getreg_b32 s11, hwreg(HW_REG_IB_STS2, 6, 4)
	v_bfe_u32 v2, v0, 10, 10
	v_and_b32_e32 v0, 0x3ff, v0
	s_add_co_i32 s3, s3, s4
	s_add_co_i32 s7, s7, s6
	s_wait_kmcnt 0x0
	s_lshr_b32 s4, s2, 16
	s_and_b32 s2, s2, 0xffff
	s_cmp_eq_u32 s11, 0
	s_cselect_b32 s3, ttmp9, s3
	s_cselect_b32 s5, s5, s7
	v_mad_u32 v1, s3, s2, v0
	v_mad_u32 v0, s5, s4, v2
	s_mov_b32 s3, 0
	s_delay_alu instid0(VALU_DEP_2) | instskip(NEXT) | instid1(VALU_DEP_2)
	v_cmp_gt_u32_e32 vcc_lo, s8, v1
	v_cmp_gt_u32_e64 s2, s9, v0
	s_and_b32 s2, vcc_lo, s2
	s_delay_alu instid0(SALU_CYCLE_1)
	s_and_saveexec_b32 s4, s2
	s_cbranch_execz .LBB89_11
; %bb.1:
	s_clause 0x1
	s_load_b128 s[4:7], s[0:1], 0x10
	s_load_b64 s[8:9], s[0:1], 0x20
	s_wait_xcnt 0x0
	s_bfe_u32 s0, ttmp6, 0x40014
	s_lshr_b32 s2, ttmp7, 16
	s_add_co_i32 s0, s0, 1
	s_bfe_u32 s1, ttmp6, 0x40008
	s_mul_i32 s0, s2, s0
	s_delay_alu instid0(SALU_CYCLE_1)
	s_add_co_i32 s0, s1, s0
	s_wait_kmcnt 0x0
	s_ashr_i32 s1, s6, 31
	s_cmp_eq_u32 s11, 0
	s_cselect_b32 s2, s2, s0
	s_mov_b32 s0, s6
	s_mul_u64 s[2:3], s[8:9], s[2:3]
	s_lshl_b64 s[0:1], s[0:1], 3
	s_lshl_b64 s[2:3], s[2:3], 3
	s_delay_alu instid0(SALU_CYCLE_1) | instskip(NEXT) | instid1(SALU_CYCLE_1)
	s_add_nc_u64 s[2:3], s[4:5], s[2:3]
	s_add_nc_u64 s[0:1], s[2:3], s[0:1]
	s_mov_b32 s2, exec_lo
	v_cmpx_ne_u32_e64 v1, v0
	s_xor_b32 s2, exec_lo, s2
	s_cbranch_execz .LBB89_9
; %bb.2:
	s_mov_b32 s3, exec_lo
	v_cmpx_le_u32_e64 v0, v1
	s_xor_b32 s3, exec_lo, s3
	s_cbranch_execz .LBB89_6
; %bb.3:
	s_mov_b32 s4, exec_lo
	v_cmpx_le_u32_e64 s10, v0
	s_cbranch_execz .LBB89_5
; %bb.4:
	v_mad_u32 v2, v0, s7, v1
	v_mov_b64_e32 v[0:1], 0
	global_store_b64 v2, v[0:1], s[0:1] scale_offset
.LBB89_5:
	s_wait_xcnt 0x0
	s_or_b32 exec_lo, exec_lo, s4
                                        ; implicit-def: $vgpr0
                                        ; implicit-def: $vgpr1
.LBB89_6:
	s_and_not1_saveexec_b32 s3, s3
	s_cbranch_execz .LBB89_8
; %bb.7:
	v_mad_u32 v2, v0, s7, v1
	v_mov_b64_e32 v[0:1], 0
	global_store_b64 v2, v[0:1], s[0:1] scale_offset
.LBB89_8:
	s_wait_xcnt 0x0
	s_or_b32 exec_lo, exec_lo, s3
                                        ; implicit-def: $vgpr0
.LBB89_9:
	s_and_not1_saveexec_b32 s2, s2
	s_cbranch_execz .LBB89_11
; %bb.10:
	v_mad_u32 v2, v0, s7, v0
	v_mov_b64_e32 v[0:1], 0x3f800000
	global_store_b64 v2, v[0:1], s[0:1] scale_offset
.LBB89_11:
	s_endpgm
	.section	.rodata,"a",@progbits
	.p2align	6, 0x0
	.amdhsa_kernel _ZN9rocsolver6v33100L16org2r_init_identI19rocblas_complex_numIfEPS3_EEviiiT0_iil
		.amdhsa_group_segment_fixed_size 0
		.amdhsa_private_segment_fixed_size 0
		.amdhsa_kernarg_size 296
		.amdhsa_user_sgpr_count 2
		.amdhsa_user_sgpr_dispatch_ptr 0
		.amdhsa_user_sgpr_queue_ptr 0
		.amdhsa_user_sgpr_kernarg_segment_ptr 1
		.amdhsa_user_sgpr_dispatch_id 0
		.amdhsa_user_sgpr_kernarg_preload_length 0
		.amdhsa_user_sgpr_kernarg_preload_offset 0
		.amdhsa_user_sgpr_private_segment_size 0
		.amdhsa_wavefront_size32 1
		.amdhsa_uses_dynamic_stack 0
		.amdhsa_enable_private_segment 0
		.amdhsa_system_sgpr_workgroup_id_x 1
		.amdhsa_system_sgpr_workgroup_id_y 1
		.amdhsa_system_sgpr_workgroup_id_z 1
		.amdhsa_system_sgpr_workgroup_info 0
		.amdhsa_system_vgpr_workitem_id 1
		.amdhsa_next_free_vgpr 3
		.amdhsa_next_free_sgpr 12
		.amdhsa_named_barrier_count 0
		.amdhsa_reserve_vcc 1
		.amdhsa_float_round_mode_32 0
		.amdhsa_float_round_mode_16_64 0
		.amdhsa_float_denorm_mode_32 3
		.amdhsa_float_denorm_mode_16_64 3
		.amdhsa_fp16_overflow 0
		.amdhsa_memory_ordered 1
		.amdhsa_forward_progress 1
		.amdhsa_inst_pref_size 4
		.amdhsa_round_robin_scheduling 0
		.amdhsa_exception_fp_ieee_invalid_op 0
		.amdhsa_exception_fp_denorm_src 0
		.amdhsa_exception_fp_ieee_div_zero 0
		.amdhsa_exception_fp_ieee_overflow 0
		.amdhsa_exception_fp_ieee_underflow 0
		.amdhsa_exception_fp_ieee_inexact 0
		.amdhsa_exception_int_div_zero 0
	.end_amdhsa_kernel
	.section	.text._ZN9rocsolver6v33100L16org2r_init_identI19rocblas_complex_numIfEPS3_EEviiiT0_iil,"axG",@progbits,_ZN9rocsolver6v33100L16org2r_init_identI19rocblas_complex_numIfEPS3_EEviiiT0_iil,comdat
.Lfunc_end89:
	.size	_ZN9rocsolver6v33100L16org2r_init_identI19rocblas_complex_numIfEPS3_EEviiiT0_iil, .Lfunc_end89-_ZN9rocsolver6v33100L16org2r_init_identI19rocblas_complex_numIfEPS3_EEviiiT0_iil
                                        ; -- End function
	.set _ZN9rocsolver6v33100L16org2r_init_identI19rocblas_complex_numIfEPS3_EEviiiT0_iil.num_vgpr, 3
	.set _ZN9rocsolver6v33100L16org2r_init_identI19rocblas_complex_numIfEPS3_EEviiiT0_iil.num_agpr, 0
	.set _ZN9rocsolver6v33100L16org2r_init_identI19rocblas_complex_numIfEPS3_EEviiiT0_iil.numbered_sgpr, 12
	.set _ZN9rocsolver6v33100L16org2r_init_identI19rocblas_complex_numIfEPS3_EEviiiT0_iil.num_named_barrier, 0
	.set _ZN9rocsolver6v33100L16org2r_init_identI19rocblas_complex_numIfEPS3_EEviiiT0_iil.private_seg_size, 0
	.set _ZN9rocsolver6v33100L16org2r_init_identI19rocblas_complex_numIfEPS3_EEviiiT0_iil.uses_vcc, 1
	.set _ZN9rocsolver6v33100L16org2r_init_identI19rocblas_complex_numIfEPS3_EEviiiT0_iil.uses_flat_scratch, 0
	.set _ZN9rocsolver6v33100L16org2r_init_identI19rocblas_complex_numIfEPS3_EEviiiT0_iil.has_dyn_sized_stack, 0
	.set _ZN9rocsolver6v33100L16org2r_init_identI19rocblas_complex_numIfEPS3_EEviiiT0_iil.has_recursion, 0
	.set _ZN9rocsolver6v33100L16org2r_init_identI19rocblas_complex_numIfEPS3_EEviiiT0_iil.has_indirect_call, 0
	.section	.AMDGPU.csdata,"",@progbits
; Kernel info:
; codeLenInByte = 452
; TotalNumSgprs: 14
; NumVgprs: 3
; ScratchSize: 0
; MemoryBound: 0
; FloatMode: 240
; IeeeMode: 1
; LDSByteSize: 0 bytes/workgroup (compile time only)
; SGPRBlocks: 0
; VGPRBlocks: 0
; NumSGPRsForWavesPerEU: 14
; NumVGPRsForWavesPerEU: 3
; NamedBarCnt: 0
; Occupancy: 16
; WaveLimiterHint : 0
; COMPUTE_PGM_RSRC2:SCRATCH_EN: 0
; COMPUTE_PGM_RSRC2:USER_SGPR: 2
; COMPUTE_PGM_RSRC2:TRAP_HANDLER: 0
; COMPUTE_PGM_RSRC2:TGID_X_EN: 1
; COMPUTE_PGM_RSRC2:TGID_Y_EN: 1
; COMPUTE_PGM_RSRC2:TGID_Z_EN: 1
; COMPUTE_PGM_RSRC2:TIDIG_COMP_CNT: 1
	.section	.text._ZN9rocsolver6v33100L12subtract_tauI19rocblas_complex_numIfEPS3_EEviiT0_iilPT_l,"axG",@progbits,_ZN9rocsolver6v33100L12subtract_tauI19rocblas_complex_numIfEPS3_EEviiT0_iilPT_l,comdat
	.globl	_ZN9rocsolver6v33100L12subtract_tauI19rocblas_complex_numIfEPS3_EEviiT0_iilPT_l ; -- Begin function _ZN9rocsolver6v33100L12subtract_tauI19rocblas_complex_numIfEPS3_EEviiT0_iilPT_l
	.p2align	8
	.type	_ZN9rocsolver6v33100L12subtract_tauI19rocblas_complex_numIfEPS3_EEviiT0_iilPT_l,@function
_ZN9rocsolver6v33100L12subtract_tauI19rocblas_complex_numIfEPS3_EEviiT0_iilPT_l: ; @_ZN9rocsolver6v33100L12subtract_tauI19rocblas_complex_numIfEPS3_EEviiT0_iilPT_l
; %bb.0:
	s_clause 0x2
	s_load_b64 s[8:9], s[0:1], 0x10
	s_load_b64 s[2:3], s[0:1], 0x28
	s_load_b128 s[4:7], s[0:1], 0x18
	s_bfe_u32 s10, ttmp6, 0x4000c
	s_and_b32 s11, ttmp6, 15
	s_add_co_i32 s10, s10, 1
	s_getreg_b32 s12, hwreg(HW_REG_IB_STS2, 6, 4)
	s_mul_i32 s10, ttmp9, s10
	s_mov_b32 s13, 0
	s_add_co_i32 s10, s11, s10
	s_wait_kmcnt 0x0
	s_ashr_i32 s11, s8, 31
	s_cmp_eq_u32 s12, 0
	s_cselect_b32 s12, ttmp9, s10
	s_mov_b32 s10, s8
	s_mul_u64 s[14:15], s[2:3], s[12:13]
	s_load_b128 s[0:3], s[0:1], 0x0
	s_lshl_b64 s[14:15], s[14:15], 3
	s_mul_u64 s[4:5], s[4:5], s[12:13]
	s_add_nc_u64 s[6:7], s[6:7], s[14:15]
	s_lshl_b64 s[4:5], s[4:5], 3
	s_load_b64 s[14:15], s[6:7], 0x0
	s_wait_kmcnt 0x0
	s_mul_i32 s1, s9, s1
	s_delay_alu instid0(SALU_CYCLE_1)
	s_add_co_i32 s8, s1, s0
	s_add_nc_u64 s[0:1], s[2:3], s[4:5]
	v_mov_b32_e32 v5, s8
	s_sub_f32 s4, 1.0, s14
	s_xor_b32 s2, s15, 0x80000000
	s_xor_b32 s3, s14, 0x80000000
	s_delay_alu instid0(SALU_CYCLE_1) | instskip(SKIP_3) | instid1(SALU_CYCLE_1)
	v_dual_mov_b32 v4, 0 :: v_dual_mov_b32 v0, s3
	v_dual_mov_b32 v1, s2 :: v_dual_mov_b32 v3, s2
	v_mov_b32_e32 v2, s4
	s_lshl_b64 s[2:3], s[10:11], 3
	s_add_nc_u64 s[0:1], s[0:1], s[2:3]
	global_store_b64 v4, v[0:1], s[6:7]
	global_store_b64 v5, v[2:3], s[0:1] scale_offset
	s_endpgm
	.section	.rodata,"a",@progbits
	.p2align	6, 0x0
	.amdhsa_kernel _ZN9rocsolver6v33100L12subtract_tauI19rocblas_complex_numIfEPS3_EEviiT0_iilPT_l
		.amdhsa_group_segment_fixed_size 0
		.amdhsa_private_segment_fixed_size 0
		.amdhsa_kernarg_size 48
		.amdhsa_user_sgpr_count 2
		.amdhsa_user_sgpr_dispatch_ptr 0
		.amdhsa_user_sgpr_queue_ptr 0
		.amdhsa_user_sgpr_kernarg_segment_ptr 1
		.amdhsa_user_sgpr_dispatch_id 0
		.amdhsa_user_sgpr_kernarg_preload_length 0
		.amdhsa_user_sgpr_kernarg_preload_offset 0
		.amdhsa_user_sgpr_private_segment_size 0
		.amdhsa_wavefront_size32 1
		.amdhsa_uses_dynamic_stack 0
		.amdhsa_enable_private_segment 0
		.amdhsa_system_sgpr_workgroup_id_x 1
		.amdhsa_system_sgpr_workgroup_id_y 0
		.amdhsa_system_sgpr_workgroup_id_z 0
		.amdhsa_system_sgpr_workgroup_info 0
		.amdhsa_system_vgpr_workitem_id 0
		.amdhsa_next_free_vgpr 6
		.amdhsa_next_free_sgpr 16
		.amdhsa_named_barrier_count 0
		.amdhsa_reserve_vcc 0
		.amdhsa_float_round_mode_32 0
		.amdhsa_float_round_mode_16_64 0
		.amdhsa_float_denorm_mode_32 3
		.amdhsa_float_denorm_mode_16_64 3
		.amdhsa_fp16_overflow 0
		.amdhsa_memory_ordered 1
		.amdhsa_forward_progress 1
		.amdhsa_inst_pref_size 2
		.amdhsa_round_robin_scheduling 0
		.amdhsa_exception_fp_ieee_invalid_op 0
		.amdhsa_exception_fp_denorm_src 0
		.amdhsa_exception_fp_ieee_div_zero 0
		.amdhsa_exception_fp_ieee_overflow 0
		.amdhsa_exception_fp_ieee_underflow 0
		.amdhsa_exception_fp_ieee_inexact 0
		.amdhsa_exception_int_div_zero 0
	.end_amdhsa_kernel
	.section	.text._ZN9rocsolver6v33100L12subtract_tauI19rocblas_complex_numIfEPS3_EEviiT0_iilPT_l,"axG",@progbits,_ZN9rocsolver6v33100L12subtract_tauI19rocblas_complex_numIfEPS3_EEviiT0_iilPT_l,comdat
.Lfunc_end90:
	.size	_ZN9rocsolver6v33100L12subtract_tauI19rocblas_complex_numIfEPS3_EEviiT0_iilPT_l, .Lfunc_end90-_ZN9rocsolver6v33100L12subtract_tauI19rocblas_complex_numIfEPS3_EEviiT0_iilPT_l
                                        ; -- End function
	.set _ZN9rocsolver6v33100L12subtract_tauI19rocblas_complex_numIfEPS3_EEviiT0_iilPT_l.num_vgpr, 6
	.set _ZN9rocsolver6v33100L12subtract_tauI19rocblas_complex_numIfEPS3_EEviiT0_iilPT_l.num_agpr, 0
	.set _ZN9rocsolver6v33100L12subtract_tauI19rocblas_complex_numIfEPS3_EEviiT0_iilPT_l.numbered_sgpr, 16
	.set _ZN9rocsolver6v33100L12subtract_tauI19rocblas_complex_numIfEPS3_EEviiT0_iilPT_l.num_named_barrier, 0
	.set _ZN9rocsolver6v33100L12subtract_tauI19rocblas_complex_numIfEPS3_EEviiT0_iilPT_l.private_seg_size, 0
	.set _ZN9rocsolver6v33100L12subtract_tauI19rocblas_complex_numIfEPS3_EEviiT0_iilPT_l.uses_vcc, 0
	.set _ZN9rocsolver6v33100L12subtract_tauI19rocblas_complex_numIfEPS3_EEviiT0_iilPT_l.uses_flat_scratch, 0
	.set _ZN9rocsolver6v33100L12subtract_tauI19rocblas_complex_numIfEPS3_EEviiT0_iilPT_l.has_dyn_sized_stack, 0
	.set _ZN9rocsolver6v33100L12subtract_tauI19rocblas_complex_numIfEPS3_EEviiT0_iilPT_l.has_recursion, 0
	.set _ZN9rocsolver6v33100L12subtract_tauI19rocblas_complex_numIfEPS3_EEviiT0_iilPT_l.has_indirect_call, 0
	.section	.AMDGPU.csdata,"",@progbits
; Kernel info:
; codeLenInByte = 228
; TotalNumSgprs: 16
; NumVgprs: 6
; ScratchSize: 0
; MemoryBound: 0
; FloatMode: 240
; IeeeMode: 1
; LDSByteSize: 0 bytes/workgroup (compile time only)
; SGPRBlocks: 0
; VGPRBlocks: 0
; NumSGPRsForWavesPerEU: 16
; NumVGPRsForWavesPerEU: 6
; NamedBarCnt: 0
; Occupancy: 16
; WaveLimiterHint : 0
; COMPUTE_PGM_RSRC2:SCRATCH_EN: 0
; COMPUTE_PGM_RSRC2:USER_SGPR: 2
; COMPUTE_PGM_RSRC2:TRAP_HANDLER: 0
; COMPUTE_PGM_RSRC2:TGID_X_EN: 1
; COMPUTE_PGM_RSRC2:TGID_Y_EN: 0
; COMPUTE_PGM_RSRC2:TGID_Z_EN: 0
; COMPUTE_PGM_RSRC2:TIDIG_COMP_CNT: 0
	.section	.text._ZN9rocsolver6v33100L6restauI19rocblas_complex_numIfEEEviPT_l,"axG",@progbits,_ZN9rocsolver6v33100L6restauI19rocblas_complex_numIfEEEviPT_l,comdat
	.globl	_ZN9rocsolver6v33100L6restauI19rocblas_complex_numIfEEEviPT_l ; -- Begin function _ZN9rocsolver6v33100L6restauI19rocblas_complex_numIfEEEviPT_l
	.p2align	8
	.type	_ZN9rocsolver6v33100L6restauI19rocblas_complex_numIfEEEviPT_l,@function
_ZN9rocsolver6v33100L6restauI19rocblas_complex_numIfEEEviPT_l: ; @_ZN9rocsolver6v33100L6restauI19rocblas_complex_numIfEEEviPT_l
; %bb.0:
	s_clause 0x1
	s_load_b32 s3, s[0:1], 0x24
	s_load_b32 s4, s[0:1], 0x0
	s_bfe_u32 s2, ttmp6, 0x4000c
	s_and_b32 s5, ttmp6, 15
	s_add_co_i32 s6, s2, 1
	s_getreg_b32 s2, hwreg(HW_REG_IB_STS2, 6, 4)
	s_mul_i32 s6, ttmp9, s6
	s_delay_alu instid0(SALU_CYCLE_1) | instskip(SKIP_4) | instid1(SALU_CYCLE_1)
	s_add_co_i32 s5, s5, s6
	s_wait_kmcnt 0x0
	s_and_b32 s3, s3, 0xffff
	s_cmp_eq_u32 s2, 0
	s_cselect_b32 s5, ttmp9, s5
	v_mad_u32 v0, s5, s3, v0
	s_mov_b32 s3, 0
	s_delay_alu instid0(VALU_DEP_1)
	v_cmp_gt_u32_e32 vcc_lo, s4, v0
	s_and_saveexec_b32 s4, vcc_lo
	s_cbranch_execz .LBB91_2
; %bb.1:
	s_load_b128 s[4:7], s[0:1], 0x8
	s_wait_xcnt 0x0
	s_bfe_u32 s0, ttmp6, 0x40010
	s_bfe_u32 s1, ttmp6, 0x40004
	s_add_co_i32 s0, s0, 1
	s_delay_alu instid0(SALU_CYCLE_1) | instskip(NEXT) | instid1(SALU_CYCLE_1)
	s_mul_i32 s0, ttmp7, s0
	s_add_co_i32 s1, s1, s0
	s_cmp_eq_u32 s2, 0
	s_cselect_b32 s2, ttmp7, s1
	s_wait_kmcnt 0x0
	s_mul_u64 s[0:1], s[6:7], s[2:3]
	s_delay_alu instid0(SALU_CYCLE_1) | instskip(NEXT) | instid1(SALU_CYCLE_1)
	s_lshl_b64 s[0:1], s[0:1], 3
	s_add_nc_u64 s[0:1], s[4:5], s[0:1]
	global_load_b64 v[2:3], v0, s[0:1] scale_offset
	s_wait_loadcnt 0x0
	v_pk_add_f32 v[2:3], v[2:3], 0 neg_lo:[1,1] neg_hi:[1,1]
	global_store_b64 v0, v[2:3], s[0:1] scale_offset
.LBB91_2:
	s_endpgm
	.section	.rodata,"a",@progbits
	.p2align	6, 0x0
	.amdhsa_kernel _ZN9rocsolver6v33100L6restauI19rocblas_complex_numIfEEEviPT_l
		.amdhsa_group_segment_fixed_size 0
		.amdhsa_private_segment_fixed_size 0
		.amdhsa_kernarg_size 280
		.amdhsa_user_sgpr_count 2
		.amdhsa_user_sgpr_dispatch_ptr 0
		.amdhsa_user_sgpr_queue_ptr 0
		.amdhsa_user_sgpr_kernarg_segment_ptr 1
		.amdhsa_user_sgpr_dispatch_id 0
		.amdhsa_user_sgpr_kernarg_preload_length 0
		.amdhsa_user_sgpr_kernarg_preload_offset 0
		.amdhsa_user_sgpr_private_segment_size 0
		.amdhsa_wavefront_size32 1
		.amdhsa_uses_dynamic_stack 0
		.amdhsa_enable_private_segment 0
		.amdhsa_system_sgpr_workgroup_id_x 1
		.amdhsa_system_sgpr_workgroup_id_y 1
		.amdhsa_system_sgpr_workgroup_id_z 0
		.amdhsa_system_sgpr_workgroup_info 0
		.amdhsa_system_vgpr_workitem_id 0
		.amdhsa_next_free_vgpr 4
		.amdhsa_next_free_sgpr 8
		.amdhsa_named_barrier_count 0
		.amdhsa_reserve_vcc 1
		.amdhsa_float_round_mode_32 0
		.amdhsa_float_round_mode_16_64 0
		.amdhsa_float_denorm_mode_32 3
		.amdhsa_float_denorm_mode_16_64 3
		.amdhsa_fp16_overflow 0
		.amdhsa_memory_ordered 1
		.amdhsa_forward_progress 1
		.amdhsa_inst_pref_size 2
		.amdhsa_round_robin_scheduling 0
		.amdhsa_exception_fp_ieee_invalid_op 0
		.amdhsa_exception_fp_denorm_src 0
		.amdhsa_exception_fp_ieee_div_zero 0
		.amdhsa_exception_fp_ieee_overflow 0
		.amdhsa_exception_fp_ieee_underflow 0
		.amdhsa_exception_fp_ieee_inexact 0
		.amdhsa_exception_int_div_zero 0
	.end_amdhsa_kernel
	.section	.text._ZN9rocsolver6v33100L6restauI19rocblas_complex_numIfEEEviPT_l,"axG",@progbits,_ZN9rocsolver6v33100L6restauI19rocblas_complex_numIfEEEviPT_l,comdat
.Lfunc_end91:
	.size	_ZN9rocsolver6v33100L6restauI19rocblas_complex_numIfEEEviPT_l, .Lfunc_end91-_ZN9rocsolver6v33100L6restauI19rocblas_complex_numIfEEEviPT_l
                                        ; -- End function
	.set _ZN9rocsolver6v33100L6restauI19rocblas_complex_numIfEEEviPT_l.num_vgpr, 4
	.set _ZN9rocsolver6v33100L6restauI19rocblas_complex_numIfEEEviPT_l.num_agpr, 0
	.set _ZN9rocsolver6v33100L6restauI19rocblas_complex_numIfEEEviPT_l.numbered_sgpr, 8
	.set _ZN9rocsolver6v33100L6restauI19rocblas_complex_numIfEEEviPT_l.num_named_barrier, 0
	.set _ZN9rocsolver6v33100L6restauI19rocblas_complex_numIfEEEviPT_l.private_seg_size, 0
	.set _ZN9rocsolver6v33100L6restauI19rocblas_complex_numIfEEEviPT_l.uses_vcc, 1
	.set _ZN9rocsolver6v33100L6restauI19rocblas_complex_numIfEEEviPT_l.uses_flat_scratch, 0
	.set _ZN9rocsolver6v33100L6restauI19rocblas_complex_numIfEEEviPT_l.has_dyn_sized_stack, 0
	.set _ZN9rocsolver6v33100L6restauI19rocblas_complex_numIfEEEviPT_l.has_recursion, 0
	.set _ZN9rocsolver6v33100L6restauI19rocblas_complex_numIfEEEviPT_l.has_indirect_call, 0
	.section	.AMDGPU.csdata,"",@progbits
; Kernel info:
; codeLenInByte = 212
; TotalNumSgprs: 10
; NumVgprs: 4
; ScratchSize: 0
; MemoryBound: 0
; FloatMode: 240
; IeeeMode: 1
; LDSByteSize: 0 bytes/workgroup (compile time only)
; SGPRBlocks: 0
; VGPRBlocks: 0
; NumSGPRsForWavesPerEU: 10
; NumVGPRsForWavesPerEU: 4
; NamedBarCnt: 0
; Occupancy: 16
; WaveLimiterHint : 0
; COMPUTE_PGM_RSRC2:SCRATCH_EN: 0
; COMPUTE_PGM_RSRC2:USER_SGPR: 2
; COMPUTE_PGM_RSRC2:TRAP_HANDLER: 0
; COMPUTE_PGM_RSRC2:TGID_X_EN: 1
; COMPUTE_PGM_RSRC2:TGID_Y_EN: 1
; COMPUTE_PGM_RSRC2:TGID_Z_EN: 0
; COMPUTE_PGM_RSRC2:TIDIG_COMP_CNT: 0
	.section	.text._ZN9rocsolver6v33100L15copyshift_rightI19rocblas_complex_numIfEPS3_EEvbiT0_iilPT_iil,"axG",@progbits,_ZN9rocsolver6v33100L15copyshift_rightI19rocblas_complex_numIfEPS3_EEvbiT0_iilPT_iil,comdat
	.globl	_ZN9rocsolver6v33100L15copyshift_rightI19rocblas_complex_numIfEPS3_EEvbiT0_iilPT_iil ; -- Begin function _ZN9rocsolver6v33100L15copyshift_rightI19rocblas_complex_numIfEPS3_EEvbiT0_iilPT_iil
	.p2align	8
	.type	_ZN9rocsolver6v33100L15copyshift_rightI19rocblas_complex_numIfEPS3_EEvbiT0_iilPT_iil,@function
_ZN9rocsolver6v33100L15copyshift_rightI19rocblas_complex_numIfEPS3_EEvbiT0_iilPT_iil: ; @_ZN9rocsolver6v33100L15copyshift_rightI19rocblas_complex_numIfEPS3_EEvbiT0_iilPT_iil
; %bb.0:
	s_clause 0x3
	s_load_b128 s[8:11], s[0:1], 0x0
	s_load_b32 s12, s[0:1], 0x44
	s_load_b64 s[2:3], s[0:1], 0x10
	s_load_b128 s[4:7], s[0:1], 0x18
	s_getreg_b32 s13, hwreg(HW_REG_IB_STS2, 6, 4)
	v_bfe_u32 v1, v0, 10, 10
	v_and_b32_e32 v0, 0x3ff, v0
	s_wait_kmcnt 0x0
	s_bitcmp1_b32 s8, 0
	s_cselect_b32 s8, -1, 0
	s_bfe_u32 s17, ttmp6, 0x40014
	s_bfe_u32 s20, ttmp6, 0x4000c
	;; [unrolled: 1-line block ×3, first 2 shown]
	s_lshr_b32 s16, ttmp7, 16
	s_and_b32 s21, ttmp7, 0xffff
	s_add_co_i32 s17, s17, 1
	s_add_co_i32 s20, s20, 1
	;; [unrolled: 1-line block ×3, first 2 shown]
	s_bfe_u32 s18, ttmp6, 0x40008
	s_and_b32 s19, ttmp6, 15
	s_bfe_u32 s23, ttmp6, 0x40004
	s_mul_i32 s17, s16, s17
	s_mul_i32 s20, ttmp9, s20
	s_mul_i32 s22, s21, s22
	s_and_b32 s14, s12, 0xffff
	s_lshr_b32 s12, s12, 16
	s_ashr_i32 s15, s2, 31
	s_xor_b32 s8, s8, -1
	s_add_co_i32 s18, s18, s17
	s_add_co_i32 s19, s19, s20
	;; [unrolled: 1-line block ×3, first 2 shown]
	s_cmp_eq_u32 s13, 0
	s_cselect_b32 s13, s21, s23
	s_cselect_b32 s17, ttmp9, s19
	v_mad_u32 v3, s13, s12, v1
	v_mad_u32 v2, s17, s14, v0
	s_mov_b32 s13, 0
	s_cselect_b32 s12, s16, s18
	s_mov_b32 s14, s2
	s_mul_u64 s[4:5], s[4:5], s[12:13]
	s_delay_alu instid0(SALU_CYCLE_1) | instskip(NEXT) | instid1(SALU_CYCLE_1)
	s_lshl_b64 s[4:5], s[4:5], 3
	s_add_nc_u64 s[4:5], s[10:11], s[4:5]
	s_lshl_b64 s[10:11], s[14:15], 3
	s_delay_alu instid0(VALU_DEP_1) | instskip(SKIP_1) | instid1(VALU_DEP_1)
	v_or_b32_e32 v0, v2, v3
	s_add_nc_u64 s[4:5], s[4:5], s[10:11]
	v_cmp_eq_u32_e32 vcc_lo, 0, v0
	s_and_b32 s10, s8, vcc_lo
	s_delay_alu instid0(SALU_CYCLE_1)
	s_and_saveexec_b32 s2, s10
	s_cbranch_execz .LBB92_2
; %bb.1:
	v_mov_b64_e32 v[0:1], 0x3f800000
	v_mov_b32_e32 v4, 0
	global_store_b64 v4, v[0:1], s[4:5]
.LBB92_2:
	s_wait_xcnt 0x0
	s_or_b32 exec_lo, exec_lo, s2
	v_max_u32_e32 v0, v3, v2
	v_cmp_le_u32_e64 s2, v3, v2
	s_delay_alu instid0(VALU_DEP_2) | instskip(SKIP_1) | instid1(SALU_CYCLE_1)
	v_cmp_gt_u32_e32 vcc_lo, s9, v0
	s_and_b32 s2, s2, vcc_lo
	s_and_saveexec_b32 s9, s2
	s_cbranch_execz .LBB92_11
; %bb.3:
	s_load_b128 s[16:19], s[0:1], 0x28
	v_mad_u32 v0, v3, v3, v3
	s_and_b32 vcc_lo, exec_lo, s8
	s_mov_b32 s2, -1
	s_delay_alu instid0(VALU_DEP_1)
	v_lshrrev_b32_e32 v0, 1, v0
	s_wait_kmcnt 0x0
	v_mad_u32 v1, v3, s17, v2
	s_mul_u64 s[0:1], s[18:19], s[12:13]
	s_ashr_i32 s11, s16, 31
	s_lshl_b64 s[0:1], s[0:1], 3
	s_mov_b32 s10, s16
	s_add_nc_u64 s[0:1], s[6:7], s[0:1]
	s_lshl_b64 s[6:7], s[10:11], 3
	s_delay_alu instid0(SALU_CYCLE_1) | instskip(NEXT) | instid1(VALU_DEP_1)
	s_add_nc_u64 s[0:1], s[0:1], s[6:7]
	v_sub_nc_u32_e32 v4, v1, v0
	s_cbranch_vccz .LBB92_7
; %bb.4:
	global_load_b64 v[6:7], v4, s[0:1] scale_offset
	v_mul_lo_u32 v0, v3, s3
	s_mov_b32 s2, exec_lo
	s_delay_alu instid0(VALU_DEP_1)
	v_add3_u32 v1, v2, v0, 1
	s_wait_loadcnt 0x0
	global_store_b64 v1, v[6:7], s[4:5] scale_offset
	s_wait_xcnt 0x0
	v_cmpx_eq_u32_e64 v2, v3
	s_cbranch_execz .LBB92_6
; %bb.5:
	v_mov_b64_e32 v[6:7], 0
	v_add_nc_u32_e32 v0, s3, v0
	global_store_b64 v0, v[6:7], s[4:5] scale_offset
.LBB92_6:
	s_wait_xcnt 0x0
	s_or_b32 exec_lo, exec_lo, s2
	s_mov_b32 s2, 0
.LBB92_7:
	s_delay_alu instid0(SALU_CYCLE_1)
	s_and_not1_b32 vcc_lo, exec_lo, s2
	s_cbranch_vccnz .LBB92_11
; %bb.8:
	v_dual_mov_b32 v0, 0 :: v_dual_mov_b32 v1, 0
	s_mov_b32 s2, exec_lo
	v_cmpx_ne_u32_e32 0, v3
	s_cbranch_execz .LBB92_10
; %bb.9:
	v_add_nc_u32_e32 v0, -1, v3
	s_delay_alu instid0(VALU_DEP_1) | instskip(NEXT) | instid1(VALU_DEP_1)
	v_mul_lo_u32 v0, v0, s3
	v_add3_u32 v0, v2, v0, 1
	global_load_b64 v[0:1], v0, s[4:5] scale_offset
.LBB92_10:
	s_wait_xcnt 0x0
	s_or_b32 exec_lo, exec_lo, s2
	s_wait_loadcnt 0x0
	global_store_b64 v4, v[0:1], s[0:1] scale_offset
.LBB92_11:
	s_endpgm
	.section	.rodata,"a",@progbits
	.p2align	6, 0x0
	.amdhsa_kernel _ZN9rocsolver6v33100L15copyshift_rightI19rocblas_complex_numIfEPS3_EEvbiT0_iilPT_iil
		.amdhsa_group_segment_fixed_size 0
		.amdhsa_private_segment_fixed_size 0
		.amdhsa_kernarg_size 312
		.amdhsa_user_sgpr_count 2
		.amdhsa_user_sgpr_dispatch_ptr 0
		.amdhsa_user_sgpr_queue_ptr 0
		.amdhsa_user_sgpr_kernarg_segment_ptr 1
		.amdhsa_user_sgpr_dispatch_id 0
		.amdhsa_user_sgpr_kernarg_preload_length 0
		.amdhsa_user_sgpr_kernarg_preload_offset 0
		.amdhsa_user_sgpr_private_segment_size 0
		.amdhsa_wavefront_size32 1
		.amdhsa_uses_dynamic_stack 0
		.amdhsa_enable_private_segment 0
		.amdhsa_system_sgpr_workgroup_id_x 1
		.amdhsa_system_sgpr_workgroup_id_y 1
		.amdhsa_system_sgpr_workgroup_id_z 1
		.amdhsa_system_sgpr_workgroup_info 0
		.amdhsa_system_vgpr_workitem_id 1
		.amdhsa_next_free_vgpr 8
		.amdhsa_next_free_sgpr 24
		.amdhsa_named_barrier_count 0
		.amdhsa_reserve_vcc 1
		.amdhsa_float_round_mode_32 0
		.amdhsa_float_round_mode_16_64 0
		.amdhsa_float_denorm_mode_32 3
		.amdhsa_float_denorm_mode_16_64 3
		.amdhsa_fp16_overflow 0
		.amdhsa_memory_ordered 1
		.amdhsa_forward_progress 1
		.amdhsa_inst_pref_size 5
		.amdhsa_round_robin_scheduling 0
		.amdhsa_exception_fp_ieee_invalid_op 0
		.amdhsa_exception_fp_denorm_src 0
		.amdhsa_exception_fp_ieee_div_zero 0
		.amdhsa_exception_fp_ieee_overflow 0
		.amdhsa_exception_fp_ieee_underflow 0
		.amdhsa_exception_fp_ieee_inexact 0
		.amdhsa_exception_int_div_zero 0
	.end_amdhsa_kernel
	.section	.text._ZN9rocsolver6v33100L15copyshift_rightI19rocblas_complex_numIfEPS3_EEvbiT0_iilPT_iil,"axG",@progbits,_ZN9rocsolver6v33100L15copyshift_rightI19rocblas_complex_numIfEPS3_EEvbiT0_iilPT_iil,comdat
.Lfunc_end92:
	.size	_ZN9rocsolver6v33100L15copyshift_rightI19rocblas_complex_numIfEPS3_EEvbiT0_iilPT_iil, .Lfunc_end92-_ZN9rocsolver6v33100L15copyshift_rightI19rocblas_complex_numIfEPS3_EEvbiT0_iilPT_iil
                                        ; -- End function
	.set _ZN9rocsolver6v33100L15copyshift_rightI19rocblas_complex_numIfEPS3_EEvbiT0_iilPT_iil.num_vgpr, 8
	.set _ZN9rocsolver6v33100L15copyshift_rightI19rocblas_complex_numIfEPS3_EEvbiT0_iilPT_iil.num_agpr, 0
	.set _ZN9rocsolver6v33100L15copyshift_rightI19rocblas_complex_numIfEPS3_EEvbiT0_iilPT_iil.numbered_sgpr, 24
	.set _ZN9rocsolver6v33100L15copyshift_rightI19rocblas_complex_numIfEPS3_EEvbiT0_iilPT_iil.num_named_barrier, 0
	.set _ZN9rocsolver6v33100L15copyshift_rightI19rocblas_complex_numIfEPS3_EEvbiT0_iilPT_iil.private_seg_size, 0
	.set _ZN9rocsolver6v33100L15copyshift_rightI19rocblas_complex_numIfEPS3_EEvbiT0_iilPT_iil.uses_vcc, 1
	.set _ZN9rocsolver6v33100L15copyshift_rightI19rocblas_complex_numIfEPS3_EEvbiT0_iilPT_iil.uses_flat_scratch, 0
	.set _ZN9rocsolver6v33100L15copyshift_rightI19rocblas_complex_numIfEPS3_EEvbiT0_iilPT_iil.has_dyn_sized_stack, 0
	.set _ZN9rocsolver6v33100L15copyshift_rightI19rocblas_complex_numIfEPS3_EEvbiT0_iilPT_iil.has_recursion, 0
	.set _ZN9rocsolver6v33100L15copyshift_rightI19rocblas_complex_numIfEPS3_EEvbiT0_iilPT_iil.has_indirect_call, 0
	.section	.AMDGPU.csdata,"",@progbits
; Kernel info:
; codeLenInByte = 616
; TotalNumSgprs: 26
; NumVgprs: 8
; ScratchSize: 0
; MemoryBound: 0
; FloatMode: 240
; IeeeMode: 1
; LDSByteSize: 0 bytes/workgroup (compile time only)
; SGPRBlocks: 0
; VGPRBlocks: 0
; NumSGPRsForWavesPerEU: 26
; NumVGPRsForWavesPerEU: 8
; NamedBarCnt: 0
; Occupancy: 16
; WaveLimiterHint : 0
; COMPUTE_PGM_RSRC2:SCRATCH_EN: 0
; COMPUTE_PGM_RSRC2:USER_SGPR: 2
; COMPUTE_PGM_RSRC2:TRAP_HANDLER: 0
; COMPUTE_PGM_RSRC2:TGID_X_EN: 1
; COMPUTE_PGM_RSRC2:TGID_Y_EN: 1
; COMPUTE_PGM_RSRC2:TGID_Z_EN: 1
; COMPUTE_PGM_RSRC2:TIDIG_COMP_CNT: 1
	.section	.text._ZN9rocsolver6v33100L16orgl2_init_identI19rocblas_complex_numIfEPS3_EEviiiT0_iil,"axG",@progbits,_ZN9rocsolver6v33100L16orgl2_init_identI19rocblas_complex_numIfEPS3_EEviiiT0_iil,comdat
	.globl	_ZN9rocsolver6v33100L16orgl2_init_identI19rocblas_complex_numIfEPS3_EEviiiT0_iil ; -- Begin function _ZN9rocsolver6v33100L16orgl2_init_identI19rocblas_complex_numIfEPS3_EEviiiT0_iil
	.p2align	8
	.type	_ZN9rocsolver6v33100L16orgl2_init_identI19rocblas_complex_numIfEPS3_EEviiiT0_iil,@function
_ZN9rocsolver6v33100L16orgl2_init_identI19rocblas_complex_numIfEPS3_EEviiiT0_iil: ; @_ZN9rocsolver6v33100L16orgl2_init_identI19rocblas_complex_numIfEPS3_EEviiiT0_iil
; %bb.0:
	s_clause 0x1
	s_load_b32 s2, s[0:1], 0x34
	s_load_b96 s[8:10], s[0:1], 0x0
	s_bfe_u32 s4, ttmp6, 0x4000c
	s_bfe_u32 s6, ttmp6, 0x40010
	s_and_b32 s5, ttmp7, 0xffff
	s_add_co_i32 s4, s4, 1
	s_add_co_i32 s6, s6, 1
	s_and_b32 s3, ttmp6, 15
	s_bfe_u32 s7, ttmp6, 0x40004
	s_mul_i32 s4, ttmp9, s4
	s_mul_i32 s6, s5, s6
	s_getreg_b32 s11, hwreg(HW_REG_IB_STS2, 6, 4)
	v_bfe_u32 v2, v0, 10, 10
	v_and_b32_e32 v0, 0x3ff, v0
	s_add_co_i32 s3, s3, s4
	s_add_co_i32 s7, s7, s6
	s_wait_kmcnt 0x0
	s_lshr_b32 s4, s2, 16
	s_and_b32 s2, s2, 0xffff
	s_cmp_eq_u32 s11, 0
	s_cselect_b32 s3, ttmp9, s3
	s_cselect_b32 s5, s5, s7
	v_mad_u32 v1, s3, s2, v0
	v_mad_u32 v0, s5, s4, v2
	s_mov_b32 s3, 0
	s_delay_alu instid0(VALU_DEP_2) | instskip(NEXT) | instid1(VALU_DEP_2)
	v_cmp_gt_u32_e32 vcc_lo, s8, v1
	v_cmp_gt_u32_e64 s2, s9, v0
	s_and_b32 s2, vcc_lo, s2
	s_delay_alu instid0(SALU_CYCLE_1)
	s_and_saveexec_b32 s4, s2
	s_cbranch_execz .LBB93_11
; %bb.1:
	s_clause 0x1
	s_load_b128 s[4:7], s[0:1], 0x10
	s_load_b64 s[8:9], s[0:1], 0x20
	s_wait_xcnt 0x0
	s_bfe_u32 s0, ttmp6, 0x40014
	s_lshr_b32 s2, ttmp7, 16
	s_add_co_i32 s0, s0, 1
	s_bfe_u32 s1, ttmp6, 0x40008
	s_mul_i32 s0, s2, s0
	s_delay_alu instid0(SALU_CYCLE_1)
	s_add_co_i32 s0, s1, s0
	s_wait_kmcnt 0x0
	s_ashr_i32 s1, s6, 31
	s_cmp_eq_u32 s11, 0
	s_cselect_b32 s2, s2, s0
	s_mov_b32 s0, s6
	s_mul_u64 s[2:3], s[8:9], s[2:3]
	s_lshl_b64 s[0:1], s[0:1], 3
	s_lshl_b64 s[2:3], s[2:3], 3
	s_delay_alu instid0(SALU_CYCLE_1) | instskip(NEXT) | instid1(SALU_CYCLE_1)
	s_add_nc_u64 s[2:3], s[4:5], s[2:3]
	s_add_nc_u64 s[0:1], s[2:3], s[0:1]
	s_mov_b32 s2, exec_lo
	v_cmpx_ne_u32_e64 v1, v0
	s_xor_b32 s2, exec_lo, s2
	s_cbranch_execz .LBB93_9
; %bb.2:
	s_mov_b32 s3, exec_lo
	v_cmpx_ge_u32_e64 v0, v1
	s_xor_b32 s3, exec_lo, s3
	s_cbranch_execz .LBB93_6
; %bb.3:
	s_mov_b32 s4, exec_lo
	v_cmpx_le_u32_e64 s10, v1
	s_cbranch_execz .LBB93_5
; %bb.4:
	v_mad_u32 v2, v0, s7, v1
	v_mov_b64_e32 v[0:1], 0
	global_store_b64 v2, v[0:1], s[0:1] scale_offset
.LBB93_5:
	s_wait_xcnt 0x0
	s_or_b32 exec_lo, exec_lo, s4
                                        ; implicit-def: $vgpr0
                                        ; implicit-def: $vgpr1
.LBB93_6:
	s_and_not1_saveexec_b32 s3, s3
	s_cbranch_execz .LBB93_8
; %bb.7:
	v_mad_u32 v2, v0, s7, v1
	v_mov_b64_e32 v[0:1], 0
	global_store_b64 v2, v[0:1], s[0:1] scale_offset
.LBB93_8:
	s_wait_xcnt 0x0
	s_or_b32 exec_lo, exec_lo, s3
                                        ; implicit-def: $vgpr0
.LBB93_9:
	s_and_not1_saveexec_b32 s2, s2
	s_cbranch_execz .LBB93_11
; %bb.10:
	v_mad_u32 v2, v0, s7, v0
	v_mov_b64_e32 v[0:1], 0x3f800000
	global_store_b64 v2, v[0:1], s[0:1] scale_offset
.LBB93_11:
	s_endpgm
	.section	.rodata,"a",@progbits
	.p2align	6, 0x0
	.amdhsa_kernel _ZN9rocsolver6v33100L16orgl2_init_identI19rocblas_complex_numIfEPS3_EEviiiT0_iil
		.amdhsa_group_segment_fixed_size 0
		.amdhsa_private_segment_fixed_size 0
		.amdhsa_kernarg_size 296
		.amdhsa_user_sgpr_count 2
		.amdhsa_user_sgpr_dispatch_ptr 0
		.amdhsa_user_sgpr_queue_ptr 0
		.amdhsa_user_sgpr_kernarg_segment_ptr 1
		.amdhsa_user_sgpr_dispatch_id 0
		.amdhsa_user_sgpr_kernarg_preload_length 0
		.amdhsa_user_sgpr_kernarg_preload_offset 0
		.amdhsa_user_sgpr_private_segment_size 0
		.amdhsa_wavefront_size32 1
		.amdhsa_uses_dynamic_stack 0
		.amdhsa_enable_private_segment 0
		.amdhsa_system_sgpr_workgroup_id_x 1
		.amdhsa_system_sgpr_workgroup_id_y 1
		.amdhsa_system_sgpr_workgroup_id_z 1
		.amdhsa_system_sgpr_workgroup_info 0
		.amdhsa_system_vgpr_workitem_id 1
		.amdhsa_next_free_vgpr 3
		.amdhsa_next_free_sgpr 12
		.amdhsa_named_barrier_count 0
		.amdhsa_reserve_vcc 1
		.amdhsa_float_round_mode_32 0
		.amdhsa_float_round_mode_16_64 0
		.amdhsa_float_denorm_mode_32 3
		.amdhsa_float_denorm_mode_16_64 3
		.amdhsa_fp16_overflow 0
		.amdhsa_memory_ordered 1
		.amdhsa_forward_progress 1
		.amdhsa_inst_pref_size 4
		.amdhsa_round_robin_scheduling 0
		.amdhsa_exception_fp_ieee_invalid_op 0
		.amdhsa_exception_fp_denorm_src 0
		.amdhsa_exception_fp_ieee_div_zero 0
		.amdhsa_exception_fp_ieee_overflow 0
		.amdhsa_exception_fp_ieee_underflow 0
		.amdhsa_exception_fp_ieee_inexact 0
		.amdhsa_exception_int_div_zero 0
	.end_amdhsa_kernel
	.section	.text._ZN9rocsolver6v33100L16orgl2_init_identI19rocblas_complex_numIfEPS3_EEviiiT0_iil,"axG",@progbits,_ZN9rocsolver6v33100L16orgl2_init_identI19rocblas_complex_numIfEPS3_EEviiiT0_iil,comdat
.Lfunc_end93:
	.size	_ZN9rocsolver6v33100L16orgl2_init_identI19rocblas_complex_numIfEPS3_EEviiiT0_iil, .Lfunc_end93-_ZN9rocsolver6v33100L16orgl2_init_identI19rocblas_complex_numIfEPS3_EEviiiT0_iil
                                        ; -- End function
	.set _ZN9rocsolver6v33100L16orgl2_init_identI19rocblas_complex_numIfEPS3_EEviiiT0_iil.num_vgpr, 3
	.set _ZN9rocsolver6v33100L16orgl2_init_identI19rocblas_complex_numIfEPS3_EEviiiT0_iil.num_agpr, 0
	.set _ZN9rocsolver6v33100L16orgl2_init_identI19rocblas_complex_numIfEPS3_EEviiiT0_iil.numbered_sgpr, 12
	.set _ZN9rocsolver6v33100L16orgl2_init_identI19rocblas_complex_numIfEPS3_EEviiiT0_iil.num_named_barrier, 0
	.set _ZN9rocsolver6v33100L16orgl2_init_identI19rocblas_complex_numIfEPS3_EEviiiT0_iil.private_seg_size, 0
	.set _ZN9rocsolver6v33100L16orgl2_init_identI19rocblas_complex_numIfEPS3_EEviiiT0_iil.uses_vcc, 1
	.set _ZN9rocsolver6v33100L16orgl2_init_identI19rocblas_complex_numIfEPS3_EEviiiT0_iil.uses_flat_scratch, 0
	.set _ZN9rocsolver6v33100L16orgl2_init_identI19rocblas_complex_numIfEPS3_EEviiiT0_iil.has_dyn_sized_stack, 0
	.set _ZN9rocsolver6v33100L16orgl2_init_identI19rocblas_complex_numIfEPS3_EEviiiT0_iil.has_recursion, 0
	.set _ZN9rocsolver6v33100L16orgl2_init_identI19rocblas_complex_numIfEPS3_EEviiiT0_iil.has_indirect_call, 0
	.section	.AMDGPU.csdata,"",@progbits
; Kernel info:
; codeLenInByte = 452
; TotalNumSgprs: 14
; NumVgprs: 3
; ScratchSize: 0
; MemoryBound: 0
; FloatMode: 240
; IeeeMode: 1
; LDSByteSize: 0 bytes/workgroup (compile time only)
; SGPRBlocks: 0
; VGPRBlocks: 0
; NumSGPRsForWavesPerEU: 14
; NumVGPRsForWavesPerEU: 3
; NamedBarCnt: 0
; Occupancy: 16
; WaveLimiterHint : 0
; COMPUTE_PGM_RSRC2:SCRATCH_EN: 0
; COMPUTE_PGM_RSRC2:USER_SGPR: 2
; COMPUTE_PGM_RSRC2:TRAP_HANDLER: 0
; COMPUTE_PGM_RSRC2:TGID_X_EN: 1
; COMPUTE_PGM_RSRC2:TGID_Y_EN: 1
; COMPUTE_PGM_RSRC2:TGID_Z_EN: 1
; COMPUTE_PGM_RSRC2:TIDIG_COMP_CNT: 1
	.section	.text._ZN9rocsolver6v33100L14copyshift_downI19rocblas_complex_numIfEPS3_EEvbiT0_iilPT_iil,"axG",@progbits,_ZN9rocsolver6v33100L14copyshift_downI19rocblas_complex_numIfEPS3_EEvbiT0_iilPT_iil,comdat
	.globl	_ZN9rocsolver6v33100L14copyshift_downI19rocblas_complex_numIfEPS3_EEvbiT0_iilPT_iil ; -- Begin function _ZN9rocsolver6v33100L14copyshift_downI19rocblas_complex_numIfEPS3_EEvbiT0_iilPT_iil
	.p2align	8
	.type	_ZN9rocsolver6v33100L14copyshift_downI19rocblas_complex_numIfEPS3_EEvbiT0_iilPT_iil,@function
_ZN9rocsolver6v33100L14copyshift_downI19rocblas_complex_numIfEPS3_EEvbiT0_iilPT_iil: ; @_ZN9rocsolver6v33100L14copyshift_downI19rocblas_complex_numIfEPS3_EEvbiT0_iilPT_iil
; %bb.0:
	s_clause 0x3
	s_load_b128 s[8:11], s[0:1], 0x0
	s_load_b32 s12, s[0:1], 0x44
	s_load_b64 s[2:3], s[0:1], 0x10
	s_load_b128 s[4:7], s[0:1], 0x18
	s_getreg_b32 s13, hwreg(HW_REG_IB_STS2, 6, 4)
	v_and_b32_e32 v1, 0x3ff, v0
	v_bfe_u32 v0, v0, 10, 10
	s_wait_kmcnt 0x0
	s_bitcmp1_b32 s8, 0
	s_cselect_b32 s8, -1, 0
	s_bfe_u32 s17, ttmp6, 0x40014
	s_bfe_u32 s20, ttmp6, 0x40010
	;; [unrolled: 1-line block ×3, first 2 shown]
	s_lshr_b32 s16, ttmp7, 16
	s_and_b32 s19, ttmp7, 0xffff
	s_add_co_i32 s17, s17, 1
	s_add_co_i32 s20, s20, 1
	;; [unrolled: 1-line block ×3, first 2 shown]
	s_bfe_u32 s18, ttmp6, 0x40008
	s_bfe_u32 s21, ttmp6, 0x40004
	s_and_b32 s22, ttmp6, 15
	s_mul_i32 s17, s16, s17
	s_mul_i32 s20, s19, s20
	s_mul_i32 s23, ttmp9, s23
	s_lshr_b32 s14, s12, 16
	s_and_b32 s12, s12, 0xffff
	s_ashr_i32 s15, s2, 31
	s_xor_b32 s8, s8, -1
	s_add_co_i32 s18, s18, s17
	s_add_co_i32 s21, s21, s20
	s_add_co_i32 s22, s22, s23
	s_cmp_eq_u32 s13, 0
	s_cselect_b32 s13, ttmp9, s22
	s_cselect_b32 s17, s19, s21
	v_mad_u32 v2, s13, s12, v1
	v_mad_u32 v0, s17, s14, v0
	s_mov_b32 s13, 0
	s_cselect_b32 s12, s16, s18
	s_mov_b32 s14, s2
	s_mul_u64 s[4:5], s[4:5], s[12:13]
	s_delay_alu instid0(SALU_CYCLE_1) | instskip(NEXT) | instid1(SALU_CYCLE_1)
	s_lshl_b64 s[4:5], s[4:5], 3
	s_add_nc_u64 s[4:5], s[10:11], s[4:5]
	s_lshl_b64 s[10:11], s[14:15], 3
	s_delay_alu instid0(VALU_DEP_1) | instskip(SKIP_1) | instid1(VALU_DEP_1)
	v_or_b32_e32 v1, v2, v0
	s_add_nc_u64 s[4:5], s[4:5], s[10:11]
	v_cmp_eq_u32_e32 vcc_lo, 0, v1
	s_and_b32 s10, s8, vcc_lo
	s_delay_alu instid0(SALU_CYCLE_1)
	s_and_saveexec_b32 s2, s10
	s_cbranch_execz .LBB94_2
; %bb.1:
	v_mov_b64_e32 v[4:5], 0x3f800000
	v_mov_b32_e32 v1, 0
	global_store_b64 v1, v[4:5], s[4:5]
.LBB94_2:
	s_wait_xcnt 0x0
	s_or_b32 exec_lo, exec_lo, s2
	v_max_u32_e32 v1, v0, v2
	v_cmp_le_u32_e64 s2, v2, v0
	s_delay_alu instid0(VALU_DEP_2) | instskip(SKIP_1) | instid1(SALU_CYCLE_1)
	v_cmp_gt_u32_e32 vcc_lo, s9, v1
	s_and_b32 s2, s2, vcc_lo
	s_and_saveexec_b32 s9, s2
	s_cbranch_execz .LBB94_11
; %bb.3:
	s_clause 0x1
	s_load_b64 s[10:11], s[0:1], 0x30
	s_load_b32 s14, s[0:1], 0x28
	v_add_nc_u32_e32 v4, 1, v0
	s_and_b32 vcc_lo, exec_lo, s8
	s_mov_b32 s2, -1
	s_delay_alu instid0(VALU_DEP_1) | instskip(NEXT) | instid1(VALU_DEP_1)
	v_mul_lo_u32 v1, v4, v0
	v_lshrrev_b32_e32 v1, 1, v1
	s_wait_kmcnt 0x0
	s_mul_u64 s[0:1], s[10:11], s[12:13]
	s_ashr_i32 s15, s14, 31
	s_lshl_b64 s[0:1], s[0:1], 3
	v_add_nc_u32_e32 v3, v2, v1
	s_lshl_b64 s[8:9], s[14:15], 3
	s_add_nc_u64 s[0:1], s[6:7], s[0:1]
	s_delay_alu instid0(SALU_CYCLE_1)
	s_add_nc_u64 s[0:1], s[0:1], s[8:9]
	s_cbranch_vccz .LBB94_7
; %bb.4:
	global_load_b64 v[6:7], v3, s[0:1] scale_offset
	v_mad_u32 v1, v4, s3, v2
	s_mov_b32 s2, exec_lo
	s_wait_loadcnt 0x0
	global_store_b64 v1, v[6:7], s[4:5] scale_offset
	s_wait_xcnt 0x0
	v_cmpx_eq_u32_e64 v2, v0
	s_cbranch_execz .LBB94_6
; %bb.5:
	v_mov_b64_e32 v[0:1], 0
	global_store_b64 v2, v[0:1], s[4:5] offset:8 scale_offset
.LBB94_6:
	s_wait_xcnt 0x0
	s_or_b32 exec_lo, exec_lo, s2
	s_mov_b32 s2, 0
.LBB94_7:
	s_delay_alu instid0(SALU_CYCLE_1)
	s_and_not1_b32 vcc_lo, exec_lo, s2
	s_cbranch_vccnz .LBB94_11
; %bb.8:
	v_dual_mov_b32 v0, 0 :: v_dual_mov_b32 v1, 0
	s_mov_b32 s2, exec_lo
	v_cmpx_ne_u32_e32 0, v2
	s_cbranch_execz .LBB94_10
; %bb.9:
	v_mul_lo_u32 v0, v4, s3
	s_delay_alu instid0(VALU_DEP_1)
	v_add3_u32 v0, v2, v0, -1
	global_load_b64 v[0:1], v0, s[4:5] scale_offset
.LBB94_10:
	s_wait_xcnt 0x0
	s_or_b32 exec_lo, exec_lo, s2
	s_wait_loadcnt 0x0
	global_store_b64 v3, v[0:1], s[0:1] scale_offset
.LBB94_11:
	s_endpgm
	.section	.rodata,"a",@progbits
	.p2align	6, 0x0
	.amdhsa_kernel _ZN9rocsolver6v33100L14copyshift_downI19rocblas_complex_numIfEPS3_EEvbiT0_iilPT_iil
		.amdhsa_group_segment_fixed_size 0
		.amdhsa_private_segment_fixed_size 0
		.amdhsa_kernarg_size 312
		.amdhsa_user_sgpr_count 2
		.amdhsa_user_sgpr_dispatch_ptr 0
		.amdhsa_user_sgpr_queue_ptr 0
		.amdhsa_user_sgpr_kernarg_segment_ptr 1
		.amdhsa_user_sgpr_dispatch_id 0
		.amdhsa_user_sgpr_kernarg_preload_length 0
		.amdhsa_user_sgpr_kernarg_preload_offset 0
		.amdhsa_user_sgpr_private_segment_size 0
		.amdhsa_wavefront_size32 1
		.amdhsa_uses_dynamic_stack 0
		.amdhsa_enable_private_segment 0
		.amdhsa_system_sgpr_workgroup_id_x 1
		.amdhsa_system_sgpr_workgroup_id_y 1
		.amdhsa_system_sgpr_workgroup_id_z 1
		.amdhsa_system_sgpr_workgroup_info 0
		.amdhsa_system_vgpr_workitem_id 1
		.amdhsa_next_free_vgpr 8
		.amdhsa_next_free_sgpr 24
		.amdhsa_named_barrier_count 0
		.amdhsa_reserve_vcc 1
		.amdhsa_float_round_mode_32 0
		.amdhsa_float_round_mode_16_64 0
		.amdhsa_float_denorm_mode_32 3
		.amdhsa_float_denorm_mode_16_64 3
		.amdhsa_fp16_overflow 0
		.amdhsa_memory_ordered 1
		.amdhsa_forward_progress 1
		.amdhsa_inst_pref_size 5
		.amdhsa_round_robin_scheduling 0
		.amdhsa_exception_fp_ieee_invalid_op 0
		.amdhsa_exception_fp_denorm_src 0
		.amdhsa_exception_fp_ieee_div_zero 0
		.amdhsa_exception_fp_ieee_overflow 0
		.amdhsa_exception_fp_ieee_underflow 0
		.amdhsa_exception_fp_ieee_inexact 0
		.amdhsa_exception_int_div_zero 0
	.end_amdhsa_kernel
	.section	.text._ZN9rocsolver6v33100L14copyshift_downI19rocblas_complex_numIfEPS3_EEvbiT0_iilPT_iil,"axG",@progbits,_ZN9rocsolver6v33100L14copyshift_downI19rocblas_complex_numIfEPS3_EEvbiT0_iilPT_iil,comdat
.Lfunc_end94:
	.size	_ZN9rocsolver6v33100L14copyshift_downI19rocblas_complex_numIfEPS3_EEvbiT0_iilPT_iil, .Lfunc_end94-_ZN9rocsolver6v33100L14copyshift_downI19rocblas_complex_numIfEPS3_EEvbiT0_iilPT_iil
                                        ; -- End function
	.set _ZN9rocsolver6v33100L14copyshift_downI19rocblas_complex_numIfEPS3_EEvbiT0_iilPT_iil.num_vgpr, 8
	.set _ZN9rocsolver6v33100L14copyshift_downI19rocblas_complex_numIfEPS3_EEvbiT0_iilPT_iil.num_agpr, 0
	.set _ZN9rocsolver6v33100L14copyshift_downI19rocblas_complex_numIfEPS3_EEvbiT0_iilPT_iil.numbered_sgpr, 24
	.set _ZN9rocsolver6v33100L14copyshift_downI19rocblas_complex_numIfEPS3_EEvbiT0_iilPT_iil.num_named_barrier, 0
	.set _ZN9rocsolver6v33100L14copyshift_downI19rocblas_complex_numIfEPS3_EEvbiT0_iilPT_iil.private_seg_size, 0
	.set _ZN9rocsolver6v33100L14copyshift_downI19rocblas_complex_numIfEPS3_EEvbiT0_iilPT_iil.uses_vcc, 1
	.set _ZN9rocsolver6v33100L14copyshift_downI19rocblas_complex_numIfEPS3_EEvbiT0_iilPT_iil.uses_flat_scratch, 0
	.set _ZN9rocsolver6v33100L14copyshift_downI19rocblas_complex_numIfEPS3_EEvbiT0_iilPT_iil.has_dyn_sized_stack, 0
	.set _ZN9rocsolver6v33100L14copyshift_downI19rocblas_complex_numIfEPS3_EEvbiT0_iilPT_iil.has_recursion, 0
	.set _ZN9rocsolver6v33100L14copyshift_downI19rocblas_complex_numIfEPS3_EEvbiT0_iilPT_iil.has_indirect_call, 0
	.section	.AMDGPU.csdata,"",@progbits
; Kernel info:
; codeLenInByte = 600
; TotalNumSgprs: 26
; NumVgprs: 8
; ScratchSize: 0
; MemoryBound: 0
; FloatMode: 240
; IeeeMode: 1
; LDSByteSize: 0 bytes/workgroup (compile time only)
; SGPRBlocks: 0
; VGPRBlocks: 0
; NumSGPRsForWavesPerEU: 26
; NumVGPRsForWavesPerEU: 8
; NamedBarCnt: 0
; Occupancy: 16
; WaveLimiterHint : 0
; COMPUTE_PGM_RSRC2:SCRATCH_EN: 0
; COMPUTE_PGM_RSRC2:USER_SGPR: 2
; COMPUTE_PGM_RSRC2:TRAP_HANDLER: 0
; COMPUTE_PGM_RSRC2:TGID_X_EN: 1
; COMPUTE_PGM_RSRC2:TGID_Y_EN: 1
; COMPUTE_PGM_RSRC2:TGID_Z_EN: 1
; COMPUTE_PGM_RSRC2:TIDIG_COMP_CNT: 1
	.section	.text._ZN9rocsolver6v33100L10bdsqr_initI19rocblas_complex_numIfEfEEviPT0_lS5_lPiiS4_S4_S6_S5_lS6_,"axG",@progbits,_ZN9rocsolver6v33100L10bdsqr_initI19rocblas_complex_numIfEfEEviPT0_lS5_lPiiS4_S4_S6_S5_lS6_,comdat
	.globl	_ZN9rocsolver6v33100L10bdsqr_initI19rocblas_complex_numIfEfEEviPT0_lS5_lPiiS4_S4_S6_S5_lS6_ ; -- Begin function _ZN9rocsolver6v33100L10bdsqr_initI19rocblas_complex_numIfEfEEviPT0_lS5_lPiiS4_S4_S6_S5_lS6_
	.p2align	8
	.type	_ZN9rocsolver6v33100L10bdsqr_initI19rocblas_complex_numIfEfEEviPT0_lS5_lPiiS4_S4_S6_S5_lS6_,@function
_ZN9rocsolver6v33100L10bdsqr_initI19rocblas_complex_numIfEfEEviPT0_lS5_lPiiS4_S4_S6_S5_lS6_: ; @_ZN9rocsolver6v33100L10bdsqr_initI19rocblas_complex_numIfEfEEviPT0_lS5_lPiiS4_S4_S6_S5_lS6_
; %bb.0:
	s_clause 0x1
	s_load_b32 s2, s[0:1], 0x0
	s_load_b256 s[4:11], s[0:1], 0x8
	s_bfe_u32 s3, ttmp6, 0x40010
	s_bfe_u32 s12, ttmp6, 0x40004
	s_add_co_i32 s3, s3, 1
	s_getreg_b32 s13, hwreg(HW_REG_IB_STS2, 6, 4)
	s_mul_i32 s3, ttmp7, s3
	s_delay_alu instid0(SALU_CYCLE_1)
	s_add_co_i32 s12, s12, s3
	s_wait_kmcnt 0x0
	s_ashr_i32 s3, s2, 31
	s_cmp_eq_u32 s13, 0
	v_cmp_gt_i64_e64 s22, s[2:3], 1
	s_cselect_b32 s14, ttmp7, s12
	s_lshl_b64 s[12:13], s[2:3], 2
	s_ashr_i32 s15, s14, 31
	s_delay_alu instid0(SALU_CYCLE_1) | instskip(NEXT) | instid1(SALU_CYCLE_1)
	s_mul_u64 s[6:7], s[6:7], s[14:15]
	s_lshl_b64 s[6:7], s[6:7], 2
	s_delay_alu instid0(SALU_CYCLE_1) | instskip(NEXT) | instid1(SALU_CYCLE_1)
	s_add_nc_u64 s[18:19], s[4:5], s[6:7]
	s_add_nc_u64 s[12:13], s[18:19], s[12:13]
	s_delay_alu instid0(SALU_CYCLE_1)
	s_add_nc_u64 s[4:5], s[12:13], -4
	s_clause 0x1
	s_load_b32 s23, s[18:19], 0x0
	s_load_b32 s24, s[4:5], 0x0
	s_load_b64 s[16:17], s[0:1], 0x28
	s_wait_xcnt 0x0
	s_mul_u64 s[4:5], s[10:11], s[14:15]
	s_delay_alu instid0(SALU_CYCLE_1)
	s_lshl_b64 s[6:7], s[4:5], 2
	v_cmp_lt_i64_e64 s5, s[2:3], 2
	s_add_nc_u64 s[20:21], s[8:9], s[6:7]
	s_mov_b32 s4, 1
	s_wait_kmcnt 0x0
	s_cmp_ge_f32 s23, s24
	s_cselect_b32 s3, -1, 0
	s_delay_alu instid0(SALU_CYCLE_1)
	s_and_b32 s6, s3, exec_lo
	s_cselect_b32 s6, s23, s24
	s_and_b32 vcc_lo, exec_lo, s5
	s_and_b32 s23, s6, 0x7fffffff
	s_cbranch_vccnz .LBB95_3
; %bb.1:
	s_add_co_i32 s5, s2, -2
	s_mov_b32 s6, s23
.LBB95_2:                               ; =>This Inner Loop Header: Depth=1
	s_and_b32 s7, s3, exec_lo
	s_cselect_b32 s8, s4, s5
	s_add_co_i32 s7, s4, -1
	s_and_b32 s9, s3, exec_lo
	s_cselect_b32 s10, s7, s5
	s_ashr_i32 s9, s8, 31
	s_ashr_i32 s11, s10, 31
	s_lshl_b64 s[8:9], s[8:9], 2
	s_lshl_b64 s[10:11], s[10:11], 2
	s_add_nc_u64 s[8:9], s[18:19], s[8:9]
	s_add_nc_u64 s[10:11], s[20:21], s[10:11]
	s_load_b32 s8, s[8:9], 0x0
	s_wait_kmcnt 0x0
	s_bitset0_b32 s8, 31
	s_load_b32 s7, s[10:11], 0x0
	s_wait_kmcnt 0x0
	s_bitset0_b32 s7, 31
	s_delay_alu instid0(SALU_CYCLE_1) | instskip(NEXT) | instid1(SALU_CYCLE_3)
	s_add_f32 s7, s6, s7
	v_div_scale_f32 v0, null, s7, s7, s6
	v_div_scale_f32 v3, vcc_lo, s6, s7, s6
	s_delay_alu instid0(VALU_DEP_2)
	v_rcp_f32_e32 v1, v0
	v_nop
	v_xor_b32_e32 v0, 0x80000000, v0
	s_delay_alu instid0(TRANS32_DEP_1) | instid1(VALU_DEP_1)
	v_fma_f32 v2, v0, v1, 1.0
	s_delay_alu instid0(VALU_DEP_1) | instskip(NEXT) | instid1(VALU_DEP_1)
	v_fmac_f32_e32 v1, v2, v1
	v_mul_f32_e32 v2, v3, v1
	s_delay_alu instid0(VALU_DEP_1) | instskip(NEXT) | instid1(VALU_DEP_1)
	v_fma_f32 v4, v0, v2, v3
	v_fmac_f32_e32 v2, v4, v1
	s_delay_alu instid0(VALU_DEP_1) | instskip(NEXT) | instid1(VALU_DEP_1)
	v_fmac_f32_e32 v3, v0, v2
	v_div_fmas_f32 v0, v3, v1, v2
	s_delay_alu instid0(VALU_DEP_1) | instskip(NEXT) | instid1(VALU_DEP_1)
	v_div_fixup_f32 v0, v0, s7, s6
	v_readfirstlane_b32 s6, v0
	s_mul_f32 s6, s8, s6
	s_delay_alu instid0(SALU_CYCLE_3)
	s_cmp_lt_f32 s6, s23
	s_cselect_b32 s23, s6, s23
	s_add_co_i32 s4, s4, 1
	s_add_co_i32 s5, s5, -1
	s_cmp_lg_u32 s4, s2
	s_cbranch_scc1 .LBB95_2
.LBB95_3:
	v_cvt_f64_i32_e32 v[0:1], s2
	s_load_b256 s[4:11], s[0:1], 0x40
	s_lshl_b32 s25, s2, 1
	s_add_co_i32 s3, s2, -1
	s_mul_i32 s26, s25, s14
	s_load_b96 s[28:30], s[0:1], 0x30
	s_ashr_i32 s27, s26, 31
	s_mov_b32 s24, 0
	s_lshl_b64 s[26:27], s[26:27], 2
	s_wait_kmcnt 0x0
	s_mul_u64 s[8:9], s[8:9], s[14:15]
	s_delay_alu instid0(SALU_CYCLE_1) | instskip(SKIP_2) | instid1(VALU_DEP_1)
	s_lshl_b64 s[34:35], s[8:9], 2
	s_mul_f32 s0, s30, s23
	s_cvt_f32_i32 s1, s28
	v_cmp_gt_f64_e32 vcc_lo, 0x10000000, v[0:1]
	s_and_b32 s8, vcc_lo, exec_lo
	s_cselect_b32 s8, 0x100, 0
	s_delay_alu instid0(SALU_CYCLE_1) | instskip(SKIP_1) | instid1(VALU_DEP_1)
	v_ldexp_f64 v[0:1], v[0:1], s8
	s_cselect_b32 s8, 0xffffff80, 0
	v_rsq_f64_e32 v[2:3], v[0:1]
	v_cmp_class_f64_e64 vcc_lo, v[0:1], 0x260
	s_delay_alu instid0(TRANS32_DEP_1) | instskip(SKIP_1) | instid1(VALU_DEP_1)
	v_mul_f64_e32 v[4:5], v[0:1], v[2:3]
	v_mul_f64_e32 v[2:3], 0.5, v[2:3]
	v_fma_f64 v[6:7], -v[2:3], v[4:5], 0.5
	s_delay_alu instid0(VALU_DEP_1) | instskip(SKIP_1) | instid1(VALU_DEP_2)
	v_fmac_f64_e32 v[4:5], v[4:5], v[6:7]
	v_fmac_f64_e32 v[2:3], v[2:3], v[6:7]
	v_fma_f64 v[6:7], -v[4:5], v[4:5], v[0:1]
	s_delay_alu instid0(VALU_DEP_1) | instskip(NEXT) | instid1(VALU_DEP_1)
	v_fmac_f64_e32 v[4:5], v[6:7], v[2:3]
	v_fma_f64 v[6:7], -v[4:5], v[4:5], v[0:1]
	s_delay_alu instid0(VALU_DEP_1) | instskip(SKIP_1) | instid1(VALU_DEP_2)
	v_fmac_f64_e32 v[4:5], v[6:7], v[2:3]
	v_cndmask_b32_e64 v6, 0, 1, s22
	v_ldexp_f64 v[2:3], v[4:5], s8
	s_add_nc_u64 s[8:9], s[4:5], s[26:27]
	s_add_nc_u64 s[4:5], s[6:7], s[34:35]
	s_mov_b32 s26, 0
	s_mov_b32 s6, 0
	s_delay_alu instid0(VALU_DEP_1) | instskip(NEXT) | instid1(VALU_DEP_1)
	v_dual_cndmask_b32 v1, v3, v1 :: v_dual_cndmask_b32 v0, v2, v0
	v_cvt_f32_f64_e32 v1, v[0:1]
	s_delay_alu instid0(VALU_DEP_1) | instskip(SKIP_1) | instid1(VALU_DEP_2)
	v_div_scale_f32 v0, null, v1, v1, s0
	v_div_scale_f32 v4, vcc_lo, s0, v1, s0
	v_rcp_f32_e32 v2, v0
	v_nop
	v_xor_b32_e32 v0, 0x80000000, v0
	s_delay_alu instid0(TRANS32_DEP_1) | instid1(VALU_DEP_1)
	v_fma_f32 v3, v0, v2, 1.0
	s_delay_alu instid0(VALU_DEP_1) | instskip(NEXT) | instid1(VALU_DEP_1)
	v_fmac_f32_e32 v2, v3, v2
	v_mul_f32_e32 v3, v4, v2
	s_delay_alu instid0(VALU_DEP_1) | instskip(NEXT) | instid1(VALU_DEP_1)
	v_fma_f32 v5, v0, v3, v4
	v_fmac_f32_e32 v3, v5, v2
	s_delay_alu instid0(VALU_DEP_1) | instskip(NEXT) | instid1(VALU_DEP_1)
	v_dual_fmac_f32 v4, v0, v3 :: v_dual_mov_b32 v0, 0
	v_div_fmas_f32 v2, v4, v2, v3
	v_mov_b32_e32 v4, s23
	s_delay_alu instid0(VALU_DEP_2)
	v_div_fixup_f32 v1, v2, v1, s0
	s_mul_f32 s0, s29, s1
	s_delay_alu instid0(VALU_DEP_1) | instid1(SALU_CYCLE_3)
	v_cmp_gt_f32_e32 vcc_lo, s0, v1
	v_cndmask_b32_e64 v5, v1, s0, vcc_lo
	s_and_not1_b32 vcc_lo, exec_lo, s22
	global_store_b64 v0, v[4:5], s[4:5]
	s_cbranch_vccnz .LBB95_15
; %bb.4:
	s_mov_b32 s23, 0
	s_delay_alu instid0(SALU_CYCLE_1)
	s_mov_b32 s6, s23
	s_mov_b32 s22, s23
	s_branch .LBB95_7
.LBB95_5:                               ;   in Loop: Header=BB95_7 Depth=1
	s_mov_b32 s22, s0
.LBB95_6:                               ;   in Loop: Header=BB95_7 Depth=1
	s_wait_loadcnt 0x0
	v_and_b32_e32 v1, 0x7fffffff, v1
	s_wait_xcnt 0x0
	v_cmp_nlg_f32_e64 s0, 0x7f800000, v2
	s_delay_alu instid0(VALU_DEP_2) | instskip(SKIP_1) | instid1(SALU_CYCLE_1)
	v_cmp_nlg_f32_e32 vcc_lo, 0x7f800000, v1
	s_or_b32 s0, vcc_lo, s0
	s_or_b32 s26, s0, s26
	s_cmp_eq_u32 s22, s3
	s_cbranch_scc1 .LBB95_15
.LBB95_7:                               ; =>This Inner Loop Header: Depth=1
	s_lshl_b32 s0, s22, 2
	s_delay_alu instid0(SALU_CYCLE_1) | instskip(NEXT) | instid1(SALU_CYCLE_1)
	s_or_b32 s1, s0, 3
	s_cmp_ge_i32 s1, s25
	s_cbranch_scc1 .LBB95_9
; %bb.8:                                ;   in Loop: Header=BB95_7 Depth=1
	s_mov_b32 s1, s23
	v_dual_mov_b32 v1, v0 :: v_dual_mov_b32 v2, v0
	v_mov_b32_e32 v3, v0
	s_lshl_b64 s[0:1], s[0:1], 2
	s_delay_alu instid0(SALU_CYCLE_1)
	s_add_nc_u64 s[0:1], s[8:9], s[0:1]
	global_store_b128 v0, v[0:3], s[0:1]
	global_wb scope:SCOPE_DEV
	s_wait_storecnt 0x0
	global_inv scope:SCOPE_DEV
.LBB95_9:                               ;   in Loop: Header=BB95_7 Depth=1
	s_wait_xcnt 0x0
	v_mov_b32_e32 v2, s22
	s_mov_b32 s1, -1
                                        ; implicit-def: $sgpr0
	s_clause 0x1
	global_load_b32 v3, v2, s[20:21] scale_offset
	global_load_b32 v1, v2, s[18:19] scale_offset
	s_wait_loadcnt 0x1
	s_wait_xcnt 0x0
	v_and_b32_e32 v2, 0x7fffffff, v3
	s_delay_alu instid0(VALU_DEP_1)
	v_cmp_lt_f32_e32 vcc_lo, v2, v5
	s_cbranch_vccnz .LBB95_11
; %bb.10:                               ;   in Loop: Header=BB95_7 Depth=1
	s_add_co_i32 s0, s22, 1
	s_mov_b32 s1, 0
.LBB95_11:                              ;   in Loop: Header=BB95_7 Depth=1
	s_delay_alu instid0(SALU_CYCLE_1)
	s_and_not1_b32 vcc_lo, exec_lo, s1
	s_cbranch_vccnz .LBB95_5
; %bb.12:                               ;   in Loop: Header=BB95_7 Depth=1
	s_lshl_b64 s[0:1], s[22:23], 2
	s_cmp_ge_i32 s6, s22
	s_add_nc_u64 s[0:1], s[20:21], s[0:1]
	global_store_b32 v0, v0, s[0:1]
	s_cbranch_scc1 .LBB95_14
; %bb.13:                               ;   in Loop: Header=BB95_7 Depth=1
	s_mov_b32 s7, s22
	s_wait_xcnt 0x0
	s_lshl_b32 s0, s24, 2
	v_mov_b64_e32 v[8:9], s[6:7]
	s_ashr_i32 s1, s0, 31
	s_add_co_i32 s24, s24, 1
	s_lshl_b64 s[0:1], s[0:1], 2
	s_delay_alu instid0(SALU_CYCLE_1)
	s_add_nc_u64 s[0:1], s[8:9], s[0:1]
	global_store_b64 v0, v[8:9], s[0:1] offset:4
.LBB95_14:                              ;   in Loop: Header=BB95_7 Depth=1
	s_add_co_i32 s22, s22, 1
	s_delay_alu instid0(SALU_CYCLE_1)
	s_mov_b32 s6, s22
	s_branch .LBB95_6
.LBB95_15:
	v_mov_b32_e32 v1, 0
	s_cmp_lt_i32 s6, s3
	global_load_b32 v0, v1, s[12:13] offset:-4
	s_cbranch_scc0 .LBB95_17
; %bb.16:
	s_lshl_b32 s0, s24, 2
	v_dual_mov_b32 v2, s6 :: v_dual_mov_b32 v3, s3
	s_ashr_i32 s1, s0, 31
	s_delay_alu instid0(SALU_CYCLE_1) | instskip(NEXT) | instid1(SALU_CYCLE_1)
	s_lshl_b64 s[0:1], s[0:1], 2
	s_add_nc_u64 s[0:1], s[8:9], s[0:1]
	global_store_b64 v1, v[2:3], s[0:1] offset:4
.LBB95_17:
	s_wait_loadcnt 0x0
	v_and_b32_e32 v0, 0x7fffffff, v0
	s_delay_alu instid0(VALU_DEP_1) | instskip(SKIP_2) | instid1(SALU_CYCLE_1)
	v_cmp_nlg_f32_e32 vcc_lo, 0x7f800000, v0
	s_wait_xcnt 0x0
	s_or_b32 s0, vcc_lo, s26
	s_and_not1_b32 vcc_lo, exec_lo, s0
	s_mov_b32 s0, -1
	s_cbranch_vccz .LBB95_22
; %bb.18:
	s_add_co_i32 s1, s24, 1
	s_lshl_b64 s[6:7], s[14:15], 2
	s_cvt_f32_i32 s0, s1
	v_mov_b32_e32 v1, 0
	s_cmp_lt_i32 s24, 0
	s_add_nc_u64 s[6:7], s[16:17], s[6:7]
	v_mov_b32_e32 v0, s0
	s_mov_b32 s0, 0
	s_clause 0x1
	global_store_b64 v1, v[0:1], s[4:5] offset:8
	global_store_b32 v1, v1, s[6:7]
	s_cbranch_scc1 .LBB95_22
; %bb.19:
	v_mov_b32_e32 v3, 0
	s_wait_xcnt 0x1
	s_mov_b32 s4, 0
.LBB95_20:                              ; =>This Inner Loop Header: Depth=1
	v_mov_b32_e32 v2, s1
	s_wait_xcnt 0x0
	global_atomic_cmpswap_b32 v3, v1, v[2:3], s[10:11] offset:4 th:TH_ATOMIC_RETURN scope:SCOPE_DEV
	s_wait_loadcnt 0x0
	v_cmp_lt_i32_e32 vcc_lo, s24, v3
	s_or_b32 s4, vcc_lo, s4
	s_wait_xcnt 0x0
	s_and_not1_b32 exec_lo, exec_lo, s4
	s_cbranch_execnz .LBB95_20
; %bb.21:
	s_or_b32 exec_lo, exec_lo, s4
.LBB95_22:
	s_delay_alu instid0(SALU_CYCLE_1)
	s_and_not1_b32 vcc_lo, exec_lo, s0
	s_cbranch_vccnz .LBB95_28
; %bb.23:
	v_cmp_ne_u32_e32 vcc_lo, 1, v6
	s_cbranch_vccnz .LBB95_26
; %bb.24:
	s_wait_xcnt 0x0
	v_dual_mov_b32 v0, 0 :: v_dual_mov_b32 v1, 0x7fc00000
.LBB95_25:                              ; =>This Inner Loop Header: Depth=1
	s_add_co_i32 s3, s3, -1
	s_clause 0x1
	global_store_b32 v0, v1, s[18:19]
	global_store_b32 v0, v1, s[20:21]
	s_wait_xcnt 0x1
	s_add_nc_u64 s[18:19], s[18:19], 4
	s_cmp_eq_u32 s3, 0
	s_wait_xcnt 0x0
	s_add_nc_u64 s[20:21], s[20:21], 4
	s_cbranch_scc0 .LBB95_25
.LBB95_26:
	s_mov_b32 s0, exec_lo
	s_wait_xcnt 0x1
	v_dual_mov_b32 v0, 0 :: v_dual_mov_b32 v3, s2
	s_wait_xcnt 0x0
	v_mbcnt_lo_u32_b32 v1, s0, 0
	v_mov_b32_e32 v2, 0x7fc00000
	s_lshl_b64 s[4:5], s[14:15], 2
	v_mov_b32_e32 v4, 2
	s_add_nc_u64 s[6:7], s[16:17], s[4:5]
	s_add_nc_u64 s[2:3], s[10:11], s[4:5]
	s_clause 0x2
	global_store_b32 v0, v2, s[12:13] offset:-4
	global_store_b32 v0, v3, s[6:7]
	global_store_b32 v0, v4, s[2:3] offset:8
	s_mov_b32 s1, exec_lo
	s_wait_xcnt 0x0
	v_cmpx_eq_u32_e32 0, v1
	s_cbranch_execz .LBB95_28
; %bb.27:
	s_bcnt1_i32_b32 s0, s0
	s_delay_alu instid0(SALU_CYCLE_1)
	v_mov_b32_e32 v1, s0
	global_atomic_add_u32 v0, v1, s[10:11] scope:SCOPE_DEV
.LBB95_28:
	s_endpgm
	.section	.rodata,"a",@progbits
	.p2align	6, 0x0
	.amdhsa_kernel _ZN9rocsolver6v33100L10bdsqr_initI19rocblas_complex_numIfEfEEviPT0_lS5_lPiiS4_S4_S6_S5_lS6_
		.amdhsa_group_segment_fixed_size 0
		.amdhsa_private_segment_fixed_size 0
		.amdhsa_kernarg_size 96
		.amdhsa_user_sgpr_count 2
		.amdhsa_user_sgpr_dispatch_ptr 0
		.amdhsa_user_sgpr_queue_ptr 0
		.amdhsa_user_sgpr_kernarg_segment_ptr 1
		.amdhsa_user_sgpr_dispatch_id 0
		.amdhsa_user_sgpr_kernarg_preload_length 0
		.amdhsa_user_sgpr_kernarg_preload_offset 0
		.amdhsa_user_sgpr_private_segment_size 0
		.amdhsa_wavefront_size32 1
		.amdhsa_uses_dynamic_stack 0
		.amdhsa_enable_private_segment 0
		.amdhsa_system_sgpr_workgroup_id_x 1
		.amdhsa_system_sgpr_workgroup_id_y 1
		.amdhsa_system_sgpr_workgroup_id_z 0
		.amdhsa_system_sgpr_workgroup_info 0
		.amdhsa_system_vgpr_workitem_id 0
		.amdhsa_next_free_vgpr 10
		.amdhsa_next_free_sgpr 36
		.amdhsa_named_barrier_count 0
		.amdhsa_reserve_vcc 1
		.amdhsa_float_round_mode_32 0
		.amdhsa_float_round_mode_16_64 0
		.amdhsa_float_denorm_mode_32 3
		.amdhsa_float_denorm_mode_16_64 3
		.amdhsa_fp16_overflow 0
		.amdhsa_memory_ordered 1
		.amdhsa_forward_progress 1
		.amdhsa_inst_pref_size 13
		.amdhsa_round_robin_scheduling 0
		.amdhsa_exception_fp_ieee_invalid_op 0
		.amdhsa_exception_fp_denorm_src 0
		.amdhsa_exception_fp_ieee_div_zero 0
		.amdhsa_exception_fp_ieee_overflow 0
		.amdhsa_exception_fp_ieee_underflow 0
		.amdhsa_exception_fp_ieee_inexact 0
		.amdhsa_exception_int_div_zero 0
	.end_amdhsa_kernel
	.section	.text._ZN9rocsolver6v33100L10bdsqr_initI19rocblas_complex_numIfEfEEviPT0_lS5_lPiiS4_S4_S6_S5_lS6_,"axG",@progbits,_ZN9rocsolver6v33100L10bdsqr_initI19rocblas_complex_numIfEfEEviPT0_lS5_lPiiS4_S4_S6_S5_lS6_,comdat
.Lfunc_end95:
	.size	_ZN9rocsolver6v33100L10bdsqr_initI19rocblas_complex_numIfEfEEviPT0_lS5_lPiiS4_S4_S6_S5_lS6_, .Lfunc_end95-_ZN9rocsolver6v33100L10bdsqr_initI19rocblas_complex_numIfEfEEviPT0_lS5_lPiiS4_S4_S6_S5_lS6_
                                        ; -- End function
	.set _ZN9rocsolver6v33100L10bdsqr_initI19rocblas_complex_numIfEfEEviPT0_lS5_lPiiS4_S4_S6_S5_lS6_.num_vgpr, 10
	.set _ZN9rocsolver6v33100L10bdsqr_initI19rocblas_complex_numIfEfEEviPT0_lS5_lPiiS4_S4_S6_S5_lS6_.num_agpr, 0
	.set _ZN9rocsolver6v33100L10bdsqr_initI19rocblas_complex_numIfEfEEviPT0_lS5_lPiiS4_S4_S6_S5_lS6_.numbered_sgpr, 36
	.set _ZN9rocsolver6v33100L10bdsqr_initI19rocblas_complex_numIfEfEEviPT0_lS5_lPiiS4_S4_S6_S5_lS6_.num_named_barrier, 0
	.set _ZN9rocsolver6v33100L10bdsqr_initI19rocblas_complex_numIfEfEEviPT0_lS5_lPiiS4_S4_S6_S5_lS6_.private_seg_size, 0
	.set _ZN9rocsolver6v33100L10bdsqr_initI19rocblas_complex_numIfEfEEviPT0_lS5_lPiiS4_S4_S6_S5_lS6_.uses_vcc, 1
	.set _ZN9rocsolver6v33100L10bdsqr_initI19rocblas_complex_numIfEfEEviPT0_lS5_lPiiS4_S4_S6_S5_lS6_.uses_flat_scratch, 0
	.set _ZN9rocsolver6v33100L10bdsqr_initI19rocblas_complex_numIfEfEEviPT0_lS5_lPiiS4_S4_S6_S5_lS6_.has_dyn_sized_stack, 0
	.set _ZN9rocsolver6v33100L10bdsqr_initI19rocblas_complex_numIfEfEEviPT0_lS5_lPiiS4_S4_S6_S5_lS6_.has_recursion, 0
	.set _ZN9rocsolver6v33100L10bdsqr_initI19rocblas_complex_numIfEfEEviPT0_lS5_lPiiS4_S4_S6_S5_lS6_.has_indirect_call, 0
	.section	.AMDGPU.csdata,"",@progbits
; Kernel info:
; codeLenInByte = 1652
; TotalNumSgprs: 38
; NumVgprs: 10
; ScratchSize: 0
; MemoryBound: 0
; FloatMode: 240
; IeeeMode: 1
; LDSByteSize: 0 bytes/workgroup (compile time only)
; SGPRBlocks: 0
; VGPRBlocks: 0
; NumSGPRsForWavesPerEU: 38
; NumVGPRsForWavesPerEU: 10
; NamedBarCnt: 0
; Occupancy: 16
; WaveLimiterHint : 0
; COMPUTE_PGM_RSRC2:SCRATCH_EN: 0
; COMPUTE_PGM_RSRC2:USER_SGPR: 2
; COMPUTE_PGM_RSRC2:TRAP_HANDLER: 0
; COMPUTE_PGM_RSRC2:TGID_X_EN: 1
; COMPUTE_PGM_RSRC2:TGID_Y_EN: 1
; COMPUTE_PGM_RSRC2:TGID_Z_EN: 0
; COMPUTE_PGM_RSRC2:TIDIG_COMP_CNT: 0
	.section	.text._ZN9rocsolver6v33100L11swap_kernelI19rocblas_complex_numIfEiEEvT0_PT_S4_S6_S4_,"axG",@progbits,_ZN9rocsolver6v33100L11swap_kernelI19rocblas_complex_numIfEiEEvT0_PT_S4_S6_S4_,comdat
	.globl	_ZN9rocsolver6v33100L11swap_kernelI19rocblas_complex_numIfEiEEvT0_PT_S4_S6_S4_ ; -- Begin function _ZN9rocsolver6v33100L11swap_kernelI19rocblas_complex_numIfEiEEvT0_PT_S4_S6_S4_
	.p2align	8
	.type	_ZN9rocsolver6v33100L11swap_kernelI19rocblas_complex_numIfEiEEvT0_PT_S4_S6_S4_,@function
_ZN9rocsolver6v33100L11swap_kernelI19rocblas_complex_numIfEiEEvT0_PT_S4_S6_S4_: ; @_ZN9rocsolver6v33100L11swap_kernelI19rocblas_complex_numIfEiEEvT0_PT_S4_S6_S4_
; %bb.0:
	s_load_b32 s12, s[0:1], 0x0
	s_wait_kmcnt 0x0
	s_cmp_lt_i32 s12, 1
	s_cbranch_scc1 .LBB96_10
; %bb.1:
	s_clause 0x2
	s_load_b32 s2, s[0:1], 0x34
	s_load_b96 s[4:6], s[0:1], 0x8
	s_load_b96 s[8:10], s[0:1], 0x18
	s_bfe_u32 s3, ttmp6, 0x4000c
	s_wait_xcnt 0x0
	s_load_b32 s0, s[0:1], 0x28
	s_add_co_i32 s3, s3, 1
	s_wait_xcnt 0x0
	s_and_b32 s1, ttmp6, 15
	s_mul_i32 s3, ttmp9, s3
	s_getreg_b32 s7, hwreg(HW_REG_IB_STS2, 6, 4)
	s_add_co_i32 s1, s1, s3
	s_wait_kmcnt 0x0
	s_and_b32 s2, s2, 0xffff
	s_cmp_eq_u32 s7, 0
	s_cselect_b32 s1, ttmp9, s1
	s_cmp_eq_u32 s6, 1
	v_mad_u32 v0, s1, s2, v0
	s_cselect_b32 s1, -1, 0
	s_cmp_eq_u32 s10, 1
	s_mul_i32 s2, s0, s2
	s_cselect_b32 s3, -1, 0
	s_delay_alu instid0(SALU_CYCLE_1) | instskip(NEXT) | instid1(SALU_CYCLE_1)
	s_and_b32 s1, s1, s3
	s_and_b32 vcc_lo, exec_lo, s1
	s_mov_b32 s1, -1
	s_delay_alu instid0(VALU_DEP_1)
	v_cmp_gt_i32_e64 s0, s12, v0
	s_cbranch_vccnz .LBB96_6
; %bb.2:
	s_and_saveexec_b32 s1, s0
	s_cbranch_execz .LBB96_5
; %bb.3:
	v_ashrrev_i32_e32 v1, 31, v0
	s_ashr_i32 s7, s6, 31
	s_ashr_i32 s11, s10, 31
	;; [unrolled: 1-line block ×3, first 2 shown]
	s_delay_alu instid0(SALU_CYCLE_1)
	s_mul_u64 s[14:15], s[6:7], s[2:3]
	v_mul_u64_e32 v[2:3], s[10:11], v[0:1]
	v_mul_u64_e32 v[4:5], s[6:7], v[0:1]
	v_mov_b32_e32 v1, v0
	s_mul_u64 s[10:11], s[10:11], s[2:3]
	s_mov_b32 s3, 0
	s_lshl_b64 s[6:7], s[10:11], 3
	s_lshl_b64 s[10:11], s[14:15], 3
	s_delay_alu instid0(VALU_DEP_3) | instskip(NEXT) | instid1(VALU_DEP_3)
	v_lshl_add_u64 v[2:3], v[2:3], 3, s[8:9]
	v_lshl_add_u64 v[4:5], v[4:5], 3, s[4:5]
.LBB96_4:                               ; =>This Inner Loop Header: Depth=1
	global_load_b64 v[6:7], v[4:5], off
	global_load_b64 v[8:9], v[2:3], off
	v_add_nc_u32_e32 v1, s2, v1
	s_wait_loadcnt 0x1
	global_store_b64 v[2:3], v[6:7], off
	s_wait_loadcnt 0x0
	global_store_b64 v[4:5], v[8:9], off
	v_cmp_le_i32_e32 vcc_lo, s12, v1
	s_wait_xcnt 0x1
	v_add_nc_u64_e32 v[2:3], s[6:7], v[2:3]
	s_wait_xcnt 0x0
	v_add_nc_u64_e32 v[4:5], s[10:11], v[4:5]
	s_or_b32 s3, vcc_lo, s3
	s_delay_alu instid0(SALU_CYCLE_1)
	s_and_not1_b32 exec_lo, exec_lo, s3
	s_cbranch_execnz .LBB96_4
.LBB96_5:
	s_or_b32 exec_lo, exec_lo, s1
	s_mov_b32 s1, 0
.LBB96_6:
	s_delay_alu instid0(SALU_CYCLE_1)
	s_and_not1_b32 vcc_lo, exec_lo, s1
	s_cbranch_vccnz .LBB96_10
; %bb.7:
	s_and_saveexec_b32 s1, s0
	s_cbranch_execz .LBB96_10
; %bb.8:
	v_ashrrev_i32_e32 v1, 31, v0
	s_ashr_i32 s3, s2, 31
	s_delay_alu instid0(SALU_CYCLE_1) | instskip(SKIP_1) | instid1(VALU_DEP_1)
	s_lshl_b64 s[0:1], s[2:3], 3
	s_mov_b32 s3, 0
	v_lshlrev_b64_e32 v[2:3], 3, v[0:1]
.LBB96_9:                               ; =>This Inner Loop Header: Depth=1
	s_delay_alu instid0(VALU_DEP_1)
	v_add_nc_u64_e32 v[4:5], s[4:5], v[2:3]
	v_add_nc_u64_e32 v[6:7], s[8:9], v[2:3]
	v_add_nc_u32_e32 v0, s2, v0
	v_add_nc_u64_e32 v[2:3], s[0:1], v[2:3]
	global_load_b64 v[8:9], v[4:5], off
	global_load_b64 v[10:11], v[6:7], off
	v_cmp_le_i32_e32 vcc_lo, s12, v0
	s_wait_loadcnt 0x1
	global_store_b64 v[6:7], v[8:9], off
	s_wait_loadcnt 0x0
	global_store_b64 v[4:5], v[10:11], off
	s_or_b32 s3, vcc_lo, s3
	s_wait_xcnt 0x0
	s_and_not1_b32 exec_lo, exec_lo, s3
	s_cbranch_execnz .LBB96_9
.LBB96_10:
	s_endpgm
	.section	.rodata,"a",@progbits
	.p2align	6, 0x0
	.amdhsa_kernel _ZN9rocsolver6v33100L11swap_kernelI19rocblas_complex_numIfEiEEvT0_PT_S4_S6_S4_
		.amdhsa_group_segment_fixed_size 0
		.amdhsa_private_segment_fixed_size 0
		.amdhsa_kernarg_size 296
		.amdhsa_user_sgpr_count 2
		.amdhsa_user_sgpr_dispatch_ptr 0
		.amdhsa_user_sgpr_queue_ptr 0
		.amdhsa_user_sgpr_kernarg_segment_ptr 1
		.amdhsa_user_sgpr_dispatch_id 0
		.amdhsa_user_sgpr_kernarg_preload_length 0
		.amdhsa_user_sgpr_kernarg_preload_offset 0
		.amdhsa_user_sgpr_private_segment_size 0
		.amdhsa_wavefront_size32 1
		.amdhsa_uses_dynamic_stack 0
		.amdhsa_enable_private_segment 0
		.amdhsa_system_sgpr_workgroup_id_x 1
		.amdhsa_system_sgpr_workgroup_id_y 0
		.amdhsa_system_sgpr_workgroup_id_z 0
		.amdhsa_system_sgpr_workgroup_info 0
		.amdhsa_system_vgpr_workitem_id 0
		.amdhsa_next_free_vgpr 12
		.amdhsa_next_free_sgpr 16
		.amdhsa_named_barrier_count 0
		.amdhsa_reserve_vcc 1
		.amdhsa_float_round_mode_32 0
		.amdhsa_float_round_mode_16_64 0
		.amdhsa_float_denorm_mode_32 3
		.amdhsa_float_denorm_mode_16_64 3
		.amdhsa_fp16_overflow 0
		.amdhsa_memory_ordered 1
		.amdhsa_forward_progress 1
		.amdhsa_inst_pref_size 4
		.amdhsa_round_robin_scheduling 0
		.amdhsa_exception_fp_ieee_invalid_op 0
		.amdhsa_exception_fp_denorm_src 0
		.amdhsa_exception_fp_ieee_div_zero 0
		.amdhsa_exception_fp_ieee_overflow 0
		.amdhsa_exception_fp_ieee_underflow 0
		.amdhsa_exception_fp_ieee_inexact 0
		.amdhsa_exception_int_div_zero 0
	.end_amdhsa_kernel
	.section	.text._ZN9rocsolver6v33100L11swap_kernelI19rocblas_complex_numIfEiEEvT0_PT_S4_S6_S4_,"axG",@progbits,_ZN9rocsolver6v33100L11swap_kernelI19rocblas_complex_numIfEiEEvT0_PT_S4_S6_S4_,comdat
.Lfunc_end96:
	.size	_ZN9rocsolver6v33100L11swap_kernelI19rocblas_complex_numIfEiEEvT0_PT_S4_S6_S4_, .Lfunc_end96-_ZN9rocsolver6v33100L11swap_kernelI19rocblas_complex_numIfEiEEvT0_PT_S4_S6_S4_
                                        ; -- End function
	.set _ZN9rocsolver6v33100L11swap_kernelI19rocblas_complex_numIfEiEEvT0_PT_S4_S6_S4_.num_vgpr, 12
	.set _ZN9rocsolver6v33100L11swap_kernelI19rocblas_complex_numIfEiEEvT0_PT_S4_S6_S4_.num_agpr, 0
	.set _ZN9rocsolver6v33100L11swap_kernelI19rocblas_complex_numIfEiEEvT0_PT_S4_S6_S4_.numbered_sgpr, 16
	.set _ZN9rocsolver6v33100L11swap_kernelI19rocblas_complex_numIfEiEEvT0_PT_S4_S6_S4_.num_named_barrier, 0
	.set _ZN9rocsolver6v33100L11swap_kernelI19rocblas_complex_numIfEiEEvT0_PT_S4_S6_S4_.private_seg_size, 0
	.set _ZN9rocsolver6v33100L11swap_kernelI19rocblas_complex_numIfEiEEvT0_PT_S4_S6_S4_.uses_vcc, 1
	.set _ZN9rocsolver6v33100L11swap_kernelI19rocblas_complex_numIfEiEEvT0_PT_S4_S6_S4_.uses_flat_scratch, 0
	.set _ZN9rocsolver6v33100L11swap_kernelI19rocblas_complex_numIfEiEEvT0_PT_S4_S6_S4_.has_dyn_sized_stack, 0
	.set _ZN9rocsolver6v33100L11swap_kernelI19rocblas_complex_numIfEiEEvT0_PT_S4_S6_S4_.has_recursion, 0
	.set _ZN9rocsolver6v33100L11swap_kernelI19rocblas_complex_numIfEiEEvT0_PT_S4_S6_S4_.has_indirect_call, 0
	.section	.AMDGPU.csdata,"",@progbits
; Kernel info:
; codeLenInByte = 500
; TotalNumSgprs: 18
; NumVgprs: 12
; ScratchSize: 0
; MemoryBound: 0
; FloatMode: 240
; IeeeMode: 1
; LDSByteSize: 0 bytes/workgroup (compile time only)
; SGPRBlocks: 0
; VGPRBlocks: 0
; NumSGPRsForWavesPerEU: 18
; NumVGPRsForWavesPerEU: 12
; NamedBarCnt: 0
; Occupancy: 16
; WaveLimiterHint : 0
; COMPUTE_PGM_RSRC2:SCRATCH_EN: 0
; COMPUTE_PGM_RSRC2:USER_SGPR: 2
; COMPUTE_PGM_RSRC2:TRAP_HANDLER: 0
; COMPUTE_PGM_RSRC2:TGID_X_EN: 1
; COMPUTE_PGM_RSRC2:TGID_Y_EN: 0
; COMPUTE_PGM_RSRC2:TGID_Z_EN: 0
; COMPUTE_PGM_RSRC2:TIDIG_COMP_CNT: 0
	.section	.text._ZN9rocsolver6v33100L10rot_kernelIf19rocblas_complex_numIfEiEEvT1_PT0_S4_S6_S4_T_S7_,"axG",@progbits,_ZN9rocsolver6v33100L10rot_kernelIf19rocblas_complex_numIfEiEEvT1_PT0_S4_S6_S4_T_S7_,comdat
	.globl	_ZN9rocsolver6v33100L10rot_kernelIf19rocblas_complex_numIfEiEEvT1_PT0_S4_S6_S4_T_S7_ ; -- Begin function _ZN9rocsolver6v33100L10rot_kernelIf19rocblas_complex_numIfEiEEvT1_PT0_S4_S6_S4_T_S7_
	.p2align	8
	.type	_ZN9rocsolver6v33100L10rot_kernelIf19rocblas_complex_numIfEiEEvT1_PT0_S4_S6_S4_T_S7_,@function
_ZN9rocsolver6v33100L10rot_kernelIf19rocblas_complex_numIfEiEEvT1_PT0_S4_S6_S4_T_S7_: ; @_ZN9rocsolver6v33100L10rot_kernelIf19rocblas_complex_numIfEiEEvT1_PT0_S4_S6_S4_T_S7_
; %bb.0:
	s_load_b32 s11, s[0:1], 0x0
	s_wait_kmcnt 0x0
	s_cmp_lt_i32 s11, 1
	s_cbranch_scc1 .LBB97_10
; %bb.1:
	s_clause 0x2
	s_load_b32 s2, s[0:1], 0x3c
	s_load_b96 s[4:6], s[0:1], 0x8
	s_load_b96 s[8:10], s[0:1], 0x20
	s_bfe_u32 s3, ttmp6, 0x4000c
	s_and_b32 s12, ttmp6, 15
	s_add_co_i32 s3, s3, 1
	s_load_b32 s7, s[0:1], 0x30
	s_mul_i32 s3, ttmp9, s3
	s_getreg_b32 s13, hwreg(HW_REG_IB_STS2, 6, 4)
	s_add_co_i32 s12, s12, s3
	s_wait_kmcnt 0x0
	s_and_b32 s14, s2, 0xffff
	s_cmp_eq_u32 s13, 0
	s_load_b64 s[2:3], s[0:1], 0x18
	s_wait_xcnt 0x0
	s_cselect_b32 s0, ttmp9, s12
	s_cmp_eq_u32 s6, 1
	v_mad_u32 v0, s0, s14, v0
	s_cselect_b32 s0, -1, 0
	s_cmp_eq_u32 s8, 1
	s_mul_i32 s12, s7, s14
	s_cselect_b32 s1, -1, 0
	s_delay_alu instid0(SALU_CYCLE_1) | instskip(NEXT) | instid1(SALU_CYCLE_1)
	s_and_b32 s1, s0, s1
	s_and_b32 vcc_lo, exec_lo, s1
	s_mov_b32 s1, -1
	s_delay_alu instid0(VALU_DEP_1)
	v_cmp_gt_i32_e64 s0, s11, v0
	s_cbranch_vccnz .LBB97_6
; %bb.2:
	s_and_saveexec_b32 s1, s0
	s_cbranch_execz .LBB97_5
; %bb.3:
	v_ashrrev_i32_e32 v1, 31, v0
	s_ashr_i32 s7, s6, 31
	s_ashr_i32 s15, s8, 31
	s_mov_b32 s14, s8
	s_mov_b32 s8, s9
	v_mul_u64_e32 v[6:7], s[14:15], v[0:1]
	v_mul_u64_e32 v[8:9], s[6:7], v[0:1]
	s_mov_b32 s16, s10
	s_mov_b32 s17, s10
	v_mov_b64_e32 v[4:5], s[8:9]
	v_mov_b64_e32 v[2:3], s[16:17]
	s_ashr_i32 s13, s12, 31
	v_mov_b32_e32 v1, v0
	s_mul_u64 s[14:15], s[14:15], s[12:13]
	s_mul_u64 s[18:19], s[6:7], s[12:13]
	s_lshl_b64 s[6:7], s[14:15], 3
	s_lshl_b64 s[14:15], s[18:19], 3
	s_mov_b32 s8, 0
	s_wait_kmcnt 0x0
	v_lshl_add_u64 v[6:7], v[6:7], 3, s[2:3]
	v_lshl_add_u64 v[8:9], v[8:9], 3, s[4:5]
.LBB97_4:                               ; =>This Inner Loop Header: Depth=1
	global_load_b64 v[10:11], v[8:9], off
	global_load_b64 v[12:13], v[6:7], off
	v_add_nc_u32_e32 v1, s12, v1
	s_delay_alu instid0(VALU_DEP_1)
	v_cmp_le_i32_e32 vcc_lo, s11, v1
	s_or_b32 s8, vcc_lo, s8
	s_wait_loadcnt 0x1
	v_pk_mul_f32 v[14:15], v[2:3], v[10:11]
	s_wait_loadcnt 0x0
	v_pk_mul_f32 v[16:17], v[2:3], v[12:13]
	s_delay_alu instid0(VALU_DEP_2) | instskip(NEXT) | instid1(VALU_DEP_2)
	v_pk_fma_f32 v[12:13], v[4:5], v[12:13], v[14:15] neg_lo:[0,0,1] neg_hi:[0,0,1]
	v_pk_fma_f32 v[10:11], v[4:5], v[10:11], v[16:17]
	global_store_b64 v[6:7], v[12:13], off
	global_store_b64 v[8:9], v[10:11], off
	s_wait_xcnt 0x1
	v_add_nc_u64_e32 v[6:7], s[6:7], v[6:7]
	s_wait_xcnt 0x0
	v_add_nc_u64_e32 v[8:9], s[14:15], v[8:9]
	s_and_not1_b32 exec_lo, exec_lo, s8
	s_cbranch_execnz .LBB97_4
.LBB97_5:
	s_or_b32 exec_lo, exec_lo, s1
	s_mov_b32 s1, 0
.LBB97_6:
	s_delay_alu instid0(SALU_CYCLE_1)
	s_and_not1_b32 vcc_lo, exec_lo, s1
	s_cbranch_vccnz .LBB97_10
; %bb.7:
	s_and_saveexec_b32 s1, s0
	s_cbranch_execz .LBB97_10
; %bb.8:
	v_ashrrev_i32_e32 v1, 31, v0
	s_mov_b32 s8, s9
	s_mov_b32 s0, s10
	s_mov_b32 s1, s10
	v_mov_b64_e32 v[6:7], s[8:9]
	v_lshlrev_b64_e32 v[2:3], 3, v[0:1]
	v_mov_b64_e32 v[4:5], s[0:1]
	s_ashr_i32 s13, s12, 31
	s_mov_b32 s6, 0
	s_lshl_b64 s[0:1], s[12:13], 3
.LBB97_9:                               ; =>This Inner Loop Header: Depth=1
	s_delay_alu instid0(VALU_DEP_2)
	v_add_nc_u64_e32 v[8:9], s[4:5], v[2:3]
	s_wait_kmcnt 0x0
	v_add_nc_u64_e32 v[10:11], s[2:3], v[2:3]
	v_add_nc_u32_e32 v0, s12, v0
	v_add_nc_u64_e32 v[2:3], s[0:1], v[2:3]
	global_load_b64 v[12:13], v[8:9], off
	global_load_b64 v[14:15], v[10:11], off
	v_cmp_le_i32_e32 vcc_lo, s11, v0
	s_or_b32 s6, vcc_lo, s6
	s_wait_loadcnt 0x1
	v_pk_mul_f32 v[16:17], v[4:5], v[12:13]
	s_wait_loadcnt 0x0
	v_pk_mul_f32 v[18:19], v[4:5], v[14:15]
	s_delay_alu instid0(VALU_DEP_2) | instskip(NEXT) | instid1(VALU_DEP_2)
	v_pk_fma_f32 v[14:15], v[6:7], v[14:15], v[16:17] neg_lo:[0,0,1] neg_hi:[0,0,1]
	v_pk_fma_f32 v[12:13], v[6:7], v[12:13], v[18:19]
	global_store_b64 v[10:11], v[14:15], off
	global_store_b64 v[8:9], v[12:13], off
	s_wait_xcnt 0x0
	s_and_not1_b32 exec_lo, exec_lo, s6
	s_cbranch_execnz .LBB97_9
.LBB97_10:
	s_endpgm
	.section	.rodata,"a",@progbits
	.p2align	6, 0x0
	.amdhsa_kernel _ZN9rocsolver6v33100L10rot_kernelIf19rocblas_complex_numIfEiEEvT1_PT0_S4_S6_S4_T_S7_
		.amdhsa_group_segment_fixed_size 0
		.amdhsa_private_segment_fixed_size 0
		.amdhsa_kernarg_size 304
		.amdhsa_user_sgpr_count 2
		.amdhsa_user_sgpr_dispatch_ptr 0
		.amdhsa_user_sgpr_queue_ptr 0
		.amdhsa_user_sgpr_kernarg_segment_ptr 1
		.amdhsa_user_sgpr_dispatch_id 0
		.amdhsa_user_sgpr_kernarg_preload_length 0
		.amdhsa_user_sgpr_kernarg_preload_offset 0
		.amdhsa_user_sgpr_private_segment_size 0
		.amdhsa_wavefront_size32 1
		.amdhsa_uses_dynamic_stack 0
		.amdhsa_enable_private_segment 0
		.amdhsa_system_sgpr_workgroup_id_x 1
		.amdhsa_system_sgpr_workgroup_id_y 0
		.amdhsa_system_sgpr_workgroup_id_z 0
		.amdhsa_system_sgpr_workgroup_info 0
		.amdhsa_system_vgpr_workitem_id 0
		.amdhsa_next_free_vgpr 20
		.amdhsa_next_free_sgpr 20
		.amdhsa_named_barrier_count 0
		.amdhsa_reserve_vcc 1
		.amdhsa_float_round_mode_32 0
		.amdhsa_float_round_mode_16_64 0
		.amdhsa_float_denorm_mode_32 3
		.amdhsa_float_denorm_mode_16_64 3
		.amdhsa_fp16_overflow 0
		.amdhsa_memory_ordered 1
		.amdhsa_forward_progress 1
		.amdhsa_inst_pref_size 5
		.amdhsa_round_robin_scheduling 0
		.amdhsa_exception_fp_ieee_invalid_op 0
		.amdhsa_exception_fp_denorm_src 0
		.amdhsa_exception_fp_ieee_div_zero 0
		.amdhsa_exception_fp_ieee_overflow 0
		.amdhsa_exception_fp_ieee_underflow 0
		.amdhsa_exception_fp_ieee_inexact 0
		.amdhsa_exception_int_div_zero 0
	.end_amdhsa_kernel
	.section	.text._ZN9rocsolver6v33100L10rot_kernelIf19rocblas_complex_numIfEiEEvT1_PT0_S4_S6_S4_T_S7_,"axG",@progbits,_ZN9rocsolver6v33100L10rot_kernelIf19rocblas_complex_numIfEiEEvT1_PT0_S4_S6_S4_T_S7_,comdat
.Lfunc_end97:
	.size	_ZN9rocsolver6v33100L10rot_kernelIf19rocblas_complex_numIfEiEEvT1_PT0_S4_S6_S4_T_S7_, .Lfunc_end97-_ZN9rocsolver6v33100L10rot_kernelIf19rocblas_complex_numIfEiEEvT1_PT0_S4_S6_S4_T_S7_
                                        ; -- End function
	.set _ZN9rocsolver6v33100L10rot_kernelIf19rocblas_complex_numIfEiEEvT1_PT0_S4_S6_S4_T_S7_.num_vgpr, 20
	.set _ZN9rocsolver6v33100L10rot_kernelIf19rocblas_complex_numIfEiEEvT1_PT0_S4_S6_S4_T_S7_.num_agpr, 0
	.set _ZN9rocsolver6v33100L10rot_kernelIf19rocblas_complex_numIfEiEEvT1_PT0_S4_S6_S4_T_S7_.numbered_sgpr, 20
	.set _ZN9rocsolver6v33100L10rot_kernelIf19rocblas_complex_numIfEiEEvT1_PT0_S4_S6_S4_T_S7_.num_named_barrier, 0
	.set _ZN9rocsolver6v33100L10rot_kernelIf19rocblas_complex_numIfEiEEvT1_PT0_S4_S6_S4_T_S7_.private_seg_size, 0
	.set _ZN9rocsolver6v33100L10rot_kernelIf19rocblas_complex_numIfEiEEvT1_PT0_S4_S6_S4_T_S7_.uses_vcc, 1
	.set _ZN9rocsolver6v33100L10rot_kernelIf19rocblas_complex_numIfEiEEvT1_PT0_S4_S6_S4_T_S7_.uses_flat_scratch, 0
	.set _ZN9rocsolver6v33100L10rot_kernelIf19rocblas_complex_numIfEiEEvT1_PT0_S4_S6_S4_T_S7_.has_dyn_sized_stack, 0
	.set _ZN9rocsolver6v33100L10rot_kernelIf19rocblas_complex_numIfEiEEvT1_PT0_S4_S6_S4_T_S7_.has_recursion, 0
	.set _ZN9rocsolver6v33100L10rot_kernelIf19rocblas_complex_numIfEiEEvT1_PT0_S4_S6_S4_T_S7_.has_indirect_call, 0
	.section	.AMDGPU.csdata,"",@progbits
; Kernel info:
; codeLenInByte = 616
; TotalNumSgprs: 22
; NumVgprs: 20
; ScratchSize: 0
; MemoryBound: 0
; FloatMode: 240
; IeeeMode: 1
; LDSByteSize: 0 bytes/workgroup (compile time only)
; SGPRBlocks: 0
; VGPRBlocks: 1
; NumSGPRsForWavesPerEU: 22
; NumVGPRsForWavesPerEU: 20
; NamedBarCnt: 0
; Occupancy: 16
; WaveLimiterHint : 0
; COMPUTE_PGM_RSRC2:SCRATCH_EN: 0
; COMPUTE_PGM_RSRC2:USER_SGPR: 2
; COMPUTE_PGM_RSRC2:TRAP_HANDLER: 0
; COMPUTE_PGM_RSRC2:TGID_X_EN: 1
; COMPUTE_PGM_RSRC2:TGID_Y_EN: 0
; COMPUTE_PGM_RSRC2:TGID_Z_EN: 0
; COMPUTE_PGM_RSRC2:TIDIG_COMP_CNT: 0
	.section	.text._ZN9rocsolver6v33100L11lasr_kernelI19rocblas_complex_numIfEfPS3_iEEv13rocblas_side_14rocblas_pivot_15rocblas_direct_T2_S8_PT0_lSA_lT1_lS8_lS8_,"axG",@progbits,_ZN9rocsolver6v33100L11lasr_kernelI19rocblas_complex_numIfEfPS3_iEEv13rocblas_side_14rocblas_pivot_15rocblas_direct_T2_S8_PT0_lSA_lT1_lS8_lS8_,comdat
	.globl	_ZN9rocsolver6v33100L11lasr_kernelI19rocblas_complex_numIfEfPS3_iEEv13rocblas_side_14rocblas_pivot_15rocblas_direct_T2_S8_PT0_lSA_lT1_lS8_lS8_ ; -- Begin function _ZN9rocsolver6v33100L11lasr_kernelI19rocblas_complex_numIfEfPS3_iEEv13rocblas_side_14rocblas_pivot_15rocblas_direct_T2_S8_PT0_lSA_lT1_lS8_lS8_
	.p2align	8
	.type	_ZN9rocsolver6v33100L11lasr_kernelI19rocblas_complex_numIfEfPS3_iEEv13rocblas_side_14rocblas_pivot_15rocblas_direct_T2_S8_PT0_lSA_lT1_lS8_lS8_,@function
_ZN9rocsolver6v33100L11lasr_kernelI19rocblas_complex_numIfEfPS3_iEEv13rocblas_side_14rocblas_pivot_15rocblas_direct_T2_S8_PT0_lSA_lT1_lS8_lS8_: ; @_ZN9rocsolver6v33100L11lasr_kernelI19rocblas_complex_numIfEfPS3_iEEv13rocblas_side_14rocblas_pivot_15rocblas_direct_T2_S8_PT0_lSA_lT1_lS8_lS8_
; %bb.0:
	s_load_b32 s33, s[0:1], 0x58
	s_bfe_u32 s2, ttmp6, 0x40014
	s_lshr_b32 s3, ttmp7, 16
	s_add_co_i32 s2, s2, 1
	s_bfe_u32 s5, ttmp6, 0x40008
	s_mul_i32 s2, s3, s2
	s_getreg_b32 s4, hwreg(HW_REG_IB_STS2, 6, 4)
	s_add_co_i32 s5, s5, s2
	s_cmp_eq_u32 s4, 0
	s_cselect_b32 s2, s3, s5
	s_mov_b32 s3, 0
	s_wait_kmcnt 0x0
	s_cmp_ge_u32 s2, s33
	s_cbranch_scc1 .LBB98_108
; %bb.1:
	s_clause 0x3
	s_load_b32 s20, s[0:1], 0x48
	s_load_b64 s[22:23], s[0:1], 0x68
	s_load_b128 s[16:19], s[0:1], 0x38
	s_load_b128 s[12:15], s[0:1], 0x0
	s_bfe_u32 s5, ttmp6, 0x4000c
	s_and_b32 s6, ttmp6, 15
	s_add_co_i32 s5, s5, 1
	s_load_b32 s24, s[0:1], 0x60
	s_mul_i32 s5, ttmp9, s5
	s_mov_b32 s37, s3
	s_add_co_i32 s6, s6, s5
	s_mov_b32 s49, s3
	s_wait_kmcnt 0x0
	s_ashr_i32 s21, s20, 31
	s_and_b32 s25, s23, 0xffff
	s_cmp_eq_u32 s4, 0
	s_load_b32 s23, s[0:1], 0x10
	s_cselect_b32 s26, ttmp9, s6
	s_lshl_b64 s[46:47], s[18:19], 3
	v_mad_u32 v0, s26, s25, v0
	s_cmp_eq_u32 s12, 0x8d
	s_load_b64 s[18:19], s[0:1], 0x50
	s_cselect_b32 s27, -1, 0
	s_cmp_eq_u32 s12, 0x8e
	s_load_b256 s[4:11], s[0:1], 0x18
	s_cselect_b32 s28, -1, 0
	s_cmp_eq_u32 s13, 0x119
	s_mul_i32 s12, s24, s25
	s_cselect_b32 s29, -1, 0
	s_cmp_eq_u32 s13, 0x11b
	v_ashrrev_i32_e32 v1, 31, v0
	s_wait_xcnt 0x0
	s_cselect_b32 s0, -1, 0
	s_cmp_eq_u32 s13, 0x11a
	s_add_nc_u64 s[24:25], s[16:17], s[46:47]
	s_cselect_b32 s1, -1, 0
	v_mul_u64_e32 v[10:11], s[20:21], v[0:1]
	s_cmp_eq_u32 s14, 0xab
	v_lshlrev_b64_e32 v[8:9], 3, v[0:1]
	s_cselect_b32 s13, -1, 0
	s_cmp_eq_u32 s14, 0xac
	v_mov_b32_e32 v1, 0
	s_cselect_b32 s26, -1, 0
	s_and_b32 s14, s27, s29
	s_and_b32 s30, s27, s1
	;; [unrolled: 1-line block ×5, first 2 shown]
	s_xor_b32 s14, s31, -1
	s_and_b32 s31, s27, s13
	s_and_b32 s29, s28, s29
	;; [unrolled: 1-line block ×4, first 2 shown]
	s_xor_b32 s80, s27, -1
	s_and_b32 s27, s29, s26
	s_and_b32 s30, s30, s26
	s_xor_b32 s82, s27, -1
	s_and_b32 s27, s28, s0
	v_cmp_gt_i32_e64 s0, s15, v0
	s_and_b32 s1, s28, s1
	s_xor_b32 s78, s30, -1
	s_and_b32 s30, s29, s13
	s_and_b32 s29, s1, s13
	s_and_b32 s1, s1, s26
	s_and_b32 s13, s27, s13
	s_xor_b32 s84, s1, -1
	s_and_b32 s1, s26, s0
	s_wait_kmcnt 0x0
	s_add_co_i32 s26, s23, -1
	s_xor_b32 s76, s34, -1
	s_xor_b32 s77, s35, -1
	;; [unrolled: 1-line block ×6, first 2 shown]
	s_and_b32 s86, s27, s1
	s_ashr_i32 s27, s26, 31
	s_add_co_i32 s36, s23, -2
	s_cmp_gt_i32 s23, 1
	s_mul_u64 s[28:29], s[20:21], s[26:27]
	s_mov_b32 s27, s3
	s_cselect_b32 s87, -1, 0
	s_ashr_i32 s31, s15, 31
	s_add_co_i32 s48, s15, -2
	s_cmp_gt_i32 s15, 1
	s_mul_u64 s[50:51], s[20:21], s[26:27]
	s_cselect_b32 s88, -1, 0
	s_lshl_b64 s[38:39], s[36:37], 2
	s_mul_u64 s[36:37], s[20:21], s[36:37]
	s_lshl_b64 s[50:51], s[50:51], 3
	s_lshl_b64 s[36:37], s[36:37], 3
	;; [unrolled: 1-line block ×3, first 2 shown]
	s_add_nc_u64 s[50:51], s[50:51], s[46:47]
	s_add_nc_u64 s[40:41], s[36:37], s[46:47]
	;; [unrolled: 1-line block ×4, first 2 shown]
	v_lshl_add_u64 v[14:15], v[10:11], 3, s[46:47]
	s_add_nc_u64 s[34:35], s[4:5], s[38:39]
	s_add_nc_u64 s[36:37], s[8:9], s[38:39]
	;; [unrolled: 1-line block ×4, first 2 shown]
	v_add_nc_u64_e32 v[6:7], s[50:51], v[8:9]
	s_lshl_b64 s[50:51], s[48:49], 3
	v_add_nc_u64_e32 v[2:3], s[38:39], v[8:9]
	v_add_nc_u64_e32 v[4:5], s[24:25], v[8:9]
	;; [unrolled: 1-line block ×3, first 2 shown]
	s_lshl_b64 s[52:53], s[48:49], 2
	s_add_nc_u64 s[48:49], s[16:17], s[50:51]
	v_add_nc_u64_e32 v[10:11], s[16:17], v[14:15]
	v_add_nc_u64_e32 v[12:13], s[48:49], v[14:15]
	s_add_co_i32 s46, s15, -1
	s_mov_b32 s47, s3
	s_ashr_i32 s13, s12, 31
	s_lshl_b64 s[50:51], s[46:47], 3
	v_cmp_gt_i32_e64 s1, s23, v0
	s_add_nc_u64 s[16:17], s[16:17], s[50:51]
	v_add_nc_u64_e32 v[16:17], 8, v[10:11]
	v_add_nc_u64_e32 v[14:15], s[16:17], v[14:15]
	;; [unrolled: 1-line block ×3, first 2 shown]
	s_mul_u64 s[50:51], s[20:21], s[12:13]
	s_mov_b32 s30, s15
	s_lshl_b64 s[6:7], s[6:7], 2
	s_lshl_b64 s[10:11], s[10:11], 2
	;; [unrolled: 1-line block ×4, first 2 shown]
	s_sub_nc_u64 s[44:45], 0, s[42:43]
	s_add_co_i32 s27, s23, 1
	s_add_nc_u64 s[48:49], s[4:5], s[52:53]
	s_add_nc_u64 s[16:17], s[8:9], s[52:53]
	s_lshl_b64 s[50:51], s[50:51], 3
	s_add_co_i32 s13, s15, 1
	s_branch .LBB98_4
.LBB98_2:                               ;   in Loop: Header=BB98_4 Depth=1
	s_or_b32 exec_lo, exec_lo, s47
.LBB98_3:                               ;   in Loop: Header=BB98_4 Depth=1
	s_add_co_i32 s2, s2, s22
	s_delay_alu instid0(SALU_CYCLE_1)
	s_cmp_ge_u32 s2, s33
	s_cbranch_scc1 .LBB98_108
.LBB98_4:                               ; =>This Loop Header: Depth=1
                                        ;     Child Loop BB98_19 Depth 2
                                        ;       Child Loop BB98_20 Depth 3
                                        ;     Child Loop BB98_26 Depth 2
                                        ;       Child Loop BB98_27 Depth 3
	;; [unrolled: 2-line block ×12, first 2 shown]
	s_mul_u64 s[62:63], s[38:39], s[2:3]
	s_mul_u64 s[54:55], s[18:19], s[2:3]
	v_add_nc_u64_e32 v[20:21], s[62:63], v[16:17]
	s_mul_u64 s[64:65], s[6:7], s[2:3]
	s_mul_u64 s[66:67], s[10:11], s[2:3]
	s_lshl_b64 s[56:57], s[54:55], 3
	s_add_nc_u64 s[52:53], s[4:5], s[64:65]
	s_add_nc_u64 s[54:55], s[8:9], s[66:67]
	;; [unrolled: 1-line block ×3, first 2 shown]
	s_and_b32 vcc_lo, exec_lo, s14
	s_mov_b32 s47, -1
	s_cbranch_vccnz .LBB98_6
; %bb.5:                                ;   in Loop: Header=BB98_4 Depth=1
	s_and_not1_b32 vcc_lo, exec_lo, s47
	s_cbranch_vccnz .LBB98_3
	s_branch .LBB98_103
.LBB98_6:                               ;   in Loop: Header=BB98_4 Depth=1
	s_add_nc_u64 s[58:59], s[48:49], s[64:65]
	s_add_nc_u64 s[60:61], s[16:17], s[66:67]
	s_and_b32 vcc_lo, exec_lo, s76
	s_cbranch_vccz .LBB98_95
; %bb.7:                                ;   in Loop: Header=BB98_4 Depth=1
	s_and_b32 vcc_lo, exec_lo, s77
	s_cbranch_vccz .LBB98_87
; %bb.8:                                ;   in Loop: Header=BB98_4 Depth=1
	;; [unrolled: 3-line block ×3, first 2 shown]
	s_and_b32 vcc_lo, exec_lo, s79
	s_cbranch_vccz .LBB98_71
; %bb.10:                               ;   in Loop: Header=BB98_4 Depth=1
	s_and_b32 vcc_lo, exec_lo, s80
	s_cbranch_vccz .LBB98_63
; %bb.11:                               ;   in Loop: Header=BB98_4 Depth=1
	v_add_nc_u64_e32 v[22:23], s[62:63], v[4:5]
	s_and_b32 vcc_lo, exec_lo, s81
	s_cbranch_vccz .LBB98_55
; %bb.12:                               ;   in Loop: Header=BB98_4 Depth=1
	v_add_nc_u64_e32 v[24:25], s[62:63], v[6:7]
	v_add_nc_u64_e32 v[26:27], s[62:63], v[2:3]
	s_add_nc_u64 s[64:65], s[34:35], s[64:65]
	s_add_nc_u64 s[66:67], s[36:37], s[66:67]
	s_and_b32 vcc_lo, exec_lo, s82
	s_cbranch_vccz .LBB98_46
; %bb.13:                               ;   in Loop: Header=BB98_4 Depth=1
	s_and_b32 vcc_lo, exec_lo, s83
	s_cbranch_vccz .LBB98_38
; %bb.14:                               ;   in Loop: Header=BB98_4 Depth=1
	;; [unrolled: 3-line block ×4, first 2 shown]
	s_and_saveexec_b32 s47, s86
	s_cbranch_execz .LBB98_21
; %bb.17:                               ;   in Loop: Header=BB98_4 Depth=1
	v_mov_b64_e32 v[28:29], v[26:27]
	v_mov_b32_e32 v30, v0
	s_lshl_b64 s[68:69], s[28:29], 3
	s_mov_b32 s74, 0
	s_add_nc_u64 s[68:69], s[56:57], s[68:69]
	s_branch .LBB98_19
.LBB98_18:                              ;   in Loop: Header=BB98_19 Depth=2
	v_ashrrev_i32_e32 v31, 31, v30
	v_add_nc_u64_e32 v[28:29], s[40:41], v[28:29]
	s_delay_alu instid0(VALU_DEP_2)
	v_lshl_add_u64 v[34:35], v[30:31], 3, s[68:69]
	s_wait_xcnt 0x0
	v_add_nc_u32_e32 v30, s12, v30
	s_wait_loadcnt 0x0
	global_store_b64 v[34:35], v[32:33], off
	v_cmp_le_i32_e32 vcc_lo, s15, v30
	s_or_b32 s74, vcc_lo, s74
	s_wait_xcnt 0x0
	s_and_not1_b32 exec_lo, exec_lo, s74
	s_cbranch_execz .LBB98_21
.LBB98_19:                              ;   Parent Loop BB98_4 Depth=1
                                        ; =>  This Loop Header: Depth=2
                                        ;       Child Loop BB98_20 Depth 3
	global_load_b64 v[32:33], v30, s[68:69] scale_offset
	v_mov_b64_e32 v[34:35], v[28:29]
	s_and_not1_b32 vcc_lo, exec_lo, s87
	s_mov_b64 s[70:71], s[66:67]
	s_mov_b64 s[72:73], s[64:65]
	s_mov_b32 s75, s26
	s_cbranch_vccnz .LBB98_18
.LBB98_20:                              ;   Parent Loop BB98_4 Depth=1
                                        ;     Parent Loop BB98_19 Depth=2
                                        ; =>    This Inner Loop Header: Depth=3
	global_load_b64 v[36:37], v[34:35], off
	s_clause 0x1
	global_load_b32 v38, v1, s[72:73]
	global_load_b32 v40, v1, s[70:71]
	s_add_co_i32 s75, s75, -1
	s_wait_xcnt 0x1
	s_add_nc_u64 s[72:73], s[72:73], -4
	s_cmp_eq_u32 s75, 0
	s_wait_xcnt 0x0
	s_add_nc_u64 s[70:71], s[70:71], -4
	s_wait_loadcnt 0x1
	v_pk_mul_f32 v[42:43], v[38:39], v[36:37] op_sel_hi:[0,1]
	s_wait_loadcnt 0x0
	v_pk_mul_f32 v[36:37], v[40:41], v[36:37] op_sel_hi:[0,1]
	s_delay_alu instid0(VALU_DEP_2) | instskip(NEXT) | instid1(VALU_DEP_2)
	v_pk_fma_f32 v[42:43], v[32:33], v[40:41], v[42:43] op_sel_hi:[1,0,1]
	v_pk_fma_f32 v[32:33], v[32:33], v[38:39], v[36:37] op_sel_hi:[1,0,1] neg_lo:[0,0,1] neg_hi:[0,0,1]
	global_store_b64 v[34:35], v[42:43], off
	s_wait_xcnt 0x0
	v_add_nc_u64_e32 v[34:35], s[44:45], v[34:35]
	s_cbranch_scc0 .LBB98_20
	s_branch .LBB98_18
.LBB98_21:                              ;   in Loop: Header=BB98_4 Depth=1
	s_or_b32 exec_lo, exec_lo, s47
	s_mov_b32 s47, 0
.LBB98_22:                              ;   in Loop: Header=BB98_4 Depth=1
	s_delay_alu instid0(SALU_CYCLE_1)
	s_and_not1_b32 vcc_lo, exec_lo, s47
	s_cbranch_vccnz .LBB98_29
; %bb.23:                               ;   in Loop: Header=BB98_4 Depth=1
	s_and_saveexec_b32 s47, s0
	s_cbranch_execz .LBB98_28
; %bb.24:                               ;   in Loop: Header=BB98_4 Depth=1
	v_mov_b64_e32 v[28:29], v[22:23]
	v_mov_b32_e32 v30, v0
	s_lshl_b64 s[68:69], s[28:29], 3
	s_mov_b32 s74, 0
	s_add_nc_u64 s[68:69], s[56:57], s[68:69]
	s_branch .LBB98_26
.LBB98_25:                              ;   in Loop: Header=BB98_26 Depth=2
	v_ashrrev_i32_e32 v31, 31, v30
	v_add_nc_u64_e32 v[28:29], s[40:41], v[28:29]
	s_delay_alu instid0(VALU_DEP_2)
	v_lshl_add_u64 v[34:35], v[30:31], 3, s[68:69]
	s_wait_xcnt 0x0
	v_add_nc_u32_e32 v30, s12, v30
	s_wait_loadcnt 0x0
	global_store_b64 v[34:35], v[32:33], off
	v_cmp_le_i32_e32 vcc_lo, s15, v30
	s_or_b32 s74, vcc_lo, s74
	s_wait_xcnt 0x0
	s_and_not1_b32 exec_lo, exec_lo, s74
	s_cbranch_execz .LBB98_28
.LBB98_26:                              ;   Parent Loop BB98_4 Depth=1
                                        ; =>  This Loop Header: Depth=2
                                        ;       Child Loop BB98_27 Depth 3
	global_load_b64 v[32:33], v30, s[68:69] scale_offset
	v_mov_b64_e32 v[34:35], v[28:29]
	s_and_not1_b32 vcc_lo, exec_lo, s87
	s_mov_b64 s[70:71], s[54:55]
	s_mov_b64 s[72:73], s[52:53]
	s_mov_b32 s75, s26
	s_cbranch_vccnz .LBB98_25
.LBB98_27:                              ;   Parent Loop BB98_4 Depth=1
                                        ;     Parent Loop BB98_26 Depth=2
                                        ; =>    This Inner Loop Header: Depth=3
	global_load_b64 v[36:37], v[34:35], off
	s_clause 0x1
	global_load_b32 v38, v1, s[72:73]
	global_load_b32 v40, v1, s[70:71]
	s_add_co_i32 s75, s75, -1
	s_wait_xcnt 0x1
	s_add_nc_u64 s[72:73], s[72:73], 4
	s_cmp_eq_u32 s75, 0
	s_wait_xcnt 0x0
	s_add_nc_u64 s[70:71], s[70:71], 4
	s_wait_loadcnt 0x1
	v_pk_mul_f32 v[42:43], v[38:39], v[36:37] op_sel_hi:[0,1]
	s_wait_loadcnt 0x0
	v_pk_mul_f32 v[36:37], v[40:41], v[36:37] op_sel_hi:[0,1]
	s_delay_alu instid0(VALU_DEP_2) | instskip(NEXT) | instid1(VALU_DEP_2)
	v_pk_fma_f32 v[42:43], v[32:33], v[40:41], v[42:43] op_sel_hi:[1,0,1]
	v_pk_fma_f32 v[32:33], v[32:33], v[38:39], v[36:37] op_sel_hi:[1,0,1] neg_lo:[0,0,1] neg_hi:[0,0,1]
	global_store_b64 v[34:35], v[42:43], off
	s_wait_xcnt 0x0
	v_add_nc_u64_e32 v[34:35], s[42:43], v[34:35]
	s_cbranch_scc0 .LBB98_27
	s_branch .LBB98_25
.LBB98_28:                              ;   in Loop: Header=BB98_4 Depth=1
	s_or_b32 exec_lo, exec_lo, s47
.LBB98_29:                              ;   in Loop: Header=BB98_4 Depth=1
	s_mov_b32 s47, 0
.LBB98_30:                              ;   in Loop: Header=BB98_4 Depth=1
	s_delay_alu instid0(SALU_CYCLE_1)
	s_and_not1_b32 vcc_lo, exec_lo, s47
	s_cbranch_vccnz .LBB98_37
; %bb.31:                               ;   in Loop: Header=BB98_4 Depth=1
	s_and_saveexec_b32 s47, s0
	s_cbranch_execz .LBB98_36
; %bb.32:                               ;   in Loop: Header=BB98_4 Depth=1
	v_mov_b64_e32 v[28:29], v[24:25]
	v_mov_b32_e32 v30, v0
	s_mov_b32 s72, 0
	s_branch .LBB98_34
.LBB98_33:                              ;   in Loop: Header=BB98_34 Depth=2
	v_ashrrev_i32_e32 v31, 31, v30
	v_add_nc_u64_e32 v[28:29], s[40:41], v[28:29]
	s_delay_alu instid0(VALU_DEP_2)
	v_lshl_add_u64 v[34:35], v[30:31], 3, s[56:57]
	s_wait_xcnt 0x0
	v_add_nc_u32_e32 v30, s12, v30
	s_wait_loadcnt 0x0
	global_store_b64 v[34:35], v[32:33], off
	v_cmp_le_i32_e32 vcc_lo, s15, v30
	s_or_b32 s72, vcc_lo, s72
	s_wait_xcnt 0x0
	s_and_not1_b32 exec_lo, exec_lo, s72
	s_cbranch_execz .LBB98_36
.LBB98_34:                              ;   Parent Loop BB98_4 Depth=1
                                        ; =>  This Loop Header: Depth=2
                                        ;       Child Loop BB98_35 Depth 3
	global_load_b64 v[32:33], v30, s[56:57] scale_offset
	v_mov_b64_e32 v[34:35], v[28:29]
	s_and_not1_b32 vcc_lo, exec_lo, s87
	s_mov_b64 s[68:69], s[66:67]
	s_mov_b64 s[70:71], s[64:65]
	s_mov_b32 s73, s27
	s_cbranch_vccnz .LBB98_33
.LBB98_35:                              ;   Parent Loop BB98_4 Depth=1
                                        ;     Parent Loop BB98_34 Depth=2
                                        ; =>    This Inner Loop Header: Depth=3
	s_clause 0x1
	global_load_b32 v36, v1, s[68:69]
	global_load_b32 v38, v1, s[70:71]
	global_load_b64 v[40:41], v[34:35], off
	s_add_co_i32 s73, s73, -1
	s_wait_xcnt 0x1
	s_add_nc_u64 s[70:71], s[70:71], -4
	s_cmp_lt_u32 s73, 3
	s_add_nc_u64 s[68:69], s[68:69], -4
	s_wait_loadcnt 0x2
	v_pk_mul_f32 v[42:43], v[32:33], v[36:37] op_sel_hi:[1,0]
	s_wait_loadcnt 0x0
	v_pk_mul_f32 v[36:37], v[36:37], v[40:41] op_sel_hi:[0,1]
	s_delay_alu instid0(VALU_DEP_2) | instskip(NEXT) | instid1(VALU_DEP_2)
	v_pk_fma_f32 v[42:43], v[38:39], v[40:41], v[42:43] op_sel_hi:[0,1,1] neg_lo:[0,0,1] neg_hi:[0,0,1]
	v_pk_fma_f32 v[32:33], v[32:33], v[38:39], v[36:37] op_sel_hi:[1,0,1]
	global_store_b64 v[34:35], v[42:43], off
	s_wait_xcnt 0x0
	v_add_nc_u64_e32 v[34:35], s[44:45], v[34:35]
	s_cbranch_scc0 .LBB98_35
	s_branch .LBB98_33
.LBB98_36:                              ;   in Loop: Header=BB98_4 Depth=1
	s_or_b32 exec_lo, exec_lo, s47
.LBB98_37:                              ;   in Loop: Header=BB98_4 Depth=1
	s_mov_b32 s47, 0
.LBB98_38:                              ;   in Loop: Header=BB98_4 Depth=1
	s_delay_alu instid0(SALU_CYCLE_1)
	s_and_not1_b32 vcc_lo, exec_lo, s47
	s_cbranch_vccnz .LBB98_45
; %bb.39:                               ;   in Loop: Header=BB98_4 Depth=1
	s_and_saveexec_b32 s47, s0
	s_cbranch_execz .LBB98_44
; %bb.40:                               ;   in Loop: Header=BB98_4 Depth=1
	v_add_nc_u64_e32 v[28:29], s[62:63], v[8:9]
	v_mov_b32_e32 v30, v0
	s_mov_b32 s72, 0
	s_branch .LBB98_42
.LBB98_41:                              ;   in Loop: Header=BB98_42 Depth=2
	v_ashrrev_i32_e32 v31, 31, v30
	v_add_nc_u64_e32 v[28:29], s[40:41], v[28:29]
	s_delay_alu instid0(VALU_DEP_2)
	v_lshl_add_u64 v[34:35], v[30:31], 3, s[56:57]
	s_wait_xcnt 0x0
	v_add_nc_u32_e32 v30, s12, v30
	s_wait_loadcnt 0x0
	global_store_b64 v[34:35], v[32:33], off
	v_cmp_le_i32_e32 vcc_lo, s15, v30
	s_or_b32 s72, vcc_lo, s72
	s_wait_xcnt 0x0
	s_and_not1_b32 exec_lo, exec_lo, s72
	s_cbranch_execz .LBB98_44
.LBB98_42:                              ;   Parent Loop BB98_4 Depth=1
                                        ; =>  This Loop Header: Depth=2
                                        ;       Child Loop BB98_43 Depth 3
	global_load_b64 v[32:33], v30, s[56:57] scale_offset
	v_mov_b64_e32 v[34:35], v[28:29]
	s_and_not1_b32 vcc_lo, exec_lo, s87
	s_mov_b32 s73, s26
	s_mov_b64 s[68:69], s[52:53]
	s_mov_b64 s[70:71], s[54:55]
	s_cbranch_vccnz .LBB98_41
.LBB98_43:                              ;   Parent Loop BB98_4 Depth=1
                                        ;     Parent Loop BB98_42 Depth=2
                                        ; =>    This Inner Loop Header: Depth=3
	s_clause 0x1
	global_load_b32 v36, v1, s[70:71]
	global_load_b32 v38, v1, s[68:69]
	global_load_b64 v[40:41], v[34:35], off
	s_add_co_i32 s73, s73, -1
	s_wait_xcnt 0x2
	s_add_nc_u64 s[70:71], s[70:71], 4
	s_cmp_eq_u32 s73, 0
	s_wait_xcnt 0x1
	s_add_nc_u64 s[68:69], s[68:69], 4
	s_wait_loadcnt 0x2
	v_pk_mul_f32 v[42:43], v[32:33], v[36:37] op_sel_hi:[1,0]
	s_wait_loadcnt 0x0
	v_pk_mul_f32 v[36:37], v[36:37], v[40:41] op_sel_hi:[0,1]
	s_delay_alu instid0(VALU_DEP_2) | instskip(NEXT) | instid1(VALU_DEP_2)
	v_pk_fma_f32 v[42:43], v[38:39], v[40:41], v[42:43] op_sel_hi:[0,1,1] neg_lo:[0,0,1] neg_hi:[0,0,1]
	v_pk_fma_f32 v[32:33], v[32:33], v[38:39], v[36:37] op_sel_hi:[1,0,1]
	global_store_b64 v[34:35], v[42:43], off
	s_wait_xcnt 0x0
	v_add_nc_u64_e32 v[34:35], s[42:43], v[34:35]
	s_cbranch_scc0 .LBB98_43
	s_branch .LBB98_41
.LBB98_44:                              ;   in Loop: Header=BB98_4 Depth=1
	s_or_b32 exec_lo, exec_lo, s47
.LBB98_45:                              ;   in Loop: Header=BB98_4 Depth=1
	s_mov_b32 s47, 0
.LBB98_46:                              ;   in Loop: Header=BB98_4 Depth=1
	s_delay_alu instid0(SALU_CYCLE_1)
	s_and_not1_b32 vcc_lo, exec_lo, s47
	s_cbranch_vccnz .LBB98_54
; %bb.47:                               ;   in Loop: Header=BB98_4 Depth=1
	s_and_saveexec_b32 s47, s0
	s_cbranch_execz .LBB98_53
; %bb.48:                               ;   in Loop: Header=BB98_4 Depth=1
	v_mov_b32_e32 v28, v0
	s_lshl_b64 s[68:69], s[28:29], 3
	s_mov_b32 s89, 0
	s_add_nc_u64 s[68:69], s[56:57], s[68:69]
	s_branch .LBB98_50
.LBB98_49:                              ;   in Loop: Header=BB98_50 Depth=2
	v_ashrrev_i32_e32 v29, 31, v28
	v_add_nc_u64_e32 v[24:25], s[40:41], v[24:25]
	v_add_nc_u64_e32 v[26:27], s[40:41], v[26:27]
	s_delay_alu instid0(VALU_DEP_3)
	v_lshl_add_u64 v[32:33], v[28:29], 3, s[56:57]
	s_wait_xcnt 0x0
	v_add_nc_u32_e32 v28, s12, v28
	s_wait_loadcnt 0x0
	global_store_b64 v[32:33], v[30:31], off
	v_cmp_le_i32_e32 vcc_lo, s15, v28
	s_or_b32 s89, vcc_lo, s89
	s_wait_xcnt 0x0
	s_and_not1_b32 exec_lo, exec_lo, s89
	s_cbranch_execz .LBB98_53
.LBB98_50:                              ;   Parent Loop BB98_4 Depth=1
                                        ; =>  This Loop Header: Depth=2
                                        ;       Child Loop BB98_52 Depth 3
	global_load_b64 v[30:31], v28, s[68:69] scale_offset
	s_and_not1_b32 vcc_lo, exec_lo, s87
	s_cbranch_vccnz .LBB98_49
; %bb.51:                               ;   in Loop: Header=BB98_50 Depth=2
	s_mov_b64 s[70:71], 0
	s_mov_b64 s[72:73], s[66:67]
	;; [unrolled: 1-line block ×3, first 2 shown]
	s_mov_b32 s90, s26
.LBB98_52:                              ;   Parent Loop BB98_4 Depth=1
                                        ;     Parent Loop BB98_50 Depth=2
                                        ; =>    This Inner Loop Header: Depth=3
	v_add_nc_u64_e32 v[32:33], s[70:71], v[26:27]
	s_wait_xcnt 0x0
	v_add_nc_u64_e32 v[40:41], s[70:71], v[24:25]
	s_add_co_i32 s90, s90, -1
	s_sub_nc_u64 s[70:71], s[70:71], s[42:43]
	s_cmp_eq_u32 s90, 0
	s_clause 0x1
	global_load_b32 v34, v1, s[74:75]
	global_load_b32 v36, v1, s[72:73]
	global_load_b64 v[32:33], v[32:33], off
	s_wait_xcnt 0x2
	s_add_nc_u64 s[74:75], s[74:75], -4
	s_wait_xcnt 0x1
	s_add_nc_u64 s[72:73], s[72:73], -4
	s_wait_loadcnt 0x0
	v_pk_mul_f32 v[38:39], v[36:37], v[32:33] op_sel_hi:[0,1]
	s_wait_xcnt 0x0
	v_pk_mul_f32 v[32:33], v[34:35], v[32:33] op_sel_hi:[0,1]
	s_delay_alu instid0(VALU_DEP_2) | instskip(NEXT) | instid1(VALU_DEP_2)
	v_pk_fma_f32 v[34:35], v[30:31], v[34:35], v[38:39] op_sel_hi:[1,0,1] neg_lo:[0,0,1] neg_hi:[0,0,1]
	v_pk_fma_f32 v[30:31], v[30:31], v[36:37], v[32:33] op_sel_hi:[1,0,1]
	global_store_b64 v[40:41], v[34:35], off
	s_cbranch_scc0 .LBB98_52
	s_branch .LBB98_49
.LBB98_53:                              ;   in Loop: Header=BB98_4 Depth=1
	s_or_b32 exec_lo, exec_lo, s47
.LBB98_54:                              ;   in Loop: Header=BB98_4 Depth=1
	s_mov_b32 s47, 0
.LBB98_55:                              ;   in Loop: Header=BB98_4 Depth=1
	s_delay_alu instid0(SALU_CYCLE_1)
	s_and_not1_b32 vcc_lo, exec_lo, s47
	s_cbranch_vccnz .LBB98_62
; %bb.56:                               ;   in Loop: Header=BB98_4 Depth=1
	s_and_saveexec_b32 s47, s0
	s_cbranch_execz .LBB98_61
; %bb.57:                               ;   in Loop: Header=BB98_4 Depth=1
	v_mov_b32_e32 v24, v0
	s_lshl_b64 s[64:65], s[28:29], 3
	s_mov_b32 s70, 0
	s_add_nc_u64 s[64:65], s[56:57], s[64:65]
	s_branch .LBB98_59
.LBB98_58:                              ;   in Loop: Header=BB98_59 Depth=2
	v_ashrrev_i32_e32 v25, 31, v24
	v_add_nc_u64_e32 v[22:23], s[40:41], v[22:23]
	s_delay_alu instid0(VALU_DEP_2)
	v_lshl_add_u64 v[28:29], v[24:25], 3, s[64:65]
	s_wait_xcnt 0x0
	v_add_nc_u32_e32 v24, s12, v24
	s_wait_loadcnt 0x0
	global_store_b64 v[28:29], v[26:27], off
	v_cmp_le_i32_e32 vcc_lo, s15, v24
	s_or_b32 s70, vcc_lo, s70
	s_wait_xcnt 0x0
	s_and_not1_b32 exec_lo, exec_lo, s70
	s_cbranch_execz .LBB98_61
.LBB98_59:                              ;   Parent Loop BB98_4 Depth=1
                                        ; =>  This Loop Header: Depth=2
                                        ;       Child Loop BB98_60 Depth 3
	global_load_b64 v[26:27], v24, s[56:57] scale_offset
	v_mov_b64_e32 v[28:29], v[22:23]
	s_and_not1_b32 vcc_lo, exec_lo, s87
	s_mov_b64 s[66:67], s[54:55]
	s_mov_b64 s[68:69], s[52:53]
	s_mov_b32 s71, s26
	s_cbranch_vccnz .LBB98_58
.LBB98_60:                              ;   Parent Loop BB98_4 Depth=1
                                        ;     Parent Loop BB98_59 Depth=2
                                        ; =>    This Inner Loop Header: Depth=3
	s_delay_alu instid0(VALU_DEP_1)
	v_add_nc_u64_e32 v[30:31], s[42:43], v[28:29]
	s_add_co_i32 s71, s71, -1
	global_load_b64 v[32:33], v[30:31], off
	s_clause 0x1
	global_load_b32 v34, v1, s[66:67]
	global_load_b32 v36, v1, s[68:69]
	s_wait_xcnt 0x0
	s_add_nc_u64 s[68:69], s[68:69], 4
	s_cmp_eq_u32 s71, 0
	s_add_nc_u64 s[66:67], s[66:67], 4
	s_wait_loadcnt 0x1
	v_pk_mul_f32 v[38:39], v[34:35], v[32:33] op_sel_hi:[0,1]
	v_pk_mul_f32 v[34:35], v[26:27], v[34:35] op_sel_hi:[1,0]
	s_wait_loadcnt 0x0
	s_delay_alu instid0(VALU_DEP_2) | instskip(NEXT) | instid1(VALU_DEP_2)
	v_pk_fma_f32 v[38:39], v[26:27], v[36:37], v[38:39] op_sel_hi:[1,0,1]
	v_pk_fma_f32 v[26:27], v[36:37], v[32:33], v[34:35] op_sel_hi:[0,1,1] neg_lo:[0,0,1] neg_hi:[0,0,1]
	global_store_b64 v[28:29], v[38:39], off
	s_wait_xcnt 0x0
	v_mov_b64_e32 v[28:29], v[30:31]
	s_cbranch_scc0 .LBB98_60
	s_branch .LBB98_58
.LBB98_61:                              ;   in Loop: Header=BB98_4 Depth=1
	s_or_b32 exec_lo, exec_lo, s47
.LBB98_62:                              ;   in Loop: Header=BB98_4 Depth=1
	s_mov_b32 s47, 0
.LBB98_63:                              ;   in Loop: Header=BB98_4 Depth=1
	s_delay_alu instid0(SALU_CYCLE_1)
	s_and_not1_b32 vcc_lo, exec_lo, s47
	s_cbranch_vccnz .LBB98_70
; %bb.64:                               ;   in Loop: Header=BB98_4 Depth=1
	s_and_saveexec_b32 s47, s1
	s_cbranch_execz .LBB98_69
; %bb.65:                               ;   in Loop: Header=BB98_4 Depth=1
	v_add_nc_u64_e32 v[22:23], s[62:63], v[12:13]
	v_mov_b32_e32 v24, v0
	s_lshl_b64 s[64:65], s[30:31], 3
	s_mov_b32 s70, 0
	s_add_nc_u64 s[64:65], s[56:57], s[64:65]
	s_branch .LBB98_67
.LBB98_66:                              ;   in Loop: Header=BB98_67 Depth=2
	v_add_nc_u32_e32 v24, s12, v24
	v_add_nc_u64_e32 v[22:23], s[50:51], v[22:23]
	s_wait_loadcnt 0x0
	global_store_b64 v[26:27], v[28:29], off offset:-8
	v_cmp_le_i32_e32 vcc_lo, s23, v24
	s_or_b32 s70, vcc_lo, s70
	s_wait_xcnt 0x0
	s_and_not1_b32 exec_lo, exec_lo, s70
	s_cbranch_execz .LBB98_69
.LBB98_67:                              ;   Parent Loop BB98_4 Depth=1
                                        ; =>  This Loop Header: Depth=2
                                        ;       Child Loop BB98_68 Depth 3
	v_ashrrev_i32_e32 v25, 31, v24
	v_mov_b64_e32 v[30:31], v[22:23]
	s_and_not1_b32 vcc_lo, exec_lo, s88
	s_mov_b64 s[66:67], s[60:61]
	s_mov_b64 s[68:69], s[58:59]
	v_mul_u64_e32 v[26:27], s[20:21], v[24:25]
	s_mov_b32 s71, s46
	s_delay_alu instid0(VALU_DEP_1)
	v_lshl_add_u64 v[26:27], v[26:27], 3, s[64:65]
	global_load_b64 v[28:29], v[26:27], off offset:-8
	s_cbranch_vccnz .LBB98_66
.LBB98_68:                              ;   Parent Loop BB98_4 Depth=1
                                        ;     Parent Loop BB98_67 Depth=2
                                        ; =>    This Inner Loop Header: Depth=3
	global_load_b64 v[32:33], v[30:31], off
	s_clause 0x1
	global_load_b32 v34, v1, s[68:69]
	global_load_b32 v36, v1, s[66:67]
	s_add_co_i32 s71, s71, -1
	s_wait_xcnt 0x1
	s_add_nc_u64 s[68:69], s[68:69], -4
	s_cmp_eq_u32 s71, 0
	s_wait_xcnt 0x0
	s_add_nc_u64 s[66:67], s[66:67], -4
	s_wait_loadcnt 0x1
	v_pk_mul_f32 v[38:39], v[34:35], v[32:33] op_sel_hi:[0,1]
	s_wait_loadcnt 0x0
	v_pk_mul_f32 v[32:33], v[36:37], v[32:33] op_sel_hi:[0,1]
	s_delay_alu instid0(VALU_DEP_2) | instskip(NEXT) | instid1(VALU_DEP_2)
	v_pk_fma_f32 v[38:39], v[28:29], v[36:37], v[38:39] op_sel_hi:[1,0,1]
	v_pk_fma_f32 v[28:29], v[28:29], v[34:35], v[32:33] op_sel_hi:[1,0,1] neg_lo:[0,0,1] neg_hi:[0,0,1]
	global_store_b64 v[30:31], v[38:39], off
	s_wait_xcnt 0x0
	v_add_nc_u64_e32 v[30:31], -8, v[30:31]
	s_cbranch_scc0 .LBB98_68
	s_branch .LBB98_66
.LBB98_69:                              ;   in Loop: Header=BB98_4 Depth=1
	s_or_b32 exec_lo, exec_lo, s47
.LBB98_70:                              ;   in Loop: Header=BB98_4 Depth=1
	s_mov_b32 s47, 0
.LBB98_71:                              ;   in Loop: Header=BB98_4 Depth=1
	s_delay_alu instid0(SALU_CYCLE_1)
	s_and_not1_b32 vcc_lo, exec_lo, s47
	s_cbranch_vccnz .LBB98_78
; %bb.72:                               ;   in Loop: Header=BB98_4 Depth=1
	s_and_saveexec_b32 s47, s1
	s_cbranch_execz .LBB98_77
; %bb.73:                               ;   in Loop: Header=BB98_4 Depth=1
	v_add_nc_u64_e32 v[22:23], s[62:63], v[10:11]
	v_mov_b32_e32 v24, v0
	s_lshl_b64 s[64:65], s[30:31], 3
	s_mov_b32 s70, 0
	s_add_nc_u64 s[64:65], s[56:57], s[64:65]
	s_branch .LBB98_75
.LBB98_74:                              ;   in Loop: Header=BB98_75 Depth=2
	v_add_nc_u32_e32 v24, s12, v24
	v_add_nc_u64_e32 v[22:23], s[50:51], v[22:23]
	s_wait_loadcnt 0x0
	global_store_b64 v[26:27], v[28:29], off offset:-8
	v_cmp_le_i32_e32 vcc_lo, s23, v24
	s_or_b32 s70, vcc_lo, s70
	s_wait_xcnt 0x0
	s_and_not1_b32 exec_lo, exec_lo, s70
	s_cbranch_execz .LBB98_77
.LBB98_75:                              ;   Parent Loop BB98_4 Depth=1
                                        ; =>  This Loop Header: Depth=2
                                        ;       Child Loop BB98_76 Depth 3
	v_ashrrev_i32_e32 v25, 31, v24
	v_mov_b64_e32 v[30:31], v[22:23]
	s_and_not1_b32 vcc_lo, exec_lo, s88
	s_mov_b64 s[66:67], s[54:55]
	s_mov_b64 s[68:69], s[52:53]
	v_mul_u64_e32 v[26:27], s[20:21], v[24:25]
	s_mov_b32 s71, s46
	s_delay_alu instid0(VALU_DEP_1)
	v_lshl_add_u64 v[26:27], v[26:27], 3, s[64:65]
	global_load_b64 v[28:29], v[26:27], off offset:-8
	s_cbranch_vccnz .LBB98_74
.LBB98_76:                              ;   Parent Loop BB98_4 Depth=1
                                        ;     Parent Loop BB98_75 Depth=2
                                        ; =>    This Inner Loop Header: Depth=3
	global_load_b64 v[32:33], v[30:31], off
	s_clause 0x1
	global_load_b32 v34, v1, s[68:69]
	global_load_b32 v36, v1, s[66:67]
	s_add_co_i32 s71, s71, -1
	s_wait_xcnt 0x1
	s_add_nc_u64 s[68:69], s[68:69], 4
	s_cmp_eq_u32 s71, 0
	s_wait_xcnt 0x0
	s_add_nc_u64 s[66:67], s[66:67], 4
	s_wait_loadcnt 0x1
	v_pk_mul_f32 v[38:39], v[34:35], v[32:33] op_sel_hi:[0,1]
	s_wait_loadcnt 0x0
	v_pk_mul_f32 v[32:33], v[36:37], v[32:33] op_sel_hi:[0,1]
	s_delay_alu instid0(VALU_DEP_2) | instskip(NEXT) | instid1(VALU_DEP_2)
	v_pk_fma_f32 v[38:39], v[28:29], v[36:37], v[38:39] op_sel_hi:[1,0,1]
	v_pk_fma_f32 v[28:29], v[28:29], v[34:35], v[32:33] op_sel_hi:[1,0,1] neg_lo:[0,0,1] neg_hi:[0,0,1]
	global_store_b64 v[30:31], v[38:39], off
	s_wait_xcnt 0x0
	v_add_nc_u64_e32 v[30:31], 8, v[30:31]
	s_cbranch_scc0 .LBB98_76
	s_branch .LBB98_74
.LBB98_77:                              ;   in Loop: Header=BB98_4 Depth=1
	s_or_b32 exec_lo, exec_lo, s47
.LBB98_78:                              ;   in Loop: Header=BB98_4 Depth=1
	s_mov_b32 s47, 0
.LBB98_79:                              ;   in Loop: Header=BB98_4 Depth=1
	s_delay_alu instid0(SALU_CYCLE_1)
	s_and_not1_b32 vcc_lo, exec_lo, s47
	s_cbranch_vccnz .LBB98_86
; %bb.80:                               ;   in Loop: Header=BB98_4 Depth=1
	s_and_saveexec_b32 s47, s1
	s_cbranch_execz .LBB98_85
; %bb.81:                               ;   in Loop: Header=BB98_4 Depth=1
	v_add_nc_u64_e32 v[22:23], s[62:63], v[14:15]
	v_mov_b32_e32 v24, v0
	s_mov_b32 s68, 0
	s_branch .LBB98_83
.LBB98_82:                              ;   in Loop: Header=BB98_83 Depth=2
	v_add_nc_u32_e32 v24, s12, v24
	v_add_nc_u64_e32 v[22:23], s[50:51], v[22:23]
	s_wait_loadcnt 0x0
	global_store_b64 v[26:27], v[28:29], off
	v_cmp_le_i32_e32 vcc_lo, s23, v24
	s_or_b32 s68, vcc_lo, s68
	s_wait_xcnt 0x0
	s_and_not1_b32 exec_lo, exec_lo, s68
	s_cbranch_execz .LBB98_85
.LBB98_83:                              ;   Parent Loop BB98_4 Depth=1
                                        ; =>  This Loop Header: Depth=2
                                        ;       Child Loop BB98_84 Depth 3
	s_delay_alu instid0(VALU_DEP_1) | instskip(NEXT) | instid1(VALU_DEP_3)
	v_ashrrev_i32_e32 v25, 31, v24
	v_mov_b64_e32 v[30:31], v[22:23]
	s_and_not1_b32 vcc_lo, exec_lo, s88
	s_mov_b64 s[64:65], s[60:61]
	s_mov_b64 s[66:67], s[58:59]
	v_mul_u64_e32 v[26:27], s[20:21], v[24:25]
	s_mov_b32 s69, s13
	s_delay_alu instid0(VALU_DEP_1)
	v_lshl_add_u64 v[26:27], v[26:27], 3, s[56:57]
	global_load_b64 v[28:29], v[26:27], off
	s_cbranch_vccnz .LBB98_82
.LBB98_84:                              ;   Parent Loop BB98_4 Depth=1
                                        ;     Parent Loop BB98_83 Depth=2
                                        ; =>    This Inner Loop Header: Depth=3
	s_clause 0x1
	global_load_b32 v32, v1, s[64:65]
	global_load_b32 v34, v1, s[66:67]
	global_load_b64 v[36:37], v[30:31], off
	s_add_co_i32 s69, s69, -1
	s_wait_xcnt 0x1
	s_add_nc_u64 s[66:67], s[66:67], -4
	s_cmp_lt_u32 s69, 3
	s_add_nc_u64 s[64:65], s[64:65], -4
	s_wait_loadcnt 0x2
	v_pk_mul_f32 v[38:39], v[28:29], v[32:33] op_sel_hi:[1,0]
	s_wait_loadcnt 0x0
	v_pk_mul_f32 v[32:33], v[32:33], v[36:37] op_sel_hi:[0,1]
	s_delay_alu instid0(VALU_DEP_2) | instskip(NEXT) | instid1(VALU_DEP_2)
	v_pk_fma_f32 v[38:39], v[34:35], v[36:37], v[38:39] op_sel_hi:[0,1,1] neg_lo:[0,0,1] neg_hi:[0,0,1]
	v_pk_fma_f32 v[28:29], v[28:29], v[34:35], v[32:33] op_sel_hi:[1,0,1]
	global_store_b64 v[30:31], v[38:39], off
	s_wait_xcnt 0x0
	v_add_nc_u64_e32 v[30:31], -8, v[30:31]
	s_cbranch_scc0 .LBB98_84
	s_branch .LBB98_82
.LBB98_85:                              ;   in Loop: Header=BB98_4 Depth=1
	s_or_b32 exec_lo, exec_lo, s47
.LBB98_86:                              ;   in Loop: Header=BB98_4 Depth=1
	s_mov_b32 s47, 0
.LBB98_87:                              ;   in Loop: Header=BB98_4 Depth=1
	s_delay_alu instid0(SALU_CYCLE_1)
	s_and_not1_b32 vcc_lo, exec_lo, s47
	s_cbranch_vccnz .LBB98_94
; %bb.88:                               ;   in Loop: Header=BB98_4 Depth=1
	s_and_saveexec_b32 s47, s1
	s_cbranch_execz .LBB98_93
; %bb.89:                               ;   in Loop: Header=BB98_4 Depth=1
	v_mov_b64_e32 v[22:23], v[20:21]
	v_mov_b32_e32 v24, v0
	s_mov_b32 s68, 0
	s_branch .LBB98_91
.LBB98_90:                              ;   in Loop: Header=BB98_91 Depth=2
	v_add_nc_u32_e32 v24, s12, v24
	v_add_nc_u64_e32 v[22:23], s[50:51], v[22:23]
	s_wait_loadcnt 0x0
	global_store_b64 v[26:27], v[28:29], off
	v_cmp_le_i32_e32 vcc_lo, s23, v24
	s_or_b32 s68, vcc_lo, s68
	s_wait_xcnt 0x0
	s_and_not1_b32 exec_lo, exec_lo, s68
	s_cbranch_execz .LBB98_93
.LBB98_91:                              ;   Parent Loop BB98_4 Depth=1
                                        ; =>  This Loop Header: Depth=2
                                        ;       Child Loop BB98_92 Depth 3
	s_delay_alu instid0(VALU_DEP_1) | instskip(NEXT) | instid1(VALU_DEP_3)
	v_ashrrev_i32_e32 v25, 31, v24
	v_mov_b64_e32 v[30:31], v[22:23]
	s_and_not1_b32 vcc_lo, exec_lo, s88
	s_mov_b32 s69, s46
	s_mov_b64 s[64:65], s[52:53]
	v_mul_u64_e32 v[26:27], s[20:21], v[24:25]
	s_mov_b64 s[66:67], s[54:55]
	s_delay_alu instid0(VALU_DEP_1)
	v_lshl_add_u64 v[26:27], v[26:27], 3, s[56:57]
	global_load_b64 v[28:29], v[26:27], off
	s_cbranch_vccnz .LBB98_90
.LBB98_92:                              ;   Parent Loop BB98_4 Depth=1
                                        ;     Parent Loop BB98_91 Depth=2
                                        ; =>    This Inner Loop Header: Depth=3
	s_clause 0x1
	global_load_b32 v32, v1, s[66:67]
	global_load_b32 v34, v1, s[64:65]
	global_load_b64 v[36:37], v[30:31], off
	s_add_co_i32 s69, s69, -1
	s_wait_xcnt 0x2
	s_add_nc_u64 s[66:67], s[66:67], 4
	s_cmp_eq_u32 s69, 0
	s_wait_xcnt 0x1
	s_add_nc_u64 s[64:65], s[64:65], 4
	s_wait_loadcnt 0x2
	v_pk_mul_f32 v[38:39], v[28:29], v[32:33] op_sel_hi:[1,0]
	s_wait_loadcnt 0x0
	v_pk_mul_f32 v[32:33], v[32:33], v[36:37] op_sel_hi:[0,1]
	s_delay_alu instid0(VALU_DEP_2) | instskip(NEXT) | instid1(VALU_DEP_2)
	v_pk_fma_f32 v[38:39], v[34:35], v[36:37], v[38:39] op_sel_hi:[0,1,1] neg_lo:[0,0,1] neg_hi:[0,0,1]
	v_pk_fma_f32 v[28:29], v[28:29], v[34:35], v[32:33] op_sel_hi:[1,0,1]
	global_store_b64 v[30:31], v[38:39], off
	s_wait_xcnt 0x0
	v_add_nc_u64_e32 v[30:31], 8, v[30:31]
	s_cbranch_scc0 .LBB98_92
	s_branch .LBB98_90
.LBB98_93:                              ;   in Loop: Header=BB98_4 Depth=1
	s_or_b32 exec_lo, exec_lo, s47
.LBB98_94:                              ;   in Loop: Header=BB98_4 Depth=1
	s_mov_b32 s47, 0
.LBB98_95:                              ;   in Loop: Header=BB98_4 Depth=1
	s_delay_alu instid0(SALU_CYCLE_1)
	s_and_not1_b32 vcc_lo, exec_lo, s47
	s_cbranch_vccnz .LBB98_102
; %bb.96:                               ;   in Loop: Header=BB98_4 Depth=1
	s_and_saveexec_b32 s47, s1
	s_cbranch_execz .LBB98_101
; %bb.97:                               ;   in Loop: Header=BB98_4 Depth=1
	v_add_nc_u64_e32 v[22:23], s[62:63], v[18:19]
	v_mov_b32_e32 v24, v0
	s_lshl_b64 s[62:63], s[30:31], 3
	s_mov_b32 s68, 0
	s_add_nc_u64 s[62:63], s[56:57], s[62:63]
	s_branch .LBB98_99
.LBB98_98:                              ;   in Loop: Header=BB98_99 Depth=2
	v_add_nc_u32_e32 v24, s12, v24
	v_add_nc_u64_e32 v[22:23], s[50:51], v[22:23]
	v_lshl_add_u64 v[26:27], v[26:27], 3, s[56:57]
	s_delay_alu instid0(VALU_DEP_3)
	v_cmp_le_i32_e32 vcc_lo, s23, v24
	s_wait_loadcnt 0x0
	global_store_b64 v[26:27], v[28:29], off
	s_or_b32 s68, vcc_lo, s68
	s_wait_xcnt 0x0
	s_and_not1_b32 exec_lo, exec_lo, s68
	s_cbranch_execz .LBB98_101
.LBB98_99:                              ;   Parent Loop BB98_4 Depth=1
                                        ; =>  This Loop Header: Depth=2
                                        ;       Child Loop BB98_100 Depth 3
	v_ashrrev_i32_e32 v25, 31, v24
	v_mov_b64_e32 v[30:31], v[22:23]
	s_and_not1_b32 vcc_lo, exec_lo, s88
	s_mov_b64 s[64:65], s[60:61]
	s_mov_b64 s[66:67], s[58:59]
	v_mul_u64_e32 v[26:27], s[20:21], v[24:25]
	s_mov_b32 s69, s46
	s_delay_alu instid0(VALU_DEP_1)
	v_lshl_add_u64 v[28:29], v[26:27], 3, s[62:63]
	global_load_b64 v[28:29], v[28:29], off offset:-8
	s_cbranch_vccnz .LBB98_98
.LBB98_100:                             ;   Parent Loop BB98_4 Depth=1
                                        ;     Parent Loop BB98_99 Depth=2
                                        ; =>    This Inner Loop Header: Depth=3
	global_load_b64 v[32:33], v[30:31], off offset:-8
	s_clause 0x1
	global_load_b32 v34, v1, s[64:65]
	global_load_b32 v36, v1, s[66:67]
	v_add_nc_u64_e32 v[40:41], -8, v[30:31]
	s_add_co_i32 s69, s69, -1
	s_wait_xcnt 0x0
	s_add_nc_u64 s[66:67], s[66:67], -4
	s_cmp_eq_u32 s69, 0
	s_add_nc_u64 s[64:65], s[64:65], -4
	s_wait_loadcnt 0x1
	v_pk_mul_f32 v[38:39], v[34:35], v[32:33] op_sel_hi:[0,1]
	s_wait_loadcnt 0x0
	v_pk_mul_f32 v[32:33], v[36:37], v[32:33] op_sel_hi:[0,1]
	s_delay_alu instid0(VALU_DEP_2) | instskip(NEXT) | instid1(VALU_DEP_2)
	v_pk_fma_f32 v[36:37], v[28:29], v[36:37], v[38:39] op_sel_hi:[1,0,1] neg_lo:[0,0,1] neg_hi:[0,0,1]
	v_pk_fma_f32 v[28:29], v[28:29], v[34:35], v[32:33] op_sel_hi:[1,0,1]
	global_store_b64 v[30:31], v[36:37], off
	s_wait_xcnt 0x0
	v_mov_b64_e32 v[30:31], v[40:41]
	s_cbranch_scc0 .LBB98_100
	s_branch .LBB98_98
.LBB98_101:                             ;   in Loop: Header=BB98_4 Depth=1
	s_or_b32 exec_lo, exec_lo, s47
.LBB98_102:                             ;   in Loop: Header=BB98_4 Depth=1
	s_cbranch_execnz .LBB98_3
.LBB98_103:                             ;   in Loop: Header=BB98_4 Depth=1
	s_and_saveexec_b32 s47, s1
	s_cbranch_execz .LBB98_2
; %bb.104:                              ;   in Loop: Header=BB98_4 Depth=1
	v_mov_b32_e32 v22, v0
	s_lshl_b64 s[58:59], s[30:31], 3
	s_mov_b32 s64, 0
	s_add_nc_u64 s[58:59], s[56:57], s[58:59]
	s_branch .LBB98_106
.LBB98_105:                             ;   in Loop: Header=BB98_106 Depth=2
	v_add_nc_u32_e32 v22, s12, v22
	v_add_nc_u64_e32 v[20:21], s[50:51], v[20:21]
	v_lshl_add_u64 v[24:25], v[24:25], 3, s[58:59]
	s_delay_alu instid0(VALU_DEP_3)
	v_cmp_le_i32_e32 vcc_lo, s23, v22
	s_wait_loadcnt 0x0
	global_store_b64 v[24:25], v[26:27], off offset:-8
	s_or_b32 s64, vcc_lo, s64
	s_wait_xcnt 0x0
	s_and_not1_b32 exec_lo, exec_lo, s64
	s_cbranch_execz .LBB98_2
.LBB98_106:                             ;   Parent Loop BB98_4 Depth=1
                                        ; =>  This Loop Header: Depth=2
                                        ;       Child Loop BB98_107 Depth 3
	v_ashrrev_i32_e32 v23, 31, v22
	v_mov_b64_e32 v[28:29], v[20:21]
	s_and_not1_b32 vcc_lo, exec_lo, s88
	s_mov_b64 s[60:61], s[54:55]
	s_mov_b64 s[62:63], s[52:53]
	v_mul_u64_e32 v[24:25], s[20:21], v[22:23]
	s_mov_b32 s65, s46
	s_delay_alu instid0(VALU_DEP_1)
	v_lshl_add_u64 v[26:27], v[24:25], 3, s[56:57]
	global_load_b64 v[26:27], v[26:27], off
	s_cbranch_vccnz .LBB98_105
.LBB98_107:                             ;   Parent Loop BB98_4 Depth=1
                                        ;     Parent Loop BB98_106 Depth=2
                                        ; =>    This Inner Loop Header: Depth=3
	global_load_b64 v[30:31], v[28:29], off
	s_clause 0x1
	global_load_b32 v32, v1, s[60:61]
	global_load_b32 v34, v1, s[62:63]
	s_add_co_i32 s65, s65, -1
	s_wait_xcnt 0x0
	s_add_nc_u64 s[62:63], s[62:63], 4
	s_cmp_eq_u32 s65, 0
	s_add_nc_u64 s[60:61], s[60:61], 4
	s_wait_loadcnt 0x1
	v_pk_mul_f32 v[36:37], v[32:33], v[30:31] op_sel_hi:[0,1]
	s_wait_loadcnt 0x0
	s_delay_alu instid0(VALU_DEP_1)
	v_pk_fma_f32 v[36:37], v[26:27], v[34:35], v[36:37] op_sel_hi:[1,0,1]
	v_pk_mul_f32 v[26:27], v[26:27], v[32:33] op_sel_hi:[1,0]
	global_store_b64 v[28:29], v[36:37], off offset:-8
	s_wait_xcnt 0x0
	v_add_nc_u64_e32 v[28:29], 8, v[28:29]
	v_pk_fma_f32 v[26:27], v[34:35], v[30:31], v[26:27] op_sel_hi:[0,1,1] neg_lo:[0,0,1] neg_hi:[0,0,1]
	s_cbranch_scc0 .LBB98_107
	s_branch .LBB98_105
.LBB98_108:
	s_endpgm
	.section	.rodata,"a",@progbits
	.p2align	6, 0x0
	.amdhsa_kernel _ZN9rocsolver6v33100L11lasr_kernelI19rocblas_complex_numIfEfPS3_iEEv13rocblas_side_14rocblas_pivot_15rocblas_direct_T2_S8_PT0_lSA_lT1_lS8_lS8_
		.amdhsa_group_segment_fixed_size 0
		.amdhsa_private_segment_fixed_size 0
		.amdhsa_kernarg_size 352
		.amdhsa_user_sgpr_count 2
		.amdhsa_user_sgpr_dispatch_ptr 0
		.amdhsa_user_sgpr_queue_ptr 0
		.amdhsa_user_sgpr_kernarg_segment_ptr 1
		.amdhsa_user_sgpr_dispatch_id 0
		.amdhsa_user_sgpr_kernarg_preload_length 0
		.amdhsa_user_sgpr_kernarg_preload_offset 0
		.amdhsa_user_sgpr_private_segment_size 0
		.amdhsa_wavefront_size32 1
		.amdhsa_uses_dynamic_stack 0
		.amdhsa_enable_private_segment 0
		.amdhsa_system_sgpr_workgroup_id_x 1
		.amdhsa_system_sgpr_workgroup_id_y 0
		.amdhsa_system_sgpr_workgroup_id_z 1
		.amdhsa_system_sgpr_workgroup_info 0
		.amdhsa_system_vgpr_workitem_id 0
		.amdhsa_next_free_vgpr 44
		.amdhsa_next_free_sgpr 91
		.amdhsa_named_barrier_count 0
		.amdhsa_reserve_vcc 1
		.amdhsa_float_round_mode_32 0
		.amdhsa_float_round_mode_16_64 0
		.amdhsa_float_denorm_mode_32 3
		.amdhsa_float_denorm_mode_16_64 3
		.amdhsa_fp16_overflow 0
		.amdhsa_memory_ordered 1
		.amdhsa_forward_progress 1
		.amdhsa_inst_pref_size 34
		.amdhsa_round_robin_scheduling 0
		.amdhsa_exception_fp_ieee_invalid_op 0
		.amdhsa_exception_fp_denorm_src 0
		.amdhsa_exception_fp_ieee_div_zero 0
		.amdhsa_exception_fp_ieee_overflow 0
		.amdhsa_exception_fp_ieee_underflow 0
		.amdhsa_exception_fp_ieee_inexact 0
		.amdhsa_exception_int_div_zero 0
	.end_amdhsa_kernel
	.section	.text._ZN9rocsolver6v33100L11lasr_kernelI19rocblas_complex_numIfEfPS3_iEEv13rocblas_side_14rocblas_pivot_15rocblas_direct_T2_S8_PT0_lSA_lT1_lS8_lS8_,"axG",@progbits,_ZN9rocsolver6v33100L11lasr_kernelI19rocblas_complex_numIfEfPS3_iEEv13rocblas_side_14rocblas_pivot_15rocblas_direct_T2_S8_PT0_lSA_lT1_lS8_lS8_,comdat
.Lfunc_end98:
	.size	_ZN9rocsolver6v33100L11lasr_kernelI19rocblas_complex_numIfEfPS3_iEEv13rocblas_side_14rocblas_pivot_15rocblas_direct_T2_S8_PT0_lSA_lT1_lS8_lS8_, .Lfunc_end98-_ZN9rocsolver6v33100L11lasr_kernelI19rocblas_complex_numIfEfPS3_iEEv13rocblas_side_14rocblas_pivot_15rocblas_direct_T2_S8_PT0_lSA_lT1_lS8_lS8_
                                        ; -- End function
	.set _ZN9rocsolver6v33100L11lasr_kernelI19rocblas_complex_numIfEfPS3_iEEv13rocblas_side_14rocblas_pivot_15rocblas_direct_T2_S8_PT0_lSA_lT1_lS8_lS8_.num_vgpr, 44
	.set _ZN9rocsolver6v33100L11lasr_kernelI19rocblas_complex_numIfEfPS3_iEEv13rocblas_side_14rocblas_pivot_15rocblas_direct_T2_S8_PT0_lSA_lT1_lS8_lS8_.num_agpr, 0
	.set _ZN9rocsolver6v33100L11lasr_kernelI19rocblas_complex_numIfEfPS3_iEEv13rocblas_side_14rocblas_pivot_15rocblas_direct_T2_S8_PT0_lSA_lT1_lS8_lS8_.numbered_sgpr, 91
	.set _ZN9rocsolver6v33100L11lasr_kernelI19rocblas_complex_numIfEfPS3_iEEv13rocblas_side_14rocblas_pivot_15rocblas_direct_T2_S8_PT0_lSA_lT1_lS8_lS8_.num_named_barrier, 0
	.set _ZN9rocsolver6v33100L11lasr_kernelI19rocblas_complex_numIfEfPS3_iEEv13rocblas_side_14rocblas_pivot_15rocblas_direct_T2_S8_PT0_lSA_lT1_lS8_lS8_.private_seg_size, 0
	.set _ZN9rocsolver6v33100L11lasr_kernelI19rocblas_complex_numIfEfPS3_iEEv13rocblas_side_14rocblas_pivot_15rocblas_direct_T2_S8_PT0_lSA_lT1_lS8_lS8_.uses_vcc, 1
	.set _ZN9rocsolver6v33100L11lasr_kernelI19rocblas_complex_numIfEfPS3_iEEv13rocblas_side_14rocblas_pivot_15rocblas_direct_T2_S8_PT0_lSA_lT1_lS8_lS8_.uses_flat_scratch, 0
	.set _ZN9rocsolver6v33100L11lasr_kernelI19rocblas_complex_numIfEfPS3_iEEv13rocblas_side_14rocblas_pivot_15rocblas_direct_T2_S8_PT0_lSA_lT1_lS8_lS8_.has_dyn_sized_stack, 0
	.set _ZN9rocsolver6v33100L11lasr_kernelI19rocblas_complex_numIfEfPS3_iEEv13rocblas_side_14rocblas_pivot_15rocblas_direct_T2_S8_PT0_lSA_lT1_lS8_lS8_.has_recursion, 0
	.set _ZN9rocsolver6v33100L11lasr_kernelI19rocblas_complex_numIfEfPS3_iEEv13rocblas_side_14rocblas_pivot_15rocblas_direct_T2_S8_PT0_lSA_lT1_lS8_lS8_.has_indirect_call, 0
	.section	.AMDGPU.csdata,"",@progbits
; Kernel info:
; codeLenInByte = 4292
; TotalNumSgprs: 93
; NumVgprs: 44
; ScratchSize: 0
; MemoryBound: 0
; FloatMode: 240
; IeeeMode: 1
; LDSByteSize: 0 bytes/workgroup (compile time only)
; SGPRBlocks: 0
; VGPRBlocks: 2
; NumSGPRsForWavesPerEU: 93
; NumVGPRsForWavesPerEU: 44
; NamedBarCnt: 0
; Occupancy: 16
; WaveLimiterHint : 0
; COMPUTE_PGM_RSRC2:SCRATCH_EN: 0
; COMPUTE_PGM_RSRC2:USER_SGPR: 2
; COMPUTE_PGM_RSRC2:TRAP_HANDLER: 0
; COMPUTE_PGM_RSRC2:TGID_X_EN: 1
; COMPUTE_PGM_RSRC2:TGID_Y_EN: 0
; COMPUTE_PGM_RSRC2:TGID_Z_EN: 1
; COMPUTE_PGM_RSRC2:TIDIG_COMP_CNT: 0
	.section	.text._ZN9rocsolver6v33100L11scal_kernelIf19rocblas_complex_numIfEiEEvT1_T_PT0_S4_,"axG",@progbits,_ZN9rocsolver6v33100L11scal_kernelIf19rocblas_complex_numIfEiEEvT1_T_PT0_S4_,comdat
	.globl	_ZN9rocsolver6v33100L11scal_kernelIf19rocblas_complex_numIfEiEEvT1_T_PT0_S4_ ; -- Begin function _ZN9rocsolver6v33100L11scal_kernelIf19rocblas_complex_numIfEiEEvT1_T_PT0_S4_
	.p2align	8
	.type	_ZN9rocsolver6v33100L11scal_kernelIf19rocblas_complex_numIfEiEEvT1_T_PT0_S4_,@function
_ZN9rocsolver6v33100L11scal_kernelIf19rocblas_complex_numIfEiEEvT1_T_PT0_S4_: ; @_ZN9rocsolver6v33100L11scal_kernelIf19rocblas_complex_numIfEiEEvT1_T_PT0_S4_
; %bb.0:
	s_load_b64 s[2:3], s[0:1], 0x0
	s_wait_kmcnt 0x0
	s_cmp_lt_i32 s2, 1
	s_cbranch_scc1 .LBB99_10
; %bb.1:
	s_clause 0x2
	s_load_b32 s7, s[0:1], 0x24
	s_load_b96 s[4:6], s[0:1], 0x8
	s_load_b32 s8, s[0:1], 0x18
	s_wait_xcnt 0x0
	s_bfe_u32 s0, ttmp6, 0x4000c
	s_and_b32 s1, ttmp6, 15
	s_add_co_i32 s0, s0, 1
	s_getreg_b32 s9, hwreg(HW_REG_IB_STS2, 6, 4)
	s_mul_i32 s0, ttmp9, s0
	s_delay_alu instid0(SALU_CYCLE_1)
	s_add_co_i32 s1, s1, s0
	s_wait_kmcnt 0x0
	s_and_b32 s7, s7, 0xffff
	s_cmp_eq_u32 s9, 0
	s_mul_i32 s8, s8, s7
	s_cselect_b32 s0, ttmp9, s1
	s_cmp_eq_u32 s6, 1
	v_mad_u32 v0, s0, s7, v0
	s_mov_b32 s1, -1
	s_delay_alu instid0(VALU_DEP_1)
	v_cmp_gt_i32_e64 s0, s2, v0
	s_cbranch_scc1 .LBB99_6
; %bb.2:
	s_and_saveexec_b32 s1, s0
	s_cbranch_execz .LBB99_5
; %bb.3:
	v_ashrrev_i32_e32 v1, 31, v0
	s_ashr_i32 s7, s6, 31
	s_mov_b32 s10, s3
	s_mov_b32 s11, s3
	s_ashr_i32 s9, s8, 31
	v_mul_u64_e32 v[4:5], s[6:7], v[0:1]
	v_mov_b64_e32 v[2:3], s[10:11]
	v_mov_b32_e32 v1, v0
	s_mul_u64 s[6:7], s[6:7], s[8:9]
	s_mov_b32 s9, 0
	s_lshl_b64 s[6:7], s[6:7], 3
	s_delay_alu instid0(VALU_DEP_3)
	v_lshl_add_u64 v[4:5], v[4:5], 3, s[4:5]
.LBB99_4:                               ; =>This Inner Loop Header: Depth=1
	global_load_b64 v[6:7], v[4:5], off
	v_add_nc_u32_e32 v1, s8, v1
	s_delay_alu instid0(VALU_DEP_1)
	v_cmp_le_i32_e32 vcc_lo, s2, v1
	s_or_b32 s9, vcc_lo, s9
	s_wait_loadcnt 0x0
	v_pk_mul_f32 v[6:7], v[2:3], v[6:7]
	global_store_b64 v[4:5], v[6:7], off
	s_wait_xcnt 0x0
	v_add_nc_u64_e32 v[4:5], s[6:7], v[4:5]
	s_and_not1_b32 exec_lo, exec_lo, s9
	s_cbranch_execnz .LBB99_4
.LBB99_5:
	s_or_b32 exec_lo, exec_lo, s1
	s_mov_b32 s1, 0
.LBB99_6:
	s_delay_alu instid0(SALU_CYCLE_1)
	s_and_not1_b32 vcc_lo, exec_lo, s1
	s_cbranch_vccnz .LBB99_10
; %bb.7:
	s_and_saveexec_b32 s1, s0
	s_cbranch_execz .LBB99_10
; %bb.8:
	v_ashrrev_i32_e32 v1, 31, v0
	s_mov_b32 s0, s3
	s_mov_b32 s1, s3
	s_ashr_i32 s9, s8, 31
	v_mov_b64_e32 v[4:5], s[0:1]
	v_lshl_add_u64 v[2:3], v[0:1], 3, s[4:5]
	s_lshl_b64 s[0:1], s[8:9], 3
	s_mov_b32 s3, 0
.LBB99_9:                               ; =>This Inner Loop Header: Depth=1
	global_load_b64 v[6:7], v[2:3], off
	v_add_nc_u32_e32 v0, s8, v0
	s_delay_alu instid0(VALU_DEP_1)
	v_cmp_le_i32_e32 vcc_lo, s2, v0
	s_or_b32 s3, vcc_lo, s3
	s_wait_loadcnt 0x0
	v_pk_mul_f32 v[6:7], v[4:5], v[6:7]
	global_store_b64 v[2:3], v[6:7], off
	s_wait_xcnt 0x0
	v_add_nc_u64_e32 v[2:3], s[0:1], v[2:3]
	s_and_not1_b32 exec_lo, exec_lo, s3
	s_cbranch_execnz .LBB99_9
.LBB99_10:
	s_endpgm
	.section	.rodata,"a",@progbits
	.p2align	6, 0x0
	.amdhsa_kernel _ZN9rocsolver6v33100L11scal_kernelIf19rocblas_complex_numIfEiEEvT1_T_PT0_S4_
		.amdhsa_group_segment_fixed_size 0
		.amdhsa_private_segment_fixed_size 0
		.amdhsa_kernarg_size 280
		.amdhsa_user_sgpr_count 2
		.amdhsa_user_sgpr_dispatch_ptr 0
		.amdhsa_user_sgpr_queue_ptr 0
		.amdhsa_user_sgpr_kernarg_segment_ptr 1
		.amdhsa_user_sgpr_dispatch_id 0
		.amdhsa_user_sgpr_kernarg_preload_length 0
		.amdhsa_user_sgpr_kernarg_preload_offset 0
		.amdhsa_user_sgpr_private_segment_size 0
		.amdhsa_wavefront_size32 1
		.amdhsa_uses_dynamic_stack 0
		.amdhsa_enable_private_segment 0
		.amdhsa_system_sgpr_workgroup_id_x 1
		.amdhsa_system_sgpr_workgroup_id_y 0
		.amdhsa_system_sgpr_workgroup_id_z 0
		.amdhsa_system_sgpr_workgroup_info 0
		.amdhsa_system_vgpr_workitem_id 0
		.amdhsa_next_free_vgpr 8
		.amdhsa_next_free_sgpr 12
		.amdhsa_named_barrier_count 0
		.amdhsa_reserve_vcc 1
		.amdhsa_float_round_mode_32 0
		.amdhsa_float_round_mode_16_64 0
		.amdhsa_float_denorm_mode_32 3
		.amdhsa_float_denorm_mode_16_64 3
		.amdhsa_fp16_overflow 0
		.amdhsa_memory_ordered 1
		.amdhsa_forward_progress 1
		.amdhsa_inst_pref_size 4
		.amdhsa_round_robin_scheduling 0
		.amdhsa_exception_fp_ieee_invalid_op 0
		.amdhsa_exception_fp_denorm_src 0
		.amdhsa_exception_fp_ieee_div_zero 0
		.amdhsa_exception_fp_ieee_overflow 0
		.amdhsa_exception_fp_ieee_underflow 0
		.amdhsa_exception_fp_ieee_inexact 0
		.amdhsa_exception_int_div_zero 0
	.end_amdhsa_kernel
	.section	.text._ZN9rocsolver6v33100L11scal_kernelIf19rocblas_complex_numIfEiEEvT1_T_PT0_S4_,"axG",@progbits,_ZN9rocsolver6v33100L11scal_kernelIf19rocblas_complex_numIfEiEEvT1_T_PT0_S4_,comdat
.Lfunc_end99:
	.size	_ZN9rocsolver6v33100L11scal_kernelIf19rocblas_complex_numIfEiEEvT1_T_PT0_S4_, .Lfunc_end99-_ZN9rocsolver6v33100L11scal_kernelIf19rocblas_complex_numIfEiEEvT1_T_PT0_S4_
                                        ; -- End function
	.set _ZN9rocsolver6v33100L11scal_kernelIf19rocblas_complex_numIfEiEEvT1_T_PT0_S4_.num_vgpr, 8
	.set _ZN9rocsolver6v33100L11scal_kernelIf19rocblas_complex_numIfEiEEvT1_T_PT0_S4_.num_agpr, 0
	.set _ZN9rocsolver6v33100L11scal_kernelIf19rocblas_complex_numIfEiEEvT1_T_PT0_S4_.numbered_sgpr, 12
	.set _ZN9rocsolver6v33100L11scal_kernelIf19rocblas_complex_numIfEiEEvT1_T_PT0_S4_.num_named_barrier, 0
	.set _ZN9rocsolver6v33100L11scal_kernelIf19rocblas_complex_numIfEiEEvT1_T_PT0_S4_.private_seg_size, 0
	.set _ZN9rocsolver6v33100L11scal_kernelIf19rocblas_complex_numIfEiEEvT1_T_PT0_S4_.uses_vcc, 1
	.set _ZN9rocsolver6v33100L11scal_kernelIf19rocblas_complex_numIfEiEEvT1_T_PT0_S4_.uses_flat_scratch, 0
	.set _ZN9rocsolver6v33100L11scal_kernelIf19rocblas_complex_numIfEiEEvT1_T_PT0_S4_.has_dyn_sized_stack, 0
	.set _ZN9rocsolver6v33100L11scal_kernelIf19rocblas_complex_numIfEiEEvT1_T_PT0_S4_.has_recursion, 0
	.set _ZN9rocsolver6v33100L11scal_kernelIf19rocblas_complex_numIfEiEEvT1_T_PT0_S4_.has_indirect_call, 0
	.section	.AMDGPU.csdata,"",@progbits
; Kernel info:
; codeLenInByte = 408
; TotalNumSgprs: 14
; NumVgprs: 8
; ScratchSize: 0
; MemoryBound: 0
; FloatMode: 240
; IeeeMode: 1
; LDSByteSize: 0 bytes/workgroup (compile time only)
; SGPRBlocks: 0
; VGPRBlocks: 0
; NumSGPRsForWavesPerEU: 14
; NumVGPRsForWavesPerEU: 8
; NamedBarCnt: 0
; Occupancy: 16
; WaveLimiterHint : 0
; COMPUTE_PGM_RSRC2:SCRATCH_EN: 0
; COMPUTE_PGM_RSRC2:USER_SGPR: 2
; COMPUTE_PGM_RSRC2:TRAP_HANDLER: 0
; COMPUTE_PGM_RSRC2:TGID_X_EN: 1
; COMPUTE_PGM_RSRC2:TGID_Y_EN: 0
; COMPUTE_PGM_RSRC2:TGID_Z_EN: 0
; COMPUTE_PGM_RSRC2:TIDIG_COMP_CNT: 0
	.section	.text._ZN9rocsolver6v33100L17bdsqr_lower2upperI19rocblas_complex_numIfEfPS3_S4_EEviiiPT0_lS6_lT1_iilT2_iilPiS6_lS9_,"axG",@progbits,_ZN9rocsolver6v33100L17bdsqr_lower2upperI19rocblas_complex_numIfEfPS3_S4_EEviiiPT0_lS6_lT1_iilT2_iilPiS6_lS9_,comdat
	.globl	_ZN9rocsolver6v33100L17bdsqr_lower2upperI19rocblas_complex_numIfEfPS3_S4_EEviiiPT0_lS6_lT1_iilT2_iilPiS6_lS9_ ; -- Begin function _ZN9rocsolver6v33100L17bdsqr_lower2upperI19rocblas_complex_numIfEfPS3_S4_EEviiiPT0_lS6_lT1_iilT2_iilPiS6_lS9_
	.p2align	8
	.type	_ZN9rocsolver6v33100L17bdsqr_lower2upperI19rocblas_complex_numIfEfPS3_S4_EEviiiPT0_lS6_lT1_iilT2_iilPiS6_lS9_,@function
_ZN9rocsolver6v33100L17bdsqr_lower2upperI19rocblas_complex_numIfEfPS3_S4_EEviiiPT0_lS6_lT1_iilT2_iilPiS6_lS9_: ; @_ZN9rocsolver6v33100L17bdsqr_lower2upperI19rocblas_complex_numIfEfPS3_S4_EEviiiPT0_lS6_lT1_iilT2_iilPiS6_lS9_
; %bb.0:
	s_load_b64 s[2:3], s[0:1], 0x78
	s_bfe_u32 s4, ttmp6, 0x40010
	s_bfe_u32 s5, ttmp6, 0x40004
	s_add_co_i32 s4, s4, 1
	s_getreg_b32 s6, hwreg(HW_REG_IB_STS2, 6, 4)
	s_mul_i32 s4, ttmp7, s4
	s_delay_alu instid0(SALU_CYCLE_1) | instskip(SKIP_2) | instid1(SALU_CYCLE_1)
	s_add_co_i32 s5, s5, s4
	s_cmp_eq_u32 s6, 0
	s_cselect_b32 s24, ttmp7, s5
	s_ashr_i32 s25, s24, 31
	s_delay_alu instid0(SALU_CYCLE_1)
	s_lshl_b64 s[4:5], s[24:25], 2
	s_wait_kmcnt 0x0
	s_add_nc_u64 s[2:3], s[2:3], s[4:5]
	s_load_b32 s2, s[2:3], 0x8
	s_wait_kmcnt 0x0
	s_cmp_lg_u32 s2, 0
	s_cbranch_scc1 .LBB100_34
; %bb.1:
	s_clause 0x1
	s_load_b256 s[4:11], s[0:1], 0x30
	s_load_b128 s[16:19], s[0:1], 0x68
	s_mov_b64 s[2:3], 0
	s_mov_b64 s[22:23], 0
	s_wait_kmcnt 0x0
	s_cmp_eq_u64 s[4:5], 0
	s_cbranch_scc1 .LBB100_3
; %bb.2:
	s_mul_u64 s[8:9], s[8:9], s[24:25]
	s_ashr_i32 s13, s6, 31
	s_lshl_b64 s[8:9], s[8:9], 3
	s_mov_b32 s12, s6
	s_add_nc_u64 s[4:5], s[4:5], s[8:9]
	s_lshl_b64 s[8:9], s[12:13], 3
	s_delay_alu instid0(SALU_CYCLE_1)
	s_add_nc_u64 s[22:23], s[4:5], s[8:9]
.LBB100_3:
	s_load_b64 s[20:21], s[0:1], 0x50
	s_cmp_eq_u64 s[10:11], 0
	s_cbranch_scc1 .LBB100_5
; %bb.4:
	s_load_b64 s[2:3], s[0:1], 0x58
	s_wait_kmcnt 0x0
	s_ashr_i32 s5, s20, 31
	s_mov_b32 s4, s20
	s_delay_alu instid0(SALU_CYCLE_1) | instskip(SKIP_1) | instid1(SALU_CYCLE_1)
	s_lshl_b64 s[4:5], s[4:5], 3
	s_mul_u64 s[2:3], s[2:3], s[24:25]
	s_lshl_b64 s[2:3], s[2:3], 3
	s_delay_alu instid0(SALU_CYCLE_1) | instskip(NEXT) | instid1(SALU_CYCLE_1)
	s_add_nc_u64 s[2:3], s[10:11], s[2:3]
	s_add_nc_u64 s[2:3], s[2:3], s[4:5]
.LBB100_5:
	s_load_b96 s[4:6], s[0:1], 0x0
	s_mul_u64 s[18:19], s[18:19], s[24:25]
	s_wait_kmcnt 0x0
	s_mov_b32 s20, exec_lo
	v_cmpx_eq_u32_e32 0, v0
	s_cbranch_execz .LBB100_22
; %bb.6:
	s_load_b256 s[8:15], s[0:1], 0x10
	s_add_co_i32 s26, s4, -1
	s_wait_kmcnt 0x0
	s_mul_u64 s[10:11], s[10:11], s[24:25]
	s_delay_alu instid0(SALU_CYCLE_1)
	s_lshl_b64 s[10:11], s[10:11], 2
	s_cmp_lt_i32 s4, 2
	s_add_nc_u64 s[8:9], s[8:9], s[10:11]
	s_load_b32 s10, s[8:9], 0x0
	s_wait_kmcnt 0x0
	v_mov_b32_e32 v3, s10
	s_cbranch_scc1 .LBB100_21
; %bb.7:
	s_mul_u64 s[14:15], s[14:15], s[24:25]
	s_or_b32 s11, s6, s5
	s_lshl_b64 s[14:15], s[14:15], 2
	v_mov_b32_e32 v1, 0
	s_add_nc_u64 s[24:25], s[12:13], s[14:15]
	s_lshl_b64 s[12:13], s[18:19], 2
	s_load_b32 s14, s[24:25], 0x0
	v_mov_b32_e32 v3, s10
	s_cmp_lg_u32 s11, 0
	s_add_nc_u64 s[10:11], s[16:17], s[12:13]
	s_mov_b32 s27, 0
	s_cselect_b32 s28, -1, 0
	s_add_nc_u64 s[12:13], s[10:11], 16
	s_wait_xcnt 0x0
	s_add_nc_u64 s[24:25], s[24:25], 4
	s_wait_kmcnt 0x0
	v_mov_b32_e32 v2, s14
	s_add_nc_u64 s[14:15], s[8:9], 4
	s_branch .LBB100_9
.LBB100_8:                              ;   in Loop: Header=BB100_9 Depth=1
	s_wait_loadcnt 0x0
	v_mul_f32_e32 v3, v5, v3
	s_add_co_i32 s27, s27, 1
	s_wait_xcnt 0x1
	s_add_nc_u64 s[12:13], s[12:13], 4
	s_wait_xcnt 0x0
	s_add_nc_u64 s[14:15], s[14:15], 4
	s_cmp_lg_u32 s26, s27
	s_add_nc_u64 s[24:25], s[24:25], 4
	s_cbranch_scc0 .LBB100_21
.LBB100_9:                              ; =>This Inner Loop Header: Depth=1
	s_delay_alu instid0(VALU_DEP_1)
	v_cmp_eq_f32_e32 vcc_lo, 0, v2
	s_cbranch_vccnz .LBB100_13
; %bb.10:                               ;   in Loop: Header=BB100_9 Depth=1
	v_cmp_neq_f32_e32 vcc_lo, 0, v3
	s_cbranch_vccz .LBB100_14
; %bb.11:                               ;   in Loop: Header=BB100_9 Depth=1
	v_and_b32_e32 v4, 0x7fffffff, v2
	v_and_b32_e32 v5, 0x7fffffff, v3
	s_delay_alu instid0(VALU_DEP_1)
	v_cmp_ngt_f32_e32 vcc_lo, v4, v5
	s_cbranch_vccz .LBB100_15
; %bb.12:                               ;   in Loop: Header=BB100_9 Depth=1
	v_div_scale_f32 v4, null, v3, v3, -v2
	v_div_scale_f32 v7, vcc_lo, -v2, v3, -v2
	s_delay_alu instid0(VALU_DEP_2)
	v_rcp_f32_e32 v5, v4
	v_nop
	v_xor_b32_e32 v4, 0x80000000, v4
	s_delay_alu instid0(TRANS32_DEP_1) | instid1(VALU_DEP_1)
	v_fma_f32 v6, v4, v5, 1.0
	s_delay_alu instid0(VALU_DEP_1) | instskip(NEXT) | instid1(VALU_DEP_1)
	v_fmac_f32_e32 v5, v6, v5
	v_mul_f32_e32 v6, v7, v5
	s_delay_alu instid0(VALU_DEP_1) | instskip(NEXT) | instid1(VALU_DEP_1)
	v_fma_f32 v8, v4, v6, v7
	v_fmac_f32_e32 v6, v8, v5
	s_delay_alu instid0(VALU_DEP_1) | instskip(NEXT) | instid1(VALU_DEP_1)
	v_fmac_f32_e32 v7, v4, v6
	v_div_fmas_f32 v4, v7, v5, v6
	s_delay_alu instid0(VALU_DEP_1) | instskip(NEXT) | instid1(VALU_DEP_1)
	v_div_fixup_f32 v4, v4, v3, -v2
	v_readfirstlane_b32 s29, v4
	s_fmaak_f32 s29, s29, s29, 0x3f800000
	s_delay_alu instid0(SALU_CYCLE_3) | instskip(SKIP_1) | instid1(SALU_CYCLE_2)
	s_mul_f32 s30, s29, 0x4f800000
	s_cmp_lt_f32 s29, 0xf800000
	s_cselect_b32 s30, s30, s29
	s_delay_alu instid0(SALU_CYCLE_1) | instskip(SKIP_1) | instid1(TRANS32_DEP_1)
	v_s_sqrt_f32 s31, s30
	s_mov_b32 s34, s30
	s_add_co_i32 s33, s31, -1
	s_delay_alu instid0(SALU_CYCLE_1) | instskip(NEXT) | instid1(SALU_CYCLE_1)
	s_xor_b32 s35, s33, 0x80000000
	s_fmac_f32 s34, s35, s31
	s_mov_b32 s35, s30
	s_delay_alu instid0(SALU_CYCLE_2) | instskip(SKIP_2) | instid1(SALU_CYCLE_1)
	s_cmp_le_f32 s34, 0
	s_cselect_b32 s33, s33, s31
	s_add_co_i32 s34, s31, 1
	s_xor_b32 s36, s34, 0x80000000
	s_delay_alu instid0(SALU_CYCLE_1) | instskip(SKIP_1) | instid1(SALU_CYCLE_2)
	s_fmac_f32 s35, s36, s31
	v_cmp_class_f32_e64 s31, s30, 0x260
	s_cmp_gt_f32 s35, 0
	s_cselect_b32 s33, s34, s33
	s_cmp_lt_f32 s29, 0xf800000
	s_mul_f32 s29, s33, 0x37800000
	s_delay_alu instid0(SALU_CYCLE_3) | instskip(SKIP_2) | instid1(SALU_CYCLE_1)
	s_cselect_b32 s29, s29, s33
	s_and_b32 s31, s31, exec_lo
	s_cselect_b32 s29, s30, s29
	v_div_scale_f32 v5, null, s29, s29, 1.0
	s_delay_alu instid0(VALU_DEP_1)
	v_rcp_f32_e32 v6, v5
	v_nop
	v_xor_b32_e32 v5, 0x80000000, v5
	s_delay_alu instid0(TRANS32_DEP_1) | instid1(VALU_DEP_1)
	v_fma_f32 v7, v5, v6, 1.0
	s_delay_alu instid0(VALU_DEP_1) | instskip(SKIP_1) | instid1(VALU_DEP_1)
	v_fmac_f32_e32 v6, v7, v6
	v_div_scale_f32 v7, vcc_lo, 1.0, s29, 1.0
	v_mul_f32_e32 v8, v7, v6
	s_delay_alu instid0(VALU_DEP_1) | instskip(NEXT) | instid1(VALU_DEP_1)
	v_fma_f32 v9, v5, v8, v7
	v_fmac_f32_e32 v8, v9, v6
	s_delay_alu instid0(VALU_DEP_1) | instskip(NEXT) | instid1(VALU_DEP_1)
	v_fmac_f32_e32 v7, v5, v8
	v_div_fmas_f32 v5, v7, v6, v8
	s_delay_alu instid0(VALU_DEP_1) | instskip(NEXT) | instid1(VALU_DEP_1)
	v_div_fixup_f32 v5, v5, s29, 1.0
	v_mul_f32_e32 v4, v4, v5
	s_cbranch_execz .LBB100_16
	s_branch .LBB100_17
.LBB100_13:                             ;   in Loop: Header=BB100_9 Depth=1
	v_dual_mov_b32 v5, 1.0 :: v_dual_mov_b32 v4, 0
	s_branch .LBB100_19
.LBB100_14:                             ;   in Loop: Header=BB100_9 Depth=1
	v_xor_b32_e32 v3, 0x80000000, v2
                                        ; implicit-def: $vgpr5
	s_cbranch_execnz .LBB100_18
	s_branch .LBB100_19
.LBB100_15:                             ;   in Loop: Header=BB100_9 Depth=1
                                        ; implicit-def: $vgpr5
.LBB100_16:                             ;   in Loop: Header=BB100_9 Depth=1
	v_div_scale_f32 v4, null, v2, v2, -v3
	v_div_scale_f32 v7, vcc_lo, -v3, v2, -v3
	s_delay_alu instid0(VALU_DEP_2)
	v_rcp_f32_e32 v5, v4
	v_nop
	v_xor_b32_e32 v4, 0x80000000, v4
	s_delay_alu instid0(TRANS32_DEP_1) | instid1(VALU_DEP_1)
	v_fma_f32 v6, v4, v5, 1.0
	s_delay_alu instid0(VALU_DEP_1) | instskip(NEXT) | instid1(VALU_DEP_1)
	v_fmac_f32_e32 v5, v6, v5
	v_mul_f32_e32 v6, v7, v5
	s_delay_alu instid0(VALU_DEP_1) | instskip(NEXT) | instid1(VALU_DEP_1)
	v_fma_f32 v8, v4, v6, v7
	v_fmac_f32_e32 v6, v8, v5
	s_delay_alu instid0(VALU_DEP_1) | instskip(NEXT) | instid1(VALU_DEP_1)
	v_fmac_f32_e32 v7, v4, v6
	v_div_fmas_f32 v4, v7, v5, v6
	s_delay_alu instid0(VALU_DEP_1) | instskip(NEXT) | instid1(VALU_DEP_1)
	v_div_fixup_f32 v5, v4, v2, -v3
	v_readfirstlane_b32 s29, v5
	s_fmaak_f32 s29, s29, s29, 0x3f800000
	s_delay_alu instid0(SALU_CYCLE_3) | instskip(SKIP_1) | instid1(SALU_CYCLE_2)
	s_mul_f32 s30, s29, 0x4f800000
	s_cmp_lt_f32 s29, 0xf800000
	s_cselect_b32 s30, s30, s29
	s_delay_alu instid0(SALU_CYCLE_1) | instskip(SKIP_1) | instid1(TRANS32_DEP_1)
	v_s_sqrt_f32 s31, s30
	s_mov_b32 s34, s30
	s_add_co_i32 s33, s31, -1
	s_delay_alu instid0(SALU_CYCLE_1) | instskip(NEXT) | instid1(SALU_CYCLE_1)
	s_xor_b32 s35, s33, 0x80000000
	s_fmac_f32 s34, s35, s31
	s_mov_b32 s35, s30
	s_delay_alu instid0(SALU_CYCLE_2) | instskip(SKIP_2) | instid1(SALU_CYCLE_1)
	s_cmp_le_f32 s34, 0
	s_cselect_b32 s33, s33, s31
	s_add_co_i32 s34, s31, 1
	s_xor_b32 s36, s34, 0x80000000
	s_delay_alu instid0(SALU_CYCLE_1) | instskip(SKIP_1) | instid1(SALU_CYCLE_2)
	s_fmac_f32 s35, s36, s31
	v_cmp_class_f32_e64 s31, s30, 0x260
	s_cmp_gt_f32 s35, 0
	s_cselect_b32 s33, s34, s33
	s_cmp_lt_f32 s29, 0xf800000
	s_mul_f32 s29, s33, 0x37800000
	s_delay_alu instid0(SALU_CYCLE_3) | instskip(SKIP_2) | instid1(SALU_CYCLE_1)
	s_cselect_b32 s29, s29, s33
	s_and_b32 s31, s31, exec_lo
	s_cselect_b32 s29, s30, s29
	v_div_scale_f32 v4, null, s29, s29, 1.0
	s_delay_alu instid0(VALU_DEP_1)
	v_rcp_f32_e32 v6, v4
	v_nop
	v_xor_b32_e32 v4, 0x80000000, v4
	s_delay_alu instid0(TRANS32_DEP_1) | instid1(VALU_DEP_1)
	v_fma_f32 v7, v4, v6, 1.0
	s_delay_alu instid0(VALU_DEP_1) | instskip(SKIP_1) | instid1(VALU_DEP_1)
	v_fmac_f32_e32 v6, v7, v6
	v_div_scale_f32 v7, vcc_lo, 1.0, s29, 1.0
	v_mul_f32_e32 v8, v7, v6
	s_delay_alu instid0(VALU_DEP_1) | instskip(NEXT) | instid1(VALU_DEP_1)
	v_fma_f32 v9, v4, v8, v7
	v_fmac_f32_e32 v8, v9, v6
	s_delay_alu instid0(VALU_DEP_1) | instskip(NEXT) | instid1(VALU_DEP_1)
	v_fmac_f32_e32 v7, v4, v8
	v_div_fmas_f32 v4, v7, v6, v8
	s_delay_alu instid0(VALU_DEP_1) | instskip(NEXT) | instid1(VALU_DEP_1)
	v_div_fixup_f32 v4, v4, s29, 1.0
	v_mul_f32_e32 v5, v5, v4
.LBB100_17:                             ;   in Loop: Header=BB100_9 Depth=1
	s_delay_alu instid0(VALU_DEP_1) | instskip(NEXT) | instid1(VALU_DEP_1)
	v_pk_mul_f32 v[2:3], v[2:3], v[4:5]
	v_sub_f32_e32 v3, v3, v2
	s_branch .LBB100_19
.LBB100_18:                             ;   in Loop: Header=BB100_9 Depth=1
	v_dual_mov_b32 v4, 1.0 :: v_dual_mov_b32 v5, 0
.LBB100_19:                             ;   in Loop: Header=BB100_9 Depth=1
	global_load_b32 v6, v1, s[14:15]
	v_xor_b32_e32 v7, 0x80000000, v4
	s_clause 0x1
	global_store_b32 v1, v3, s[14:15] offset:-4
	global_load_b32 v2, v1, s[24:25]
	s_and_not1_b32 vcc_lo, exec_lo, s28
	s_wait_loadcnt 0x1
	s_wait_xcnt 0x1
	v_mul_f32_e32 v3, v6, v7
	s_clause 0x1
	global_store_b32 v1, v3, s[24:25] offset:-4
	global_load_b32 v3, v1, s[14:15]
	s_cbranch_vccnz .LBB100_8
; %bb.20:                               ;   in Loop: Header=BB100_9 Depth=1
	s_add_co_i32 s29, s4, s27
	s_delay_alu instid0(SALU_CYCLE_1)
	v_mov_b32_e32 v6, s29
	global_store_b32 v1, v5, s[12:13]
	global_store_b32 v6, v4, s[10:11] offset:16 scale_offset
	s_branch .LBB100_8
.LBB100_21:
	v_mov_b32_e32 v1, s26
	global_store_b32 v1, v3, s[8:9] scale_offset
.LBB100_22:
	s_wait_xcnt 0x0
	s_or_b32 exec_lo, exec_lo, s20
	s_delay_alu instid0(SALU_CYCLE_1)
	s_mov_b32 s20, exec_lo
	s_wait_storecnt 0x0
	s_barrier_signal -1
	s_barrier_wait -1
	v_cmpx_gt_i32_e64 s5, v0
	s_cbranch_execz .LBB100_28
; %bb.23:
	s_load_b32 s26, s[0:1], 0x8c
	s_add_co_i32 s28, s4, -1
	s_cmp_gt_i32 s4, 1
	v_dual_mov_b32 v1, 0 :: v_dual_mov_b32 v2, v0
	s_cselect_b32 s29, -1, 0
	s_lshl_b64 s[24:25], s[18:19], 2
	s_mov_b32 s14, s7
	s_mov_b32 s9, 0
	;; [unrolled: 1-line block ×3, first 2 shown]
	s_mul_i32 s10, s7, s28
	s_ashr_i32 s15, s7, 31
	s_add_nc_u64 s[24:25], s[16:17], s[24:25]
	s_lshl_b64 s[12:13], s[8:9], 2
	s_ashr_i32 s11, s10, 31
	s_lshl_b64 s[14:15], s[14:15], 3
	s_add_nc_u64 s[24:25], s[24:25], 16
	s_wait_kmcnt 0x0
	s_and_b32 s7, s26, 0xffff
	s_branch .LBB100_25
.LBB100_24:                             ;   in Loop: Header=BB100_25 Depth=1
	s_wait_xcnt 0x0
	v_add_nc_u32_e32 v2, s7, v2
	s_delay_alu instid0(VALU_DEP_2) | instskip(NEXT) | instid1(VALU_DEP_2)
	v_lshl_add_u64 v[6:7], s[10:11], 3, v[6:7]
	v_cmp_le_i32_e32 vcc_lo, s5, v2
	s_wait_loadcnt 0x0
	global_store_b64 v[6:7], v[4:5], off
	s_or_b32 s9, vcc_lo, s9
	s_wait_xcnt 0x0
	s_and_not1_b32 exec_lo, exec_lo, s9
	s_cbranch_execz .LBB100_28
.LBB100_25:                             ; =>This Loop Header: Depth=1
                                        ;     Child Loop BB100_27 Depth 2
	global_load_b64 v[4:5], v2, s[22:23] scale_offset
	v_ashrrev_i32_e32 v3, 31, v2
	s_and_not1_b32 vcc_lo, exec_lo, s29
	s_delay_alu instid0(VALU_DEP_1)
	v_lshl_add_u64 v[6:7], v[2:3], 3, s[22:23]
	s_cbranch_vccnz .LBB100_24
; %bb.26:                               ;   in Loop: Header=BB100_25 Depth=1
	s_delay_alu instid0(VALU_DEP_1)
	v_mov_b64_e32 v[8:9], v[6:7]
	s_mov_b32 s8, s28
	s_mov_b64 s[26:27], s[24:25]
.LBB100_27:                             ;   Parent Loop BB100_25 Depth=1
                                        ; =>  This Inner Loop Header: Depth=2
	s_delay_alu instid0(VALU_DEP_1)
	v_add_nc_u64_e32 v[10:11], s[14:15], v[8:9]
	s_add_nc_u64 s[30:31], s[26:27], s[12:13]
	s_add_co_i32 s8, s8, -1
	global_load_b64 v[12:13], v[10:11], off
	s_clause 0x1
	global_load_b32 v14, v1, s[30:31]
	global_load_b32 v16, v1, s[26:27]
	s_cmp_lg_u32 s8, 0
	s_wait_xcnt 0x0
	s_add_nc_u64 s[26:27], s[26:27], 4
	s_wait_loadcnt 0x1
	v_pk_mul_f32 v[18:19], v[12:13], v[14:15] op_sel_hi:[1,0]
	v_pk_mul_f32 v[14:15], v[4:5], v[14:15] op_sel_hi:[1,0]
	s_wait_loadcnt 0x0
	s_delay_alu instid0(VALU_DEP_2) | instskip(NEXT) | instid1(VALU_DEP_2)
	v_pk_fma_f32 v[18:19], v[4:5], v[16:17], v[18:19] op_sel_hi:[1,0,1] neg_lo:[0,0,1] neg_hi:[0,0,1]
	v_pk_fma_f32 v[4:5], v[12:13], v[16:17], v[14:15] op_sel_hi:[1,0,1]
	global_store_b64 v[8:9], v[18:19], off
	s_wait_xcnt 0x0
	v_mov_b64_e32 v[8:9], v[10:11]
	s_cbranch_scc1 .LBB100_27
	s_branch .LBB100_24
.LBB100_28:
	s_or_b32 exec_lo, exec_lo, s20
	s_delay_alu instid0(SALU_CYCLE_1)
	s_mov_b32 s5, exec_lo
	v_cmpx_gt_i32_e64 s6, v0
	s_cbranch_execz .LBB100_34
; %bb.29:
	s_load_b32 s14, s[0:1], 0x8c
	v_mul_lo_u32 v2, v0, s21
	s_wait_xcnt 0x0
	s_add_co_i32 s0, s4, -1
	s_cmp_gt_i32 s4, 1
	s_mov_b32 s5, 0
	s_cselect_b32 s7, -1, 0
	s_lshl_b64 s[12:13], s[18:19], 2
	v_mov_b32_e32 v1, 0
	s_lshl_b64 s[10:11], s[4:5], 2
	s_add_nc_u64 s[12:13], s[16:17], s[12:13]
	s_add_nc_u64 s[8:9], s[2:3], 8
	s_ashr_i32 s1, s0, 31
	s_add_nc_u64 s[12:13], s[12:13], 16
	s_wait_kmcnt 0x0
	s_and_b32 s4, s14, 0xffff
	s_delay_alu instid0(SALU_CYCLE_1)
	s_mul_i32 s16, s21, s4
	s_branch .LBB100_31
.LBB100_30:                             ;   in Loop: Header=BB100_31 Depth=1
	v_dual_ashrrev_i32 v7, 31, v6 :: v_dual_add_nc_u32 v0, s4, v0
	v_add_nc_u32_e32 v2, s16, v2
	s_wait_xcnt 0x0
	s_delay_alu instid0(VALU_DEP_2) | instskip(NEXT) | instid1(VALU_DEP_3)
	v_lshl_add_u64 v[6:7], v[6:7], 3, s[2:3]
	v_cmp_le_i32_e32 vcc_lo, s6, v0
	s_delay_alu instid0(VALU_DEP_2)
	v_lshl_add_u64 v[6:7], s[0:1], 3, v[6:7]
	s_or_b32 s5, vcc_lo, s5
	s_wait_loadcnt 0x0
	global_store_b64 v[6:7], v[4:5], off
	s_wait_xcnt 0x0
	s_and_not1_b32 exec_lo, exec_lo, s5
	s_cbranch_execz .LBB100_34
.LBB100_31:                             ; =>This Loop Header: Depth=1
                                        ;     Child Loop BB100_33 Depth 2
	v_mul_lo_u32 v6, v0, s21
	s_and_not1_b32 vcc_lo, exec_lo, s7
	global_load_b64 v[4:5], v6, s[2:3] scale_offset
	s_cbranch_vccnz .LBB100_30
; %bb.32:                               ;   in Loop: Header=BB100_31 Depth=1
	v_ashrrev_i32_e32 v3, 31, v2
	s_mov_b32 s17, s0
	s_mov_b64 s[14:15], s[12:13]
	s_delay_alu instid0(VALU_DEP_1)
	v_lshl_add_u64 v[8:9], v[2:3], 3, s[8:9]
.LBB100_33:                             ;   Parent Loop BB100_31 Depth=1
                                        ; =>  This Inner Loop Header: Depth=2
	s_add_nc_u64 s[18:19], s[14:15], s[10:11]
	global_load_b64 v[10:11], v[8:9], off
	s_clause 0x1
	global_load_b32 v12, v1, s[14:15]
	global_load_b32 v14, v1, s[18:19]
	s_add_co_i32 s17, s17, -1
	s_wait_xcnt 0x1
	s_add_nc_u64 s[14:15], s[14:15], 4
	s_cmp_lg_u32 s17, 0
	s_wait_loadcnt 0x0
	v_pk_mul_f32 v[16:17], v[10:11], v[14:15] op_sel_hi:[1,0]
	s_delay_alu instid0(VALU_DEP_1)
	v_pk_fma_f32 v[16:17], v[4:5], v[12:13], v[16:17] op_sel_hi:[1,0,1] neg_lo:[0,0,1] neg_hi:[0,0,1]
	v_pk_mul_f32 v[4:5], v[4:5], v[14:15] op_sel_hi:[1,0]
	global_store_b64 v[8:9], v[16:17], off offset:-8
	s_wait_xcnt 0x0
	v_add_nc_u64_e32 v[8:9], 8, v[8:9]
	v_pk_fma_f32 v[4:5], v[10:11], v[12:13], v[4:5] op_sel_hi:[1,0,1]
	s_cbranch_scc1 .LBB100_33
	s_branch .LBB100_30
.LBB100_34:
	s_endpgm
	.section	.rodata,"a",@progbits
	.p2align	6, 0x0
	.amdhsa_kernel _ZN9rocsolver6v33100L17bdsqr_lower2upperI19rocblas_complex_numIfEfPS3_S4_EEviiiPT0_lS6_lT1_iilT2_iilPiS6_lS9_
		.amdhsa_group_segment_fixed_size 0
		.amdhsa_private_segment_fixed_size 0
		.amdhsa_kernarg_size 384
		.amdhsa_user_sgpr_count 2
		.amdhsa_user_sgpr_dispatch_ptr 0
		.amdhsa_user_sgpr_queue_ptr 0
		.amdhsa_user_sgpr_kernarg_segment_ptr 1
		.amdhsa_user_sgpr_dispatch_id 0
		.amdhsa_user_sgpr_kernarg_preload_length 0
		.amdhsa_user_sgpr_kernarg_preload_offset 0
		.amdhsa_user_sgpr_private_segment_size 0
		.amdhsa_wavefront_size32 1
		.amdhsa_uses_dynamic_stack 0
		.amdhsa_enable_private_segment 0
		.amdhsa_system_sgpr_workgroup_id_x 1
		.amdhsa_system_sgpr_workgroup_id_y 1
		.amdhsa_system_sgpr_workgroup_id_z 0
		.amdhsa_system_sgpr_workgroup_info 0
		.amdhsa_system_vgpr_workitem_id 0
		.amdhsa_next_free_vgpr 20
		.amdhsa_next_free_sgpr 37
		.amdhsa_named_barrier_count 0
		.amdhsa_reserve_vcc 1
		.amdhsa_float_round_mode_32 0
		.amdhsa_float_round_mode_16_64 0
		.amdhsa_float_denorm_mode_32 3
		.amdhsa_float_denorm_mode_16_64 3
		.amdhsa_fp16_overflow 0
		.amdhsa_memory_ordered 1
		.amdhsa_forward_progress 1
		.amdhsa_inst_pref_size 18
		.amdhsa_round_robin_scheduling 0
		.amdhsa_exception_fp_ieee_invalid_op 0
		.amdhsa_exception_fp_denorm_src 0
		.amdhsa_exception_fp_ieee_div_zero 0
		.amdhsa_exception_fp_ieee_overflow 0
		.amdhsa_exception_fp_ieee_underflow 0
		.amdhsa_exception_fp_ieee_inexact 0
		.amdhsa_exception_int_div_zero 0
	.end_amdhsa_kernel
	.section	.text._ZN9rocsolver6v33100L17bdsqr_lower2upperI19rocblas_complex_numIfEfPS3_S4_EEviiiPT0_lS6_lT1_iilT2_iilPiS6_lS9_,"axG",@progbits,_ZN9rocsolver6v33100L17bdsqr_lower2upperI19rocblas_complex_numIfEfPS3_S4_EEviiiPT0_lS6_lT1_iilT2_iilPiS6_lS9_,comdat
.Lfunc_end100:
	.size	_ZN9rocsolver6v33100L17bdsqr_lower2upperI19rocblas_complex_numIfEfPS3_S4_EEviiiPT0_lS6_lT1_iilT2_iilPiS6_lS9_, .Lfunc_end100-_ZN9rocsolver6v33100L17bdsqr_lower2upperI19rocblas_complex_numIfEfPS3_S4_EEviiiPT0_lS6_lT1_iilT2_iilPiS6_lS9_
                                        ; -- End function
	.set _ZN9rocsolver6v33100L17bdsqr_lower2upperI19rocblas_complex_numIfEfPS3_S4_EEviiiPT0_lS6_lT1_iilT2_iilPiS6_lS9_.num_vgpr, 20
	.set _ZN9rocsolver6v33100L17bdsqr_lower2upperI19rocblas_complex_numIfEfPS3_S4_EEviiiPT0_lS6_lT1_iilT2_iilPiS6_lS9_.num_agpr, 0
	.set _ZN9rocsolver6v33100L17bdsqr_lower2upperI19rocblas_complex_numIfEfPS3_S4_EEviiiPT0_lS6_lT1_iilT2_iilPiS6_lS9_.numbered_sgpr, 37
	.set _ZN9rocsolver6v33100L17bdsqr_lower2upperI19rocblas_complex_numIfEfPS3_S4_EEviiiPT0_lS6_lT1_iilT2_iilPiS6_lS9_.num_named_barrier, 0
	.set _ZN9rocsolver6v33100L17bdsqr_lower2upperI19rocblas_complex_numIfEfPS3_S4_EEviiiPT0_lS6_lT1_iilT2_iilPiS6_lS9_.private_seg_size, 0
	.set _ZN9rocsolver6v33100L17bdsqr_lower2upperI19rocblas_complex_numIfEfPS3_S4_EEviiiPT0_lS6_lT1_iilT2_iilPiS6_lS9_.uses_vcc, 1
	.set _ZN9rocsolver6v33100L17bdsqr_lower2upperI19rocblas_complex_numIfEfPS3_S4_EEviiiPT0_lS6_lT1_iilT2_iilPiS6_lS9_.uses_flat_scratch, 0
	.set _ZN9rocsolver6v33100L17bdsqr_lower2upperI19rocblas_complex_numIfEfPS3_S4_EEviiiPT0_lS6_lT1_iilT2_iilPiS6_lS9_.has_dyn_sized_stack, 0
	.set _ZN9rocsolver6v33100L17bdsqr_lower2upperI19rocblas_complex_numIfEfPS3_S4_EEviiiPT0_lS6_lT1_iilT2_iilPiS6_lS9_.has_recursion, 0
	.set _ZN9rocsolver6v33100L17bdsqr_lower2upperI19rocblas_complex_numIfEfPS3_S4_EEviiiPT0_lS6_lT1_iilT2_iilPiS6_lS9_.has_indirect_call, 0
	.section	.AMDGPU.csdata,"",@progbits
; Kernel info:
; codeLenInByte = 2192
; TotalNumSgprs: 39
; NumVgprs: 20
; ScratchSize: 0
; MemoryBound: 0
; FloatMode: 240
; IeeeMode: 1
; LDSByteSize: 0 bytes/workgroup (compile time only)
; SGPRBlocks: 0
; VGPRBlocks: 1
; NumSGPRsForWavesPerEU: 39
; NumVGPRsForWavesPerEU: 20
; NamedBarCnt: 0
; Occupancy: 16
; WaveLimiterHint : 0
; COMPUTE_PGM_RSRC2:SCRATCH_EN: 0
; COMPUTE_PGM_RSRC2:USER_SGPR: 2
; COMPUTE_PGM_RSRC2:TRAP_HANDLER: 0
; COMPUTE_PGM_RSRC2:TGID_X_EN: 1
; COMPUTE_PGM_RSRC2:TGID_Y_EN: 1
; COMPUTE_PGM_RSRC2:TGID_Z_EN: 0
; COMPUTE_PGM_RSRC2:TIDIG_COMP_CNT: 0
	.section	.text._ZN9rocsolver6v33100L13bdsqr_computeILi256E19rocblas_complex_numIfEfPS3_S4_S4_EEviiiiPT1_lS6_lT2_iilT3_iilT4_iiliS5_S5_S5_S5_PiS6_ilSA_,"axG",@progbits,_ZN9rocsolver6v33100L13bdsqr_computeILi256E19rocblas_complex_numIfEfPS3_S4_S4_EEviiiiPT1_lS6_lT2_iilT3_iilT4_iiliS5_S5_S5_S5_PiS6_ilSA_,comdat
	.globl	_ZN9rocsolver6v33100L13bdsqr_computeILi256E19rocblas_complex_numIfEfPS3_S4_S4_EEviiiiPT1_lS6_lT2_iilT3_iilT4_iiliS5_S5_S5_S5_PiS6_ilSA_ ; -- Begin function _ZN9rocsolver6v33100L13bdsqr_computeILi256E19rocblas_complex_numIfEfPS3_S4_S4_EEviiiiPT1_lS6_lT2_iilT3_iilT4_iiliS5_S5_S5_S5_PiS6_ilSA_
	.p2align	8
	.type	_ZN9rocsolver6v33100L13bdsqr_computeILi256E19rocblas_complex_numIfEfPS3_S4_S4_EEviiiiPT1_lS6_lT2_iilT3_iilT4_iiliS5_S5_S5_S5_PiS6_ilSA_,@function
_ZN9rocsolver6v33100L13bdsqr_computeILi256E19rocblas_complex_numIfEfPS3_S4_S4_EEviiiiPT1_lS6_lT2_iilT3_iilT4_iiliS5_S5_S5_S5_PiS6_ilSA_: ; @_ZN9rocsolver6v33100L13bdsqr_computeILi256E19rocblas_complex_numIfEfPS3_S4_S4_EEviiiiPT1_lS6_lT2_iilT3_iilT4_iiliS5_S5_S5_S5_PiS6_ilSA_
; %bb.0:
	s_load_b128 s[4:7], s[0:1], 0xa8
	s_bfe_u32 s2, ttmp6, 0x40014
	s_lshr_b32 s3, ttmp7, 16
	s_add_co_i32 s2, s2, 1
	s_bfe_u32 s9, ttmp6, 0x40008
	s_mul_i32 s8, s3, s2
	s_getreg_b32 s2, hwreg(HW_REG_IB_STS2, 6, 4)
	s_add_co_i32 s9, s9, s8
	s_cmp_eq_u32 s2, 0
	s_mov_b32 s47, 0
	s_cselect_b32 s46, s3, s9
	s_wait_kmcnt 0x0
	s_load_b32 s3, s[6:7], s46 offset:0x8 scale_offset
	s_wait_kmcnt 0x0
	s_cmp_lg_u32 s3, 0
	s_cbranch_scc1 .LBB101_171
; %bb.1:
	s_load_b256 s[8:15], s[0:1], 0x30
	s_mov_b64 s[28:29], 0
	s_mov_b64 s[30:31], 0
	s_wait_kmcnt 0x0
	s_cmp_eq_u64 s[8:9], 0
	s_cbranch_scc1 .LBB101_3
; %bb.2:
	s_mul_u64 s[6:7], s[12:13], s[46:47]
	s_ashr_i32 s13, s10, 31
	s_lshl_b64 s[6:7], s[6:7], 3
	s_mov_b32 s12, s10
	s_add_nc_u64 s[6:7], s[8:9], s[6:7]
	s_lshl_b64 s[8:9], s[12:13], 3
	s_delay_alu instid0(SALU_CYCLE_1)
	s_add_nc_u64 s[30:31], s[6:7], s[8:9]
.LBB101_3:
	s_clause 0x1
	s_load_b64 s[8:9], s[0:1], 0x50
	s_load_b128 s[16:19], s[0:1], 0x58
	s_cmp_eq_u64 s[14:15], 0
	s_cbranch_scc1 .LBB101_5
; %bb.4:
	s_wait_kmcnt 0x0
	s_mul_u64 s[6:7], s[16:17], s[46:47]
	s_ashr_i32 s13, s8, 31
	s_lshl_b64 s[6:7], s[6:7], 3
	s_mov_b32 s12, s8
	s_add_nc_u64 s[6:7], s[14:15], s[6:7]
	s_lshl_b64 s[12:13], s[12:13], 3
	s_delay_alu instid0(SALU_CYCLE_1)
	s_add_nc_u64 s[28:29], s[6:7], s[12:13]
.LBB101_5:
	s_load_b64 s[34:35], s[0:1], 0x68
	s_wait_kmcnt 0x0
	s_cmp_eq_u64 s[18:19], 0
	s_mov_b64 s[36:37], 0
	s_cbranch_scc1 .LBB101_7
; %bb.6:
	s_load_b64 s[6:7], s[0:1], 0x70
	s_ashr_i32 s13, s34, 31
	s_mov_b32 s12, s34
	s_delay_alu instid0(SALU_CYCLE_1) | instskip(SKIP_2) | instid1(SALU_CYCLE_1)
	s_lshl_b64 s[12:13], s[12:13], 3
	s_wait_kmcnt 0x0
	s_mul_u64 s[6:7], s[6:7], s[46:47]
	s_lshl_b64 s[6:7], s[6:7], 3
	s_delay_alu instid0(SALU_CYCLE_1) | instskip(NEXT) | instid1(SALU_CYCLE_1)
	s_add_nc_u64 s[6:7], s[18:19], s[6:7]
	s_add_nc_u64 s[36:37], s[6:7], s[12:13]
.LBB101_7:
	s_load_b128 s[24:27], s[0:1], 0x90
	s_bfe_u32 s3, ttmp6, 0x40010
	s_and_b32 s6, ttmp7, 0xffff
	s_add_co_i32 s3, s3, 1
	s_bfe_u32 s7, ttmp6, 0x40004
	s_mul_i32 s3, s6, s3
	s_delay_alu instid0(SALU_CYCLE_1)
	s_add_co_i32 s7, s7, s3
	s_cmp_eq_u32 s2, 0
	s_mul_u64 s[2:3], s[4:5], s[46:47]
	s_cselect_b32 s8, s6, s7
	s_lshl_b64 s[2:3], s[2:3], 2
	s_wait_kmcnt 0x0
	s_add_nc_u64 s[26:27], s[26:27], s[2:3]
	s_load_b32 s2, s[26:27], 0x8
	s_wait_kmcnt 0x0
	s_cvt_i32_f32 s10, s2
	s_delay_alu instid0(SALU_CYCLE_3)
	s_cmp_ge_i32 s8, s10
	s_cbranch_scc1 .LBB101_171
; %bb.8:
	s_clause 0x1
	s_load_b128 s[20:23], s[0:1], 0x0
	s_load_b256 s[12:19], s[0:1], 0x10
	s_add_nc_u64 s[38:39], s[0:1], 0xb8
	s_clause 0x3
	s_load_b64 s[40:41], s[0:1], 0x78
	s_load_b64 s[42:43], s[0:1], 0x84
	s_load_b32 s33, s[0:1], 0xa0
	s_load_b32 s34, s[0:1], 0xbc
                                        ; implicit-def: $vgpr32 : SGPR spill to VGPR lane
	v_dual_mov_b32 v3, 0 :: v_dual_lshlrev_b32 v2, 2, v0
	v_mul_lo_u32 v1, v0, s11
	v_mul_lo_u32 v20, v0, s35
	v_cmp_gt_u32_e64 s2, 0x80, v0
	v_cmp_gt_u32_e64 s3, 64, v0
	;; [unrolled: 1-line block ×3, first 2 shown]
	v_cmp_eq_u32_e64 s5, 0, v0
	v_mov_b32_e32 v21, 1
	s_add_nc_u64 s[44:45], s[26:27], 12
	s_wait_kmcnt 0x0
	s_mul_i32 s6, s46, s20
	s_mul_u64 s[0:1], s[14:15], s[46:47]
	s_lshl_b32 s6, s6, 1
	s_mul_u64 s[14:15], s[18:19], s[46:47]
	s_ashr_i32 s7, s6, 31
	s_lshl_b64 s[18:19], s[0:1], 2
	v_writelane_b32 v32, s14, 0
	s_lshl_b64 s[46:47], s[14:15], 2
	s_lshl_b64 s[48:49], s[6:7], 2
	s_cmp_lg_u32 s21, 0
	s_add_nc_u64 s[12:13], s[12:13], s[18:19]
	s_cselect_b32 s20, -1, 0
	s_or_b32 s0, s23, s22
	v_writelane_b32 v32, s15, 1
	s_cmp_eq_u32 s0, 0
	v_cmp_gt_i32_e64 s0, s21, v0
	s_add_nc_u64 s[14:15], s[12:13], -4
	s_cselect_b32 s102, -1, 0
	s_cmp_lg_u64 s[30:31], 0
	s_add_nc_u64 s[18:19], s[16:17], s[46:47]
	v_writelane_b32 v32, s0, 2
	s_cselect_b32 s7, -1, 0
	v_add_nc_u64_e32 v[4:5], s[12:13], v[2:3]
	s_and_b32 s103, s20, s7
	s_cmp_lg_u64 s[28:29], 0
	v_writelane_b32 v32, s14, 3
	s_cselect_b32 s7, -1, 0
	s_cmp_lg_u32 s22, 0
	v_add_nc_u64_e32 v[6:7], s[18:19], v[2:3]
	s_cselect_b32 s46, -1, 0
	v_writelane_b32 v32, s15, 4
	s_add_nc_u64 s[14:15], s[16:17], -4
	s_and_b32 s104, s46, s7
	s_cmp_lg_u64 s[36:37], 0
	v_cmp_gt_i32_e64 s1, s22, v0
	v_writelane_b32 v32, s14, 5
	s_cselect_b32 s7, -1, 0
	s_cmp_lg_u32 s23, 0
	v_cmp_gt_i32_e64 s6, s23, v0
	s_cselect_b32 s46, -1, 0
	v_writelane_b32 v32, s15, 6
	s_add_nc_u64 s[14:15], s[18:19], -4
	s_add_nc_u64 s[24:25], s[24:25], s[48:49]
	s_and_b32 vcc_hi, s46, s7
	v_writelane_b32 v32, s14, 7
	v_writelane_b32 v32, s15, 8
	s_branch .LBB101_11
.LBB101_9:                              ;   in Loop: Header=BB101_11 Depth=1
	s_or_b32 exec_lo, exec_lo, s7
.LBB101_10:                             ;   in Loop: Header=BB101_11 Depth=1
	s_add_co_i32 s8, s34, s8
	s_delay_alu instid0(SALU_CYCLE_1)
	s_cmp_lt_i32 s8, s10
	s_cbranch_scc0 .LBB101_171
.LBB101_11:                             ; =>This Loop Header: Depth=1
                                        ;     Child Loop BB101_15 Depth 2
                                        ;     Child Loop BB101_40 Depth 2
	;; [unrolled: 1-line block ×5, first 2 shown]
                                        ;       Child Loop BB101_155 Depth 3
                                        ;     Child Loop BB101_160 Depth 2
                                        ;       Child Loop BB101_161 Depth 3
                                        ;     Child Loop BB101_166 Depth 2
                                        ;       Child Loop BB101_167 Depth 3
	s_lshl_b32 s16, s8, 2
	s_delay_alu instid0(SALU_CYCLE_1) | instskip(NEXT) | instid1(SALU_CYCLE_1)
	s_ashr_i32 s17, s16, 31
	s_lshl_b64 s[16:17], s[16:17], 2
	s_wait_xcnt 0x0
	s_add_nc_u64 s[60:61], s[24:25], s[16:17]
	global_load_b64 v[8:9], v3, s[60:61] offset:4
	s_wait_loadcnt 0x0
	v_readfirstlane_b32 s52, v9
	v_readfirstlane_b32 s54, v8
	s_cmp_le_i32 s52, s54
	s_cbranch_scc1 .LBB101_10
; %bb.12:                               ;   in Loop: Header=BB101_11 Depth=1
	global_load_b32 v8, v3, s[60:61] offset:12
	s_wait_loadcnt 0x0
	v_cmp_le_i32_e32 vcc_lo, s40, v8
	s_cbranch_vccnz .LBB101_10
; %bb.13:                               ;   in Loop: Header=BB101_11 Depth=1
	v_mov_b32_e32 v10, 0
	s_sub_co_i32 s50, s52, s54
	s_ashr_i32 s55, s54, 31
	s_mov_b32 s7, exec_lo
	s_wait_xcnt 0x0
	v_cmpx_ge_i32_e64 s50, v0
	s_cbranch_execz .LBB101_17
; %bb.14:                               ;   in Loop: Header=BB101_11 Depth=1
	v_lshl_add_u64 v[8:9], s[54:55], 2, v[4:5]
	v_dual_mov_b32 v10, 0 :: v_dual_mov_b32 v11, v0
	s_mov_b32 s16, 0
.LBB101_15:                             ;   Parent Loop BB101_11 Depth=1
                                        ; =>  This Inner Loop Header: Depth=2
	global_load_b32 v12, v[8:9], off
	v_add_nc_u32_e32 v11, 0x100, v11
	s_wait_xcnt 0x0
	v_add_nc_u64_e32 v[8:9], 0x400, v[8:9]
	s_delay_alu instid0(VALU_DEP_2) | instskip(SKIP_3) | instid1(VALU_DEP_1)
	v_cmp_lt_i32_e32 vcc_lo, s50, v11
	s_or_b32 s16, vcc_lo, s16
	s_wait_loadcnt 0x0
	v_cmp_lt_f32_e64 s17, v10, |v12|
	v_cndmask_b32_e64 v10, v10, |v12|, s17
	s_and_not1_b32 exec_lo, exec_lo, s16
	s_cbranch_execnz .LBB101_15
; %bb.16:                               ;   in Loop: Header=BB101_11 Depth=1
	s_or_b32 exec_lo, exec_lo, s16
.LBB101_17:                             ;   in Loop: Header=BB101_11 Depth=1
	s_delay_alu instid0(SALU_CYCLE_1)
	s_or_b32 exec_lo, exec_lo, s7
	ds_store_b32 v2, v10
	s_wait_dscnt 0x0
	s_barrier_signal -1
	s_barrier_wait -1
	s_and_saveexec_b32 s7, s2
	s_cbranch_execz .LBB101_21
; %bb.18:                               ;   in Loop: Header=BB101_11 Depth=1
	ds_load_b32 v8, v2 offset:512
	s_mov_b32 s16, exec_lo
	s_wait_dscnt 0x0
	v_cmpx_lt_f32_e32 v10, v8
; %bb.19:                               ;   in Loop: Header=BB101_11 Depth=1
	v_mov_b32_e32 v10, v8
	ds_store_b32 v2, v8
; %bb.20:                               ;   in Loop: Header=BB101_11 Depth=1
	s_or_b32 exec_lo, exec_lo, s16
.LBB101_21:                             ;   in Loop: Header=BB101_11 Depth=1
	s_delay_alu instid0(SALU_CYCLE_1)
	s_or_b32 exec_lo, exec_lo, s7
	s_wait_dscnt 0x0
	s_barrier_signal -1
	s_barrier_wait -1
	s_and_saveexec_b32 s7, s3
	s_cbranch_execz .LBB101_25
; %bb.22:                               ;   in Loop: Header=BB101_11 Depth=1
	ds_load_b32 v8, v2 offset:256
	s_mov_b32 s16, exec_lo
	s_wait_dscnt 0x0
	v_cmpx_lt_f32_e32 v10, v8
; %bb.23:                               ;   in Loop: Header=BB101_11 Depth=1
	v_mov_b32_e32 v10, v8
	ds_store_b32 v2, v8
; %bb.24:                               ;   in Loop: Header=BB101_11 Depth=1
	s_or_b32 exec_lo, exec_lo, s16
.LBB101_25:                             ;   in Loop: Header=BB101_11 Depth=1
	s_delay_alu instid0(SALU_CYCLE_1)
	s_or_b32 exec_lo, exec_lo, s7
	s_wait_dscnt 0x0
	s_barrier_signal -1
	s_barrier_wait -1
	s_and_saveexec_b32 s7, s4
	s_cbranch_execz .LBB101_38
; %bb.26:                               ;   in Loop: Header=BB101_11 Depth=1
	ds_load_b32 v8, v2 offset:128
	s_mov_b32 s16, exec_lo
	s_wait_dscnt 0x0
	v_cmpx_lt_f32_e32 v10, v8
; %bb.27:                               ;   in Loop: Header=BB101_11 Depth=1
	v_mov_b32_e32 v10, v8
	ds_store_b32 v2, v8
; %bb.28:                               ;   in Loop: Header=BB101_11 Depth=1
	s_or_b32 exec_lo, exec_lo, s16
	ds_load_b32 v8, v2 offset:64
	s_mov_b32 s16, exec_lo
	s_wait_dscnt 0x0
	v_cmpx_lt_f32_e32 v10, v8
; %bb.29:                               ;   in Loop: Header=BB101_11 Depth=1
	v_mov_b32_e32 v10, v8
	ds_store_b32 v2, v8
; %bb.30:                               ;   in Loop: Header=BB101_11 Depth=1
	s_or_b32 exec_lo, exec_lo, s16
	;; [unrolled: 9-line block ×5, first 2 shown]
	ds_load_b32 v8, v2 offset:4
	s_wait_dscnt 0x0
	v_cmp_lt_f32_e32 vcc_lo, v10, v8
	s_and_b32 exec_lo, exec_lo, vcc_lo
; %bb.37:                               ;   in Loop: Header=BB101_11 Depth=1
	ds_store_b32 v2, v8
.LBB101_38:                             ;   in Loop: Header=BB101_11 Depth=1
	s_or_b32 exec_lo, exec_lo, s7
	v_mov_b32_e32 v10, 0
	s_mov_b32 s7, exec_lo
	s_wait_dscnt 0x0
	s_barrier_signal -1
	s_barrier_wait -1
	v_cmpx_gt_i32_e64 s50, v0
	s_cbranch_execz .LBB101_42
; %bb.39:                               ;   in Loop: Header=BB101_11 Depth=1
	v_lshl_add_u64 v[8:9], s[54:55], 2, v[6:7]
	v_dual_mov_b32 v10, 0 :: v_dual_mov_b32 v11, v0
	s_mov_b32 s16, 0
.LBB101_40:                             ;   Parent Loop BB101_11 Depth=1
                                        ; =>  This Inner Loop Header: Depth=2
	global_load_b32 v12, v[8:9], off
	v_add_nc_u32_e32 v11, 0x100, v11
	s_wait_xcnt 0x0
	v_add_nc_u64_e32 v[8:9], 0x400, v[8:9]
	s_delay_alu instid0(VALU_DEP_2) | instskip(SKIP_3) | instid1(VALU_DEP_1)
	v_cmp_le_i32_e32 vcc_lo, s50, v11
	s_or_b32 s16, vcc_lo, s16
	s_wait_loadcnt 0x0
	v_cmp_lt_f32_e64 s17, v10, |v12|
	v_cndmask_b32_e64 v10, v10, |v12|, s17
	s_and_not1_b32 exec_lo, exec_lo, s16
	s_cbranch_execnz .LBB101_40
; %bb.41:                               ;   in Loop: Header=BB101_11 Depth=1
	s_or_b32 exec_lo, exec_lo, s16
.LBB101_42:                             ;   in Loop: Header=BB101_11 Depth=1
	s_delay_alu instid0(SALU_CYCLE_1)
	s_or_b32 exec_lo, exec_lo, s7
	s_cmp_lt_i32 s50, 2
	ds_store_b32 v2, v10 offset:4
	s_wait_dscnt 0x0
	s_barrier_signal -1
	s_barrier_wait -1
	s_cbranch_scc1 .LBB101_65
; %bb.43:                               ;   in Loop: Header=BB101_11 Depth=1
	s_and_saveexec_b32 s7, s2
	s_cbranch_execz .LBB101_47
; %bb.44:                               ;   in Loop: Header=BB101_11 Depth=1
	ds_load_b32 v8, v2 offset:516
	s_mov_b32 s16, exec_lo
	s_wait_dscnt 0x0
	v_cmpx_lt_f32_e32 v10, v8
; %bb.45:                               ;   in Loop: Header=BB101_11 Depth=1
	v_mov_b32_e32 v10, v8
	ds_store_b32 v2, v8 offset:4
; %bb.46:                               ;   in Loop: Header=BB101_11 Depth=1
	s_or_b32 exec_lo, exec_lo, s16
.LBB101_47:                             ;   in Loop: Header=BB101_11 Depth=1
	s_delay_alu instid0(SALU_CYCLE_1)
	s_or_b32 exec_lo, exec_lo, s7
	s_wait_dscnt 0x0
	s_barrier_signal -1
	s_barrier_wait -1
	s_and_saveexec_b32 s7, s3
	s_cbranch_execz .LBB101_51
; %bb.48:                               ;   in Loop: Header=BB101_11 Depth=1
	ds_load_b32 v8, v2 offset:260
	s_mov_b32 s16, exec_lo
	s_wait_dscnt 0x0
	v_cmpx_lt_f32_e32 v10, v8
; %bb.49:                               ;   in Loop: Header=BB101_11 Depth=1
	v_mov_b32_e32 v10, v8
	ds_store_b32 v2, v8 offset:4
; %bb.50:                               ;   in Loop: Header=BB101_11 Depth=1
	s_or_b32 exec_lo, exec_lo, s16
.LBB101_51:                             ;   in Loop: Header=BB101_11 Depth=1
	s_delay_alu instid0(SALU_CYCLE_1)
	s_or_b32 exec_lo, exec_lo, s7
	s_wait_dscnt 0x0
	s_barrier_signal -1
	s_barrier_wait -1
	s_and_saveexec_b32 s7, s4
	s_cbranch_execz .LBB101_64
; %bb.52:                               ;   in Loop: Header=BB101_11 Depth=1
	ds_load_b32 v8, v2 offset:132
	s_mov_b32 s16, exec_lo
	s_wait_dscnt 0x0
	v_cmpx_lt_f32_e32 v10, v8
; %bb.53:                               ;   in Loop: Header=BB101_11 Depth=1
	v_mov_b32_e32 v10, v8
	ds_store_b32 v2, v8 offset:4
; %bb.54:                               ;   in Loop: Header=BB101_11 Depth=1
	s_or_b32 exec_lo, exec_lo, s16
	ds_load_b32 v8, v2 offset:68
	s_mov_b32 s16, exec_lo
	s_wait_dscnt 0x0
	v_cmpx_lt_f32_e32 v10, v8
; %bb.55:                               ;   in Loop: Header=BB101_11 Depth=1
	v_mov_b32_e32 v10, v8
	ds_store_b32 v2, v8 offset:4
; %bb.56:                               ;   in Loop: Header=BB101_11 Depth=1
	s_or_b32 exec_lo, exec_lo, s16
	;; [unrolled: 9-line block ×5, first 2 shown]
	ds_load_b32 v8, v2 offset:8
	s_wait_dscnt 0x0
	v_cmp_lt_f32_e32 vcc_lo, v10, v8
	s_and_b32 exec_lo, exec_lo, vcc_lo
; %bb.63:                               ;   in Loop: Header=BB101_11 Depth=1
	ds_store_b32 v2, v8 offset:4
.LBB101_64:                             ;   in Loop: Header=BB101_11 Depth=1
	s_or_b32 exec_lo, exec_lo, s7
.LBB101_65:                             ;   in Loop: Header=BB101_11 Depth=1
	s_lshl_b64 s[56:57], s[54:55], 2
	s_wait_dscnt 0x0
	s_add_nc_u64 s[64:65], s[18:19], s[56:57]
	s_add_nc_u64 s[72:73], s[12:13], s[56:57]
	s_barrier_signal -1
	s_barrier_wait -1
	s_and_saveexec_b32 s7, s5
	s_cbranch_execz .LBB101_79
; %bb.66:                               ;   in Loop: Header=BB101_11 Depth=1
	v_mov_b32_e32 v8, s52
	s_mov_b32 s53, 0
	s_clause 0x1
	global_load_b32 v9, v3, s[72:73]
	global_load_b32 v8, v8, s[12:13] scale_offset
	s_wait_loadcnt 0x1
	v_readfirstlane_b32 s16, v9
	s_wait_loadcnt 0x0
	v_readfirstlane_b32 s17, v8
	s_bitset0_b32 s16, 31
	s_bitset0_b32 s17, 31
	s_delay_alu instid0(SALU_CYCLE_1)
	s_cmp_ge_f32 s16, s17
	s_cselect_b32 s46, -1, 0
	s_ashr_i32 s51, s50, 31
	s_wait_xcnt 0x0
	v_cndmask_b32_e64 v8, 0, 1, s46
	s_lshl_b64 s[58:59], s[50:51], 2
	s_and_b32 s47, s46, exec_lo
	s_add_nc_u64 s[58:59], s[72:73], s[58:59]
	s_delay_alu instid0(SALU_CYCLE_1)
	s_cselect_b32 s59, s73, s59
	s_cselect_b32 s58, s72, s58
	s_not_b32 s51, s54
	global_load_b32 v9, v3, s[58:59]
	s_add_co_i32 s51, s51, s52
	ds_store_b32 v3, v8 offset:1028
	s_wait_loadcnt 0x0
	v_readfirstlane_b32 s47, v9
	s_bitset0_b32 s47, 31
	s_wait_xcnt 0x0
	s_mov_b32 s59, s47
	s_branch .LBB101_68
.LBB101_67:                             ;   in Loop: Header=BB101_68 Depth=2
	s_and_not1_b32 vcc_lo, exec_lo, s63
	s_cbranch_vccz .LBB101_70
.LBB101_68:                             ;   Parent Loop BB101_11 Depth=1
                                        ; =>  This Inner Loop Header: Depth=2
	s_and_b32 s58, s46, exec_lo
	s_cselect_b32 s58, s53, s51
	s_mul_f32 s62, s42, s59
	v_mov_b32_e32 v8, s58
	s_mov_b32 s63, -1
	global_load_b32 v8, v8, s[64:65] scale_offset
	s_wait_loadcnt 0x0
	s_wait_xcnt 0x0
	v_and_b32_e32 v8, 0x7fffffff, v8
	s_delay_alu instid0(VALU_DEP_1)
	v_cmp_nge_f32_e32 vcc_lo, s62, v8
	s_mov_b32 s62, -1
	s_cbranch_vccz .LBB101_67
; %bb.69:                               ;   in Loop: Header=BB101_68 Depth=2
	s_add_co_i32 s53, s53, 1
	s_and_b32 s62, s46, exec_lo
	s_cselect_b32 s62, s53, s51
	s_delay_alu instid0(SALU_CYCLE_1) | instskip(NEXT) | instid1(VALU_DEP_1)
	v_dual_add_f32 v8, s59, v8 :: v_dual_mov_b32 v9, s62
	v_div_scale_f32 v10, null, v8, v8, s59
	global_load_b32 v9, v9, s[72:73] scale_offset
	v_div_scale_f32 v13, vcc_lo, s59, v8, s59
	v_rcp_f32_e32 v11, v10
	v_nop
	v_xor_b32_e32 v10, 0x80000000, v10
	s_delay_alu instid0(TRANS32_DEP_1) | instid1(VALU_DEP_1)
	v_fma_f32 v12, v10, v11, 1.0
	s_delay_alu instid0(VALU_DEP_1) | instskip(NEXT) | instid1(VALU_DEP_1)
	v_fmac_f32_e32 v11, v12, v11
	v_mul_f32_e32 v12, v13, v11
	s_delay_alu instid0(VALU_DEP_1) | instskip(NEXT) | instid1(VALU_DEP_1)
	v_fma_f32 v14, v10, v12, v13
	v_fmac_f32_e32 v12, v14, v11
	s_delay_alu instid0(VALU_DEP_1) | instskip(NEXT) | instid1(VALU_DEP_1)
	v_fmac_f32_e32 v13, v10, v12
	v_div_fmas_f32 v10, v13, v11, v12
	s_delay_alu instid0(VALU_DEP_1) | instskip(NEXT) | instid1(VALU_DEP_1)
	v_div_fixup_f32 v8, v10, v8, s59
	v_readfirstlane_b32 s62, v8
	s_wait_loadcnt 0x0
	v_readfirstlane_b32 s59, v9
	s_bitset0_b32 s59, 31
	s_delay_alu instid0(SALU_CYCLE_1) | instskip(SKIP_1) | instid1(SALU_CYCLE_2)
	s_mul_f32 s59, s62, s59
	s_mov_b32 s62, 0
	s_cmp_lt_f32 s59, s47
	s_cselect_b32 s47, s59, s47
	s_add_co_i32 s51, s51, -1
	s_delay_alu instid0(SALU_CYCLE_1)
	s_cmp_eq_u32 s51, -1
	s_cselect_b32 s63, -1, 0
	s_branch .LBB101_67
.LBB101_70:                             ;   in Loop: Header=BB101_11 Depth=1
	s_and_b32 vcc_lo, exec_lo, s62
	s_cbranch_vccz .LBB101_72
; %bb.71:                               ;   in Loop: Header=BB101_11 Depth=1
	s_ashr_i32 s59, s58, 31
	s_mov_b32 s47, -1.0
	s_lshl_b64 s[58:59], s[58:59], 2
	s_delay_alu instid0(SALU_CYCLE_1)
	s_add_nc_u64 s[58:59], s[64:65], s[58:59]
	global_store_b32 v3, v3, s[58:59]
.LBB101_72:                             ;   in Loop: Header=BB101_11 Depth=1
	v_mov_b32_e32 v8, s47
	s_cmp_nge_f32 s47, 0
	ds_store_b32 v3, v8 offset:1032
	ds_store_b8 v3, v3 offset:1036
	s_cbranch_scc1 .LBB101_79
; %bb.73:                               ;   in Loop: Header=BB101_11 Depth=1
	s_wait_xcnt 0x0
	ds_load_b64 v[8:9], v3
	s_mov_b32 s51, -1
	s_wait_dscnt 0x0
	v_cmp_lt_f32_e32 vcc_lo, v8, v9
	v_cndmask_b32_e32 v8, v8, v9, vcc_lo
	s_delay_alu instid0(VALU_DEP_1) | instskip(NEXT) | instid1(VALU_DEP_1)
	v_div_scale_f32 v9, null, v8, v8, s47
	v_rcp_f32_e32 v10, v9
	v_nop
	v_xor_b32_e32 v9, 0x80000000, v9
	s_delay_alu instid0(TRANS32_DEP_1) | instid1(VALU_DEP_1)
	v_fma_f32 v11, v9, v10, 1.0
	s_delay_alu instid0(VALU_DEP_1) | instskip(SKIP_1) | instid1(VALU_DEP_1)
	v_fmac_f32_e32 v10, v11, v10
	v_div_scale_f32 v11, vcc_lo, s47, v8, s47
	v_mul_f32_e32 v12, v11, v10
	s_delay_alu instid0(VALU_DEP_1) | instskip(NEXT) | instid1(VALU_DEP_1)
	v_fma_f32 v13, v9, v12, v11
	v_fmac_f32_e32 v12, v13, v10
	s_delay_alu instid0(VALU_DEP_1) | instskip(NEXT) | instid1(VALU_DEP_1)
	v_fmac_f32_e32 v11, v9, v12
	v_div_fmas_f32 v9, v11, v10, v12
	s_delay_alu instid0(VALU_DEP_1) | instskip(NEXT) | instid1(VALU_DEP_1)
	v_div_fixup_f32 v8, v9, v8, s47
	v_cmp_ge_f32_e32 vcc_lo, s43, v8
	s_cbranch_vccnz .LBB101_76
; %bb.74:                               ;   in Loop: Header=BB101_11 Depth=1
	s_and_b32 s46, s46, exec_lo
	s_cselect_b32 s16, s16, s17
	s_mov_b32 s51, 0
	s_cmp_gt_f32 s16, 0
	s_cbranch_scc0 .LBB101_76
; %bb.75:                               ;   in Loop: Header=BB101_11 Depth=1
	s_mul_f32 s17, s47, s47
	s_delay_alu instid0(SALU_CYCLE_3) | instskip(SKIP_1) | instid1(VALU_DEP_2)
	v_div_scale_f32 v8, null, s16, s16, s17
	v_div_scale_f32 v11, vcc_lo, s17, s16, s17
	v_rcp_f32_e32 v9, v8
	v_nop
	v_xor_b32_e32 v8, 0x80000000, v8
	s_delay_alu instid0(TRANS32_DEP_1) | instid1(VALU_DEP_1)
	v_fma_f32 v10, v8, v9, 1.0
	s_delay_alu instid0(VALU_DEP_1) | instskip(NEXT) | instid1(VALU_DEP_1)
	v_fmac_f32_e32 v9, v10, v9
	v_mul_f32_e32 v10, v11, v9
	s_delay_alu instid0(VALU_DEP_1) | instskip(NEXT) | instid1(VALU_DEP_1)
	v_fma_f32 v12, v8, v10, v11
	v_fmac_f32_e32 v10, v12, v9
	s_delay_alu instid0(VALU_DEP_1) | instskip(NEXT) | instid1(VALU_DEP_1)
	v_fmac_f32_e32 v11, v8, v10
	v_div_fmas_f32 v8, v11, v9, v10
	s_delay_alu instid0(VALU_DEP_1) | instskip(NEXT) | instid1(VALU_DEP_1)
	v_div_fixup_f32 v8, v8, s16, s17
	v_div_scale_f32 v9, null, s16, s16, v8
	s_delay_alu instid0(VALU_DEP_1)
	v_rcp_f32_e32 v10, v9
	v_nop
	v_xor_b32_e32 v9, 0x80000000, v9
	s_delay_alu instid0(TRANS32_DEP_1) | instid1(VALU_DEP_1)
	v_fma_f32 v11, v9, v10, 1.0
	s_delay_alu instid0(VALU_DEP_1) | instskip(SKIP_1) | instid1(VALU_DEP_1)
	v_fmac_f32_e32 v10, v11, v10
	v_div_scale_f32 v11, vcc_lo, v8, s16, v8
	v_mul_f32_e32 v12, v11, v10
	s_delay_alu instid0(VALU_DEP_1) | instskip(NEXT) | instid1(VALU_DEP_1)
	v_fma_f32 v13, v9, v12, v11
	v_fmac_f32_e32 v12, v13, v10
	s_delay_alu instid0(VALU_DEP_1) | instskip(NEXT) | instid1(VALU_DEP_1)
	v_fmac_f32_e32 v11, v9, v12
	v_div_fmas_f32 v9, v11, v10, v12
	s_delay_alu instid0(VALU_DEP_1) | instskip(NEXT) | instid1(VALU_DEP_1)
	v_div_fixup_f32 v8, v9, s16, v8
	v_cmp_gt_f32_e64 s51, s41, v8
.LBB101_76:                             ;   in Loop: Header=BB101_11 Depth=1
	s_delay_alu instid0(VALU_DEP_1)
	s_and_b32 vcc_lo, exec_lo, s51
	s_cbranch_vccz .LBB101_78
; %bb.77:                               ;   in Loop: Header=BB101_11 Depth=1
	ds_store_b32 v3, v3 offset:1032
.LBB101_78:                             ;   in Loop: Header=BB101_11 Depth=1
	ds_store_b8 v3, v21 offset:1036
.LBB101_79:                             ;   in Loop: Header=BB101_11 Depth=1
	s_wait_xcnt 0x0
	s_or_b32 exec_lo, exec_lo, s7
	s_wait_storecnt_dscnt 0x0
	s_barrier_signal -1
	s_barrier_wait -1
	ds_load_u8 v8, v3 offset:1036
	s_mov_b32 s7, -1
	s_wait_dscnt 0x0
	v_cmp_eq_u32_e32 vcc_lo, 0, v8
	s_cbranch_vccz .LBB101_83
; %bb.80:                               ;   in Loop: Header=BB101_11 Depth=1
	s_and_saveexec_b32 s7, s5
	s_cbranch_execz .LBB101_82
; %bb.81:                               ;   in Loop: Header=BB101_11 Depth=1
	global_store_b32 v3, v3, s[60:61]
.LBB101_82:                             ;   in Loop: Header=BB101_11 Depth=1
	s_wait_xcnt 0x0
	s_or_b32 exec_lo, exec_lo, s7
	s_mov_b32 s7, 0
.LBB101_83:                             ;   in Loop: Header=BB101_11 Depth=1
	s_delay_alu instid0(SALU_CYCLE_1)
	s_and_not1_b32 vcc_lo, exec_lo, s7
	s_cbranch_vccnz .LBB101_10
; %bb.84:                               ;   in Loop: Header=BB101_11 Depth=1
	ds_load_b32 v8, v3 offset:1028
	s_wait_dscnt 0x0
	v_readfirstlane_b32 s58, v8
	s_and_saveexec_b32 s7, s5
	s_cbranch_execz .LBB101_86
; %bb.85:                               ;   in Loop: Header=BB101_11 Depth=1
	s_cmp_eq_u32 s58, 0
	s_cselect_b32 s16, -1, 1
	s_delay_alu instid0(SALU_CYCLE_1)
	v_mov_b32_e32 v8, s16
	global_store_b32 v3, v8, s[60:61]
.LBB101_86:                             ;   in Loop: Header=BB101_11 Depth=1
	s_wait_xcnt 0x0
	s_or_b32 exec_lo, exec_lo, s7
	s_add_co_i32 s68, s50, 1
	s_mul_i32 s60, s54, s33
	s_sub_co_i32 s66, 1, s58
	s_ashr_i32 s61, s60, 31
	s_sub_co_i32 s51, s58, s66
	s_lshl_b32 s7, s68, 1
	s_and_b32 s16, s20, exec_lo
	s_cselect_b32 s62, s7, 0
	s_and_saveexec_b32 s53, s5
	s_cbranch_execz .LBB101_149
; %bb.87:                               ;   in Loop: Header=BB101_11 Depth=1
	s_cmp_lg_u32 s58, 0
	v_mov_b32_e32 v12, 0
	s_cselect_b32 s46, -1, 0
	s_delay_alu instid0(SALU_CYCLE_1) | instskip(SKIP_1) | instid1(SALU_CYCLE_1)
	s_and_b32 s7, s46, exec_lo
	s_cselect_b32 s70, 0, s50
	v_mov_b32_e32 v8, s70
	global_load_b32 v10, v8, s[72:73] scale_offset
	s_wait_xcnt 0x0
	v_mov_b32_e32 v8, 0
	s_wait_loadcnt 0x0
	v_cmp_eq_f32_e32 vcc_lo, 0, v10
	s_cbranch_vccnz .LBB101_89
; %bb.88:                               ;   in Loop: Header=BB101_11 Depth=1
	ds_load_b32 v9, v3 offset:1032
	v_cmp_lt_f32_e64 s7, 0, v10
	s_wait_dscnt 0x0
	v_div_scale_f32 v11, null, v10, v10, v9
	v_div_scale_f32 v14, vcc_lo, v9, v10, v9
	s_delay_alu instid0(VALU_DEP_2)
	v_rcp_f32_e32 v12, v11
	v_nop
	v_xor_b32_e32 v11, 0x80000000, v11
	s_delay_alu instid0(TRANS32_DEP_1) | instid1(VALU_DEP_1)
	v_fma_f32 v13, v11, v12, 1.0
	s_delay_alu instid0(VALU_DEP_1) | instskip(NEXT) | instid1(VALU_DEP_1)
	v_fmac_f32_e32 v12, v13, v12
	v_mul_f32_e32 v13, v14, v12
	s_delay_alu instid0(VALU_DEP_1) | instskip(NEXT) | instid1(VALU_DEP_1)
	v_fma_f32 v15, v11, v13, v14
	v_fmac_f32_e32 v13, v15, v12
	v_cndmask_b32_e64 v15, 0, 1, s7
	v_cmp_gt_f32_e64 s7, 0, v10
	s_delay_alu instid0(VALU_DEP_3) | instskip(NEXT) | instid1(VALU_DEP_2)
	v_fmac_f32_e32 v14, v11, v13
	v_subrev_co_ci_u32_e64 v11, null, 0, v15, s7
	s_delay_alu instid0(VALU_DEP_2) | instskip(SKIP_1) | instid1(VALU_DEP_3)
	v_div_fmas_f32 v12, v14, v12, v13
	v_and_b32_e32 v13, 0x7fffffff, v10
	v_cvt_f32_i32_e32 v11, v11
	s_delay_alu instid0(VALU_DEP_3) | instskip(NEXT) | instid1(VALU_DEP_1)
	v_div_fixup_f32 v12, v12, v10, v9
	v_dual_sub_f32 v9, v13, v9 :: v_dual_add_f32 v11, v12, v11
	s_delay_alu instid0(VALU_DEP_1)
	v_mul_f32_e32 v12, v9, v11
.LBB101_89:                             ;   in Loop: Header=BB101_11 Depth=1
	s_ashr_i32 s71, s70, 31
	s_ashr_i32 s59, s58, 31
	s_delay_alu instid0(SALU_CYCLE_1) | instskip(NEXT) | instid1(SALU_CYCLE_1)
	s_add_nc_u64 s[74:75], s[70:71], s[58:59]
	s_lshl_b64 s[82:83], s[74:75], 2
	s_delay_alu instid0(SALU_CYCLE_1)
	s_add_nc_u64 s[76:77], s[64:65], s[82:83]
	global_load_b32 v11, v3, s[76:77] offset:-4
	s_wait_loadcnt 0x0
	v_cmp_eq_f32_e32 vcc_lo, 0, v11
	s_cbranch_vccnz .LBB101_93
; %bb.90:                               ;   in Loop: Header=BB101_11 Depth=1
	v_cmp_eq_f32_e32 vcc_lo, 0, v12
	s_cbranch_vccnz .LBB101_94
; %bb.91:                               ;   in Loop: Header=BB101_11 Depth=1
	v_and_b32_e32 v8, 0x7fffffff, v11
	v_and_b32_e32 v9, 0x7fffffff, v12
	s_delay_alu instid0(VALU_DEP_1)
	v_cmp_gt_f32_e32 vcc_lo, v8, v9
	s_cbranch_vccnz .LBB101_95
; %bb.92:                               ;   in Loop: Header=BB101_11 Depth=1
	v_div_scale_f32 v8, null, v12, v12, -v11
	v_div_scale_f32 v14, vcc_lo, -v11, v12, -v11
	s_delay_alu instid0(VALU_DEP_2)
	v_rcp_f32_e32 v9, v8
	v_nop
	v_xor_b32_e32 v8, 0x80000000, v8
	s_delay_alu instid0(TRANS32_DEP_1) | instid1(VALU_DEP_1)
	v_fma_f32 v13, v8, v9, 1.0
	s_delay_alu instid0(VALU_DEP_1) | instskip(NEXT) | instid1(VALU_DEP_1)
	v_fmac_f32_e32 v9, v13, v9
	v_mul_f32_e32 v13, v14, v9
	s_delay_alu instid0(VALU_DEP_1) | instskip(NEXT) | instid1(VALU_DEP_1)
	v_fma_f32 v15, v8, v13, v14
	v_fmac_f32_e32 v13, v15, v9
	s_delay_alu instid0(VALU_DEP_1) | instskip(NEXT) | instid1(VALU_DEP_1)
	v_fmac_f32_e32 v14, v8, v13
	v_div_fmas_f32 v8, v14, v9, v13
	s_delay_alu instid0(VALU_DEP_1) | instskip(NEXT) | instid1(VALU_DEP_1)
	v_div_fixup_f32 v8, v8, v12, -v11
	v_readfirstlane_b32 s7, v8
	s_fmaak_f32 s7, s7, s7, 0x3f800000
	s_delay_alu instid0(SALU_CYCLE_3) | instskip(SKIP_1) | instid1(SALU_CYCLE_2)
	s_mul_f32 s16, s7, 0x4f800000
	s_cmp_lt_f32 s7, 0xf800000
	s_cselect_b32 s16, s16, s7
	s_delay_alu instid0(SALU_CYCLE_1) | instskip(SKIP_1) | instid1(TRANS32_DEP_1)
	v_s_sqrt_f32 s17, s16
	s_mov_b32 s63, s16
	s_add_co_i32 s47, s17, -1
	s_delay_alu instid0(SALU_CYCLE_1) | instskip(NEXT) | instid1(SALU_CYCLE_1)
	s_xor_b32 s67, s47, 0x80000000
	s_fmac_f32 s63, s67, s17
	s_mov_b32 s67, s16
	s_delay_alu instid0(SALU_CYCLE_2) | instskip(SKIP_2) | instid1(SALU_CYCLE_1)
	s_cmp_le_f32 s63, 0
	s_cselect_b32 s47, s47, s17
	s_add_co_i32 s63, s17, 1
	s_xor_b32 s69, s63, 0x80000000
	s_delay_alu instid0(SALU_CYCLE_1) | instskip(SKIP_1) | instid1(SALU_CYCLE_2)
	s_fmac_f32 s67, s69, s17
	v_cmp_class_f32_e64 s17, s16, 0x260
	s_cmp_gt_f32 s67, 0
	s_cselect_b32 s47, s63, s47
	s_cmp_lt_f32 s7, 0xf800000
	s_mul_f32 s7, s47, 0x37800000
	s_delay_alu instid0(SALU_CYCLE_3) | instskip(SKIP_2) | instid1(SALU_CYCLE_1)
	s_cselect_b32 s7, s7, s47
	s_and_b32 s17, s17, exec_lo
	s_cselect_b32 s7, s16, s7
	v_div_scale_f32 v9, null, s7, s7, 1.0
	s_delay_alu instid0(VALU_DEP_1)
	v_rcp_f32_e32 v13, v9
	v_nop
	v_xor_b32_e32 v9, 0x80000000, v9
	s_delay_alu instid0(TRANS32_DEP_1) | instid1(VALU_DEP_1)
	v_fma_f32 v14, v9, v13, 1.0
	s_delay_alu instid0(VALU_DEP_1) | instskip(SKIP_1) | instid1(VALU_DEP_1)
	v_fmac_f32_e32 v13, v14, v13
	v_div_scale_f32 v14, vcc_lo, 1.0, s7, 1.0
	v_mul_f32_e32 v15, v14, v13
	s_delay_alu instid0(VALU_DEP_1) | instskip(NEXT) | instid1(VALU_DEP_1)
	v_fma_f32 v16, v9, v15, v14
	v_fmac_f32_e32 v15, v16, v13
	s_delay_alu instid0(VALU_DEP_1) | instskip(NEXT) | instid1(VALU_DEP_1)
	v_fmac_f32_e32 v14, v9, v15
	v_div_fmas_f32 v9, v14, v13, v15
	s_delay_alu instid0(VALU_DEP_1) | instskip(NEXT) | instid1(VALU_DEP_1)
	v_div_fixup_f32 v9, v9, s7, 1.0
	v_mul_f32_e32 v8, v8, v9
	s_cbranch_execz .LBB101_96
	s_branch .LBB101_97
.LBB101_93:                             ;   in Loop: Header=BB101_11 Depth=1
	v_mov_b32_e32 v9, 1.0
	s_branch .LBB101_97
.LBB101_94:                             ;   in Loop: Header=BB101_11 Depth=1
	v_dual_mov_b32 v8, 1.0 :: v_dual_mov_b32 v9, 0
	s_branch .LBB101_97
.LBB101_95:                             ;   in Loop: Header=BB101_11 Depth=1
                                        ; implicit-def: $vgpr9
.LBB101_96:                             ;   in Loop: Header=BB101_11 Depth=1
	v_div_scale_f32 v8, null, v11, v11, -v12
	v_div_scale_f32 v14, vcc_lo, -v12, v11, -v12
	s_delay_alu instid0(VALU_DEP_2)
	v_rcp_f32_e32 v9, v8
	v_nop
	v_xor_b32_e32 v8, 0x80000000, v8
	s_delay_alu instid0(TRANS32_DEP_1) | instid1(VALU_DEP_1)
	v_fma_f32 v13, v8, v9, 1.0
	s_delay_alu instid0(VALU_DEP_1) | instskip(NEXT) | instid1(VALU_DEP_1)
	v_fmac_f32_e32 v9, v13, v9
	v_mul_f32_e32 v13, v14, v9
	s_delay_alu instid0(VALU_DEP_1) | instskip(NEXT) | instid1(VALU_DEP_1)
	v_fma_f32 v15, v8, v13, v14
	v_fmac_f32_e32 v13, v15, v9
	s_delay_alu instid0(VALU_DEP_1) | instskip(NEXT) | instid1(VALU_DEP_1)
	v_fmac_f32_e32 v14, v8, v13
	v_div_fmas_f32 v8, v14, v9, v13
	s_delay_alu instid0(VALU_DEP_1) | instskip(NEXT) | instid1(VALU_DEP_1)
	v_div_fixup_f32 v9, v8, v11, -v12
	v_readfirstlane_b32 s7, v9
	s_fmaak_f32 s7, s7, s7, 0x3f800000
	s_delay_alu instid0(SALU_CYCLE_3) | instskip(SKIP_1) | instid1(SALU_CYCLE_2)
	s_mul_f32 s16, s7, 0x4f800000
	s_cmp_lt_f32 s7, 0xf800000
	s_cselect_b32 s16, s16, s7
	s_delay_alu instid0(SALU_CYCLE_1) | instskip(SKIP_1) | instid1(TRANS32_DEP_1)
	v_s_sqrt_f32 s17, s16
	s_mov_b32 s63, s16
	s_add_co_i32 s47, s17, -1
	s_delay_alu instid0(SALU_CYCLE_1) | instskip(NEXT) | instid1(SALU_CYCLE_1)
	s_xor_b32 s67, s47, 0x80000000
	s_fmac_f32 s63, s67, s17
	s_mov_b32 s67, s16
	s_delay_alu instid0(SALU_CYCLE_2) | instskip(SKIP_2) | instid1(SALU_CYCLE_1)
	s_cmp_le_f32 s63, 0
	s_cselect_b32 s47, s47, s17
	s_add_co_i32 s63, s17, 1
	s_xor_b32 s69, s63, 0x80000000
	s_delay_alu instid0(SALU_CYCLE_1) | instskip(SKIP_1) | instid1(SALU_CYCLE_2)
	s_fmac_f32 s67, s69, s17
	v_cmp_class_f32_e64 s17, s16, 0x260
	s_cmp_gt_f32 s67, 0
	s_cselect_b32 s47, s63, s47
	s_cmp_lt_f32 s7, 0xf800000
	s_mul_f32 s7, s47, 0x37800000
	s_delay_alu instid0(SALU_CYCLE_3) | instskip(SKIP_2) | instid1(SALU_CYCLE_1)
	s_cselect_b32 s7, s7, s47
	s_and_b32 s17, s17, exec_lo
	s_cselect_b32 s7, s16, s7
	v_div_scale_f32 v8, null, s7, s7, 1.0
	s_delay_alu instid0(VALU_DEP_1)
	v_rcp_f32_e32 v12, v8
	v_nop
	v_xor_b32_e32 v8, 0x80000000, v8
	s_delay_alu instid0(TRANS32_DEP_1) | instid1(VALU_DEP_1)
	v_fma_f32 v13, v8, v12, 1.0
	s_delay_alu instid0(VALU_DEP_1) | instskip(SKIP_1) | instid1(VALU_DEP_1)
	v_fmac_f32_e32 v12, v13, v12
	v_div_scale_f32 v13, vcc_lo, 1.0, s7, 1.0
	v_mul_f32_e32 v14, v13, v12
	s_delay_alu instid0(VALU_DEP_1) | instskip(NEXT) | instid1(VALU_DEP_1)
	v_fma_f32 v15, v8, v14, v13
	v_fmac_f32_e32 v14, v15, v12
	s_delay_alu instid0(VALU_DEP_1) | instskip(NEXT) | instid1(VALU_DEP_1)
	v_fmac_f32_e32 v13, v8, v14
	v_div_fmas_f32 v8, v13, v12, v14
	s_delay_alu instid0(VALU_DEP_1) | instskip(NEXT) | instid1(VALU_DEP_1)
	v_div_fixup_f32 v8, v8, s7, 1.0
	v_mul_f32_e32 v9, v9, v8
.LBB101_97:                             ;   in Loop: Header=BB101_11 Depth=1
	s_delay_alu instid0(VALU_DEP_1)
	v_pk_mul_f32 v[12:13], v[10:11], v[8:9]
	s_sub_nc_u64 s[78:79], 0, s[58:59]
	s_lshl_b64 s[16:17], s[70:71], 2
	s_sub_nc_u64 s[80:81], s[58:59], s[78:79]
	s_add_nc_u64 s[86:87], s[72:73], s[16:17]
	v_add_f32_e32 v12, v12, v13
	s_lshl_b64 s[16:17], s[80:81], 2
	s_and_b32 s7, s20, s46
	s_add_nc_u64 s[84:85], s[86:87], s[16:17]
	s_lshl_b64 s[78:79], s[60:61], 2
	s_clause 0x1
	global_store_b32 v3, v12, s[76:77] offset:-4
	global_load_b32 v12, v3, s[84:85] offset:-4
	v_cndmask_b32_e64 v14, 0, 1, s7
	s_add_nc_u64 s[72:73], s[26:27], s[78:79]
	s_and_not1_b32 vcc_lo, exec_lo, s7
	s_add_nc_u64 s[82:83], s[72:73], s[82:83]
	s_wait_loadcnt 0x0
	v_mul_f32_e32 v13, v9, v12
	global_store_b32 v3, v13, s[84:85] offset:-4
	s_cbranch_vccnz .LBB101_99
; %bb.98:                               ;   in Loop: Header=BB101_11 Depth=1
	s_wait_xcnt 0x0
	v_mov_b32_e32 v13, s68
	s_clause 0x1
	global_store_b32 v3, v9, s[82:83] offset:12
	global_store_b32 v13, v8, s[82:83] offset:12 scale_offset
.LBB101_99:                             ;   in Loop: Header=BB101_11 Depth=1
	s_cmp_lg_u32 s58, 1
	s_cselect_b32 s7, -1, 0
	s_cmp_eq_u32 s58, 1
	s_cselect_b32 s16, -1, 0
	s_delay_alu instid0(SALU_CYCLE_1) | instskip(NEXT) | instid1(SALU_CYCLE_1)
	s_or_b32 s16, s102, s16
	s_and_b32 vcc_lo, exec_lo, s16
	s_cbranch_vccnz .LBB101_101
; %bb.100:                              ;   in Loop: Header=BB101_11 Depth=1
	s_ashr_i32 s63, s62, 31
	s_wait_xcnt 0x0
	v_mov_b32_e32 v13, s68
	s_add_nc_u64 s[88:89], s[74:75], s[62:63]
	s_delay_alu instid0(SALU_CYCLE_1) | instskip(NEXT) | instid1(SALU_CYCLE_1)
	s_lshl_b64 s[88:89], s[88:89], 2
	s_add_nc_u64 s[88:89], s[72:73], s[88:89]
	s_clause 0x1
	global_store_b32 v3, v9, s[88:89] offset:12
	global_store_b32 v13, v8, s[88:89] offset:12 scale_offset
.LBB101_101:                            ;   in Loop: Header=BB101_11 Depth=1
	s_wait_xcnt 0x0
	v_xor_b32_e32 v13, 0x80000000, v8
	s_delay_alu instid0(VALU_DEP_1) | instskip(NEXT) | instid1(VALU_DEP_1)
	v_dual_mul_f32 v11, v11, v8 :: v_dual_mul_f32 v8, v12, v13
	v_xor_b32_e32 v12, 0x80000000, v11
	s_delay_alu instid0(VALU_DEP_2) | instskip(NEXT) | instid1(VALU_DEP_2)
	v_cmp_eq_f32_e32 vcc_lo, 0, v8
	v_fmac_f32_e32 v12, v10, v9
	s_cbranch_vccnz .LBB101_105
; %bb.102:                              ;   in Loop: Header=BB101_11 Depth=1
	s_delay_alu instid0(VALU_DEP_1)
	v_cmp_eq_f32_e32 vcc_lo, 0, v12
	s_cbranch_vccnz .LBB101_106
; %bb.103:                              ;   in Loop: Header=BB101_11 Depth=1
	v_and_b32_e32 v9, 0x7fffffff, v8
	v_and_b32_e32 v10, 0x7fffffff, v12
	s_delay_alu instid0(VALU_DEP_1)
	v_cmp_gt_f32_e32 vcc_lo, v9, v10
	s_cbranch_vccnz .LBB101_107
; %bb.104:                              ;   in Loop: Header=BB101_11 Depth=1
	v_div_scale_f32 v9, null, v12, v12, -v8
	v_div_scale_f32 v13, vcc_lo, -v8, v12, -v8
	s_delay_alu instid0(VALU_DEP_2)
	v_rcp_f32_e32 v10, v9
	v_nop
	v_xor_b32_e32 v9, 0x80000000, v9
	s_delay_alu instid0(TRANS32_DEP_1) | instid1(VALU_DEP_1)
	v_fma_f32 v11, v9, v10, 1.0
	s_delay_alu instid0(VALU_DEP_1) | instskip(NEXT) | instid1(VALU_DEP_1)
	v_fmac_f32_e32 v10, v11, v10
	v_mul_f32_e32 v11, v13, v10
	s_delay_alu instid0(VALU_DEP_1) | instskip(NEXT) | instid1(VALU_DEP_1)
	v_fma_f32 v15, v9, v11, v13
	v_fmac_f32_e32 v11, v15, v10
	s_delay_alu instid0(VALU_DEP_1) | instskip(NEXT) | instid1(VALU_DEP_1)
	v_fmac_f32_e32 v13, v9, v11
	v_div_fmas_f32 v9, v13, v10, v11
	s_delay_alu instid0(VALU_DEP_1) | instskip(NEXT) | instid1(VALU_DEP_1)
	v_div_fixup_f32 v9, v9, v12, -v8
	v_readfirstlane_b32 s17, v9
	s_fmaak_f32 s17, s17, s17, 0x3f800000
	s_delay_alu instid0(SALU_CYCLE_3) | instskip(SKIP_1) | instid1(SALU_CYCLE_2)
	s_mul_f32 s47, s17, 0x4f800000
	s_cmp_lt_f32 s17, 0xf800000
	s_cselect_b32 s47, s47, s17
	s_delay_alu instid0(SALU_CYCLE_1) | instskip(SKIP_1) | instid1(TRANS32_DEP_1)
	v_s_sqrt_f32 s63, s47
	s_mov_b32 s69, s47
	s_add_co_i32 s67, s63, -1
	s_delay_alu instid0(SALU_CYCLE_1) | instskip(NEXT) | instid1(SALU_CYCLE_1)
	s_xor_b32 s71, s67, 0x80000000
	s_fmac_f32 s69, s71, s63
	s_mov_b32 s71, s47
	s_delay_alu instid0(SALU_CYCLE_2) | instskip(SKIP_2) | instid1(SALU_CYCLE_1)
	s_cmp_le_f32 s69, 0
	s_cselect_b32 s67, s67, s63
	s_add_co_i32 s69, s63, 1
	s_xor_b32 s88, s69, 0x80000000
	s_delay_alu instid0(SALU_CYCLE_1) | instskip(SKIP_1) | instid1(SALU_CYCLE_2)
	s_fmac_f32 s71, s88, s63
	v_cmp_class_f32_e64 s63, s47, 0x260
	s_cmp_gt_f32 s71, 0
	s_cselect_b32 s67, s69, s67
	s_cmp_lt_f32 s17, 0xf800000
	s_mul_f32 s17, s67, 0x37800000
	s_delay_alu instid0(SALU_CYCLE_3) | instskip(SKIP_2) | instid1(SALU_CYCLE_1)
	s_cselect_b32 s17, s17, s67
	s_and_b32 s63, s63, exec_lo
	s_cselect_b32 s17, s47, s17
	v_div_scale_f32 v10, null, s17, s17, 1.0
	s_delay_alu instid0(VALU_DEP_1)
	v_rcp_f32_e32 v11, v10
	v_nop
	v_xor_b32_e32 v10, 0x80000000, v10
	s_delay_alu instid0(TRANS32_DEP_1) | instid1(VALU_DEP_1)
	v_fma_f32 v13, v10, v11, 1.0
	s_delay_alu instid0(VALU_DEP_1) | instskip(SKIP_1) | instid1(VALU_DEP_1)
	v_fmac_f32_e32 v11, v13, v11
	v_div_scale_f32 v13, vcc_lo, 1.0, s17, 1.0
	v_mul_f32_e32 v15, v13, v11
	s_delay_alu instid0(VALU_DEP_1) | instskip(NEXT) | instid1(VALU_DEP_1)
	v_fma_f32 v16, v10, v15, v13
	v_fmac_f32_e32 v15, v16, v11
	s_delay_alu instid0(VALU_DEP_1) | instskip(NEXT) | instid1(VALU_DEP_1)
	v_fmac_f32_e32 v13, v10, v15
	v_div_fmas_f32 v10, v13, v11, v15
	s_delay_alu instid0(VALU_DEP_1) | instskip(NEXT) | instid1(VALU_DEP_1)
	v_div_fixup_f32 v10, v10, s17, 1.0
	v_mul_f32_e32 v11, v9, v10
	s_cbranch_execz .LBB101_108
	s_branch .LBB101_109
.LBB101_105:                            ;   in Loop: Header=BB101_11 Depth=1
	v_dual_mov_b32 v11, 0 :: v_dual_mov_b32 v10, 1.0
	s_branch .LBB101_111
.LBB101_106:                            ;   in Loop: Header=BB101_11 Depth=1
	v_xor_b32_e32 v12, 0x80000000, v8
                                        ; implicit-def: $vgpr10
	s_cbranch_execnz .LBB101_110
	s_branch .LBB101_111
.LBB101_107:                            ;   in Loop: Header=BB101_11 Depth=1
                                        ; implicit-def: $vgpr11
.LBB101_108:                            ;   in Loop: Header=BB101_11 Depth=1
	v_div_scale_f32 v9, null, v8, v8, -v12
	v_div_scale_f32 v13, vcc_lo, -v12, v8, -v12
	s_delay_alu instid0(VALU_DEP_2)
	v_rcp_f32_e32 v10, v9
	v_nop
	v_xor_b32_e32 v9, 0x80000000, v9
	s_delay_alu instid0(TRANS32_DEP_1) | instid1(VALU_DEP_1)
	v_fma_f32 v11, v9, v10, 1.0
	s_delay_alu instid0(VALU_DEP_1) | instskip(NEXT) | instid1(VALU_DEP_1)
	v_fmac_f32_e32 v10, v11, v10
	v_mul_f32_e32 v11, v13, v10
	s_delay_alu instid0(VALU_DEP_1) | instskip(NEXT) | instid1(VALU_DEP_1)
	v_fma_f32 v15, v9, v11, v13
	v_fmac_f32_e32 v11, v15, v10
	s_delay_alu instid0(VALU_DEP_1) | instskip(NEXT) | instid1(VALU_DEP_1)
	v_fmac_f32_e32 v13, v9, v11
	v_div_fmas_f32 v9, v13, v10, v11
	s_delay_alu instid0(VALU_DEP_1) | instskip(NEXT) | instid1(VALU_DEP_1)
	v_div_fixup_f32 v9, v9, v8, -v12
	v_readfirstlane_b32 s17, v9
	s_fmaak_f32 s17, s17, s17, 0x3f800000
	s_delay_alu instid0(SALU_CYCLE_3) | instskip(SKIP_1) | instid1(SALU_CYCLE_2)
	s_mul_f32 s47, s17, 0x4f800000
	s_cmp_lt_f32 s17, 0xf800000
	s_cselect_b32 s47, s47, s17
	s_delay_alu instid0(SALU_CYCLE_1) | instskip(SKIP_1) | instid1(TRANS32_DEP_1)
	v_s_sqrt_f32 s63, s47
	s_mov_b32 s69, s47
	s_add_co_i32 s67, s63, -1
	s_delay_alu instid0(SALU_CYCLE_1) | instskip(NEXT) | instid1(SALU_CYCLE_1)
	s_xor_b32 s71, s67, 0x80000000
	s_fmac_f32 s69, s71, s63
	s_mov_b32 s71, s47
	s_delay_alu instid0(SALU_CYCLE_2) | instskip(SKIP_2) | instid1(SALU_CYCLE_1)
	s_cmp_le_f32 s69, 0
	s_cselect_b32 s67, s67, s63
	s_add_co_i32 s69, s63, 1
	s_xor_b32 s88, s69, 0x80000000
	s_delay_alu instid0(SALU_CYCLE_1) | instskip(SKIP_1) | instid1(SALU_CYCLE_2)
	s_fmac_f32 s71, s88, s63
	v_cmp_class_f32_e64 s63, s47, 0x260
	s_cmp_gt_f32 s71, 0
	s_cselect_b32 s67, s69, s67
	s_cmp_lt_f32 s17, 0xf800000
	s_mul_f32 s17, s67, 0x37800000
	s_delay_alu instid0(SALU_CYCLE_3) | instskip(SKIP_2) | instid1(SALU_CYCLE_1)
	s_cselect_b32 s17, s17, s67
	s_and_b32 s63, s63, exec_lo
	s_cselect_b32 s17, s47, s17
	v_div_scale_f32 v10, null, s17, s17, 1.0
	s_delay_alu instid0(VALU_DEP_1)
	v_rcp_f32_e32 v11, v10
	v_nop
	v_xor_b32_e32 v10, 0x80000000, v10
	s_delay_alu instid0(TRANS32_DEP_1) | instid1(VALU_DEP_1)
	v_fma_f32 v13, v10, v11, 1.0
	s_delay_alu instid0(VALU_DEP_1) | instskip(SKIP_1) | instid1(VALU_DEP_1)
	v_fmac_f32_e32 v11, v13, v11
	v_div_scale_f32 v13, vcc_lo, 1.0, s17, 1.0
	v_mul_f32_e32 v15, v13, v11
	s_delay_alu instid0(VALU_DEP_1) | instskip(NEXT) | instid1(VALU_DEP_1)
	v_fma_f32 v16, v10, v15, v13
	v_fmac_f32_e32 v15, v16, v11
	s_delay_alu instid0(VALU_DEP_1) | instskip(NEXT) | instid1(VALU_DEP_1)
	v_fmac_f32_e32 v13, v10, v15
	v_div_fmas_f32 v10, v13, v11, v15
	s_delay_alu instid0(VALU_DEP_1) | instskip(NEXT) | instid1(VALU_DEP_1)
	v_div_fixup_f32 v11, v10, s17, 1.0
	v_mul_f32_e32 v10, v9, v11
.LBB101_109:                            ;   in Loop: Header=BB101_11 Depth=1
	v_mov_b32_e32 v13, v8
	s_delay_alu instid0(VALU_DEP_1) | instskip(NEXT) | instid1(VALU_DEP_1)
	v_pk_mul_f32 v[12:13], v[12:13], v[10:11]
	v_sub_f32_e32 v12, v12, v13
	s_branch .LBB101_111
.LBB101_110:                            ;   in Loop: Header=BB101_11 Depth=1
	v_dual_mov_b32 v11, 1.0 :: v_dual_mov_b32 v10, 0
.LBB101_111:                            ;   in Loop: Header=BB101_11 Depth=1
	s_clause 0x2
	global_store_b32 v3, v12, s[86:87]
	global_load_b32 v9, v3, s[84:85] offset:-4
	global_load_b32 v12, v3, s[76:77] offset:-4
	s_cmp_eq_u32 s68, 2
	s_wait_loadcnt 0x1
	v_mul_f32_e32 v13, v10, v9
	s_wait_loadcnt 0x0
	s_delay_alu instid0(VALU_DEP_1)
	v_fmac_f32_e32 v13, v11, v12
	global_store_b32 v3, v13, s[84:85] offset:-4
	s_cbranch_scc0 .LBB101_169
; %bb.112:                              ;   in Loop: Header=BB101_11 Depth=1
	s_and_b32 s7, s20, s7
	s_delay_alu instid0(SALU_CYCLE_1)
	v_cndmask_b32_e64 v15, 0, 1, s7
	s_and_not1_b32 vcc_lo, exec_lo, s7
	s_cbranch_vccz .LBB101_170
.LBB101_113:                            ;   in Loop: Header=BB101_11 Depth=1
	s_xor_b32 s7, s46, -1
	s_delay_alu instid0(SALU_CYCLE_1) | instskip(NEXT) | instid1(SALU_CYCLE_1)
	s_or_b32 s17, s102, s7
	s_and_b32 vcc_lo, exec_lo, s17
	s_cbranch_vccnz .LBB101_115
.LBB101_114:                            ;   in Loop: Header=BB101_11 Depth=1
	s_ashr_i32 s63, s62, 31
	s_wait_xcnt 0x0
	v_mov_b32_e32 v13, s68
	s_add_nc_u64 s[74:75], s[74:75], s[62:63]
	s_delay_alu instid0(SALU_CYCLE_1) | instskip(NEXT) | instid1(SALU_CYCLE_1)
	s_lshl_b64 s[74:75], s[74:75], 2
	s_add_nc_u64 s[72:73], s[72:73], s[74:75]
	s_clause 0x1
	global_store_b32 v3, v10, s[72:73] offset:12
	global_store_b32 v13, v11, s[72:73] offset:12 scale_offset
.LBB101_115:                            ;   in Loop: Header=BB101_11 Depth=1
	v_mul_f32_e32 v9, v11, v9
	s_cmp_eq_u32 s50, 1
	s_mov_b32 s7, 0
	s_delay_alu instid0(VALU_DEP_1) | instskip(NEXT) | instid1(VALU_DEP_1)
	v_xor_b32_e32 v9, 0x80000000, v9
	v_fmac_f32_e32 v9, v10, v12
	s_cbranch_scc1 .LBB101_148
; %bb.116:                              ;   in Loop: Header=BB101_11 Depth=1
	s_wait_xcnt 0x0
	s_add_co_i32 s72, s70, s51
	s_lshl_b64 s[76:77], s[58:59], 3
	s_ashr_i32 s73, s72, 31
	v_readlane_b32 s14, v32, 3
	v_readlane_b32 s15, v32, 4
	s_sub_co_i32 s82, s70, s66
	s_add_nc_u64 s[84:85], s[76:77], s[56:57]
	s_lshl_b64 s[74:75], s[72:73], 2
	s_ashr_i32 s63, s62, 31
	s_add_nc_u64 s[70:71], s[84:85], s[74:75]
	s_add_nc_u64 s[80:81], s[80:81], s[62:63]
	s_ashr_i32 s83, s82, 31
	s_add_nc_u64 s[70:71], s[14:15], s[70:71]
	s_add_nc_u64 s[80:81], s[80:81], s[82:83]
	v_readlane_b32 s14, v32, 0
	v_readlane_b32 s15, v32, 1
	s_ashr_i32 s69, s68, 31
	s_lshl_b64 s[80:81], s[80:81], 2
	s_lshl_b64 s[86:87], s[68:69], 2
	s_add_nc_u64 s[80:81], s[80:81], s[78:79]
	s_add_nc_u64 s[68:69], s[56:57], s[74:75]
	s_add_nc_u64 s[74:75], s[80:81], s[86:87]
	s_add_nc_u64 s[78:79], s[76:77], s[78:79]
	s_add_nc_u64 s[76:77], s[44:45], s[80:81]
	s_add_nc_u64 s[80:81], s[14:15], s[54:55]
	s_lshl_b32 s67, s58, 1
	s_add_nc_u64 s[80:81], s[80:81], s[82:83]
	s_add_co_i32 s72, s67, -2
	s_lshl_b64 s[88:89], s[82:83], 2
	s_mul_u64 s[82:83], s[58:59], 12
	s_lshl_b64 s[80:81], s[80:81], 2
	s_ashr_i32 s67, s66, 31
	v_readlane_b32 s14, v32, 5
	v_readlane_b32 s15, v32, 6
	s_add_nc_u64 s[80:81], s[82:83], s[80:81]
	s_lshl_b64 s[82:83], s[66:67], 2
	s_ashr_i32 s73, s72, 31
	s_sub_nc_u64 s[80:81], s[80:81], s[82:83]
	s_add_nc_u64 s[78:79], s[78:79], s[88:89]
	s_add_nc_u64 s[80:81], s[14:15], s[80:81]
	v_readlane_b32 s14, v32, 7
	v_readlane_b32 s15, v32, 8
	s_lshl_b64 s[72:73], s[72:73], 2
	s_add_nc_u64 s[86:87], s[78:79], s[86:87]
	s_add_nc_u64 s[82:83], s[84:85], s[88:89]
	;; [unrolled: 1-line block ×3, first 2 shown]
	s_xor_b32 s47, s16, -1
	s_xor_b32 s16, s17, -1
	s_add_co_i32 s7, s50, -1
	s_mov_b32 s17, 1
	s_or_b64 s[72:73], s[72:73], 4
	s_add_nc_u64 s[68:69], s[12:13], s[68:69]
	s_add_nc_u64 s[74:75], s[44:45], s[74:75]
	s_add_nc_u64 s[66:67], s[44:45], s[86:87]
	s_add_nc_u64 s[78:79], s[44:45], s[78:79]
	s_add_nc_u64 s[82:83], s[14:15], s[82:83]
	s_add_nc_u64 s[84:85], s[18:19], s[84:85]
	s_mov_b64 s[86:87], 0
	s_branch .LBB101_118
.LBB101_117:                            ;   in Loop: Header=BB101_118 Depth=2
	v_mul_f32_e32 v9, v13, v9
	s_add_co_i32 s17, s17, 1
	s_add_nc_u64 s[86:87], s[86:87], s[72:73]
	s_cmp_eq_u32 s50, s17
	s_delay_alu instid0(VALU_DEP_1) | instskip(NEXT) | instid1(VALU_DEP_1)
	v_xor_b32_e32 v9, 0x80000000, v9
	v_fmac_f32_e32 v9, v12, v10
	s_cbranch_scc1 .LBB101_148
.LBB101_118:                            ;   Parent Loop BB101_11 Depth=1
                                        ; =>  This Inner Loop Header: Depth=2
	v_cmp_eq_f32_e32 vcc_lo, 0, v8
	s_cbranch_vccnz .LBB101_122
; %bb.119:                              ;   in Loop: Header=BB101_118 Depth=2
	s_delay_alu instid0(VALU_DEP_2)
	v_cmp_neq_f32_e32 vcc_lo, 0, v9
	s_cbranch_vccz .LBB101_123
; %bb.120:                              ;   in Loop: Header=BB101_118 Depth=2
	v_and_b32_e32 v10, 0x7fffffff, v8
	s_wait_xcnt 0x0
	v_and_b32_e32 v11, 0x7fffffff, v9
	s_delay_alu instid0(VALU_DEP_1)
	v_cmp_ngt_f32_e32 vcc_lo, v10, v11
	s_cbranch_vccz .LBB101_124
; %bb.121:                              ;   in Loop: Header=BB101_118 Depth=2
	v_div_scale_f32 v10, null, v9, v9, -v8
	v_div_scale_f32 v13, vcc_lo, -v8, v9, -v8
	s_delay_alu instid0(VALU_DEP_2)
	v_rcp_f32_e32 v11, v10
	v_nop
	v_xor_b32_e32 v10, 0x80000000, v10
	s_delay_alu instid0(TRANS32_DEP_1) | instid1(VALU_DEP_1)
	v_fma_f32 v12, v10, v11, 1.0
	s_delay_alu instid0(VALU_DEP_1) | instskip(NEXT) | instid1(VALU_DEP_1)
	v_fmac_f32_e32 v11, v12, v11
	v_mul_f32_e32 v12, v13, v11
	s_delay_alu instid0(VALU_DEP_1) | instskip(NEXT) | instid1(VALU_DEP_1)
	v_fma_f32 v16, v10, v12, v13
	v_fmac_f32_e32 v12, v16, v11
	s_delay_alu instid0(VALU_DEP_1) | instskip(NEXT) | instid1(VALU_DEP_1)
	v_fmac_f32_e32 v13, v10, v12
	v_div_fmas_f32 v10, v13, v11, v12
	s_delay_alu instid0(VALU_DEP_1) | instskip(NEXT) | instid1(VALU_DEP_1)
	v_div_fixup_f32 v10, v10, v9, -v8
	v_readfirstlane_b32 s59, v10
	s_fmaak_f32 s59, s59, s59, 0x3f800000
	s_delay_alu instid0(SALU_CYCLE_3) | instskip(SKIP_1) | instid1(SALU_CYCLE_2)
	s_mul_f32 s63, s59, 0x4f800000
	s_cmp_lt_f32 s59, 0xf800000
	s_cselect_b32 s63, s63, s59
	s_delay_alu instid0(SALU_CYCLE_1) | instskip(SKIP_1) | instid1(TRANS32_DEP_1)
	v_s_sqrt_f32 s88, s63
	s_mov_b32 s90, s63
	s_add_co_i32 s89, s88, -1
	s_delay_alu instid0(SALU_CYCLE_1) | instskip(NEXT) | instid1(SALU_CYCLE_1)
	s_xor_b32 s91, s89, 0x80000000
	s_fmac_f32 s90, s91, s88
	s_mov_b32 s91, s63
	s_delay_alu instid0(SALU_CYCLE_2) | instskip(SKIP_2) | instid1(SALU_CYCLE_1)
	s_cmp_le_f32 s90, 0
	s_cselect_b32 s89, s89, s88
	s_add_co_i32 s90, s88, 1
	s_xor_b32 s92, s90, 0x80000000
	s_delay_alu instid0(SALU_CYCLE_1) | instskip(SKIP_1) | instid1(SALU_CYCLE_2)
	s_fmac_f32 s91, s92, s88
	v_cmp_class_f32_e64 s88, s63, 0x260
	s_cmp_gt_f32 s91, 0
	s_cselect_b32 s89, s90, s89
	s_cmp_lt_f32 s59, 0xf800000
	s_mul_f32 s59, s89, 0x37800000
	s_delay_alu instid0(SALU_CYCLE_3) | instskip(SKIP_2) | instid1(SALU_CYCLE_1)
	s_cselect_b32 s59, s59, s89
	s_and_b32 s88, s88, exec_lo
	s_cselect_b32 s59, s63, s59
	v_div_scale_f32 v11, null, s59, s59, 1.0
	s_delay_alu instid0(VALU_DEP_1)
	v_rcp_f32_e32 v12, v11
	v_nop
	v_xor_b32_e32 v11, 0x80000000, v11
	s_delay_alu instid0(TRANS32_DEP_1) | instid1(VALU_DEP_1)
	v_fma_f32 v13, v11, v12, 1.0
	s_delay_alu instid0(VALU_DEP_1) | instskip(SKIP_1) | instid1(VALU_DEP_1)
	v_fmac_f32_e32 v12, v13, v12
	v_div_scale_f32 v13, vcc_lo, 1.0, s59, 1.0
	v_mul_f32_e32 v16, v13, v12
	s_delay_alu instid0(VALU_DEP_1) | instskip(NEXT) | instid1(VALU_DEP_1)
	v_fma_f32 v17, v11, v16, v13
	v_fmac_f32_e32 v16, v17, v12
	s_delay_alu instid0(VALU_DEP_1) | instskip(NEXT) | instid1(VALU_DEP_1)
	v_fmac_f32_e32 v13, v11, v16
	v_div_fmas_f32 v11, v13, v12, v16
	s_delay_alu instid0(VALU_DEP_1) | instskip(NEXT) | instid1(VALU_DEP_1)
	v_div_fixup_f32 v11, v11, s59, 1.0
	v_mul_f32_e32 v10, v10, v11
	s_cbranch_execz .LBB101_125
	s_branch .LBB101_126
.LBB101_122:                            ;   in Loop: Header=BB101_118 Depth=2
	s_wait_xcnt 0x0
	v_dual_mov_b32 v10, 0 :: v_dual_mov_b32 v11, 1.0
	s_branch .LBB101_128
.LBB101_123:                            ;   in Loop: Header=BB101_118 Depth=2
	v_xor_b32_e32 v9, 0x80000000, v8
                                        ; implicit-def: $vgpr11
	s_cbranch_execnz .LBB101_127
	s_branch .LBB101_128
.LBB101_124:                            ;   in Loop: Header=BB101_118 Depth=2
                                        ; implicit-def: $vgpr11
.LBB101_125:                            ;   in Loop: Header=BB101_118 Depth=2
	v_div_scale_f32 v10, null, v8, v8, -v9
	v_div_scale_f32 v13, vcc_lo, -v9, v8, -v9
	s_delay_alu instid0(VALU_DEP_2)
	v_rcp_f32_e32 v11, v10
	v_nop
	v_xor_b32_e32 v10, 0x80000000, v10
	s_delay_alu instid0(TRANS32_DEP_1) | instid1(VALU_DEP_1)
	v_fma_f32 v12, v10, v11, 1.0
	s_delay_alu instid0(VALU_DEP_1) | instskip(NEXT) | instid1(VALU_DEP_1)
	v_fmac_f32_e32 v11, v12, v11
	v_mul_f32_e32 v12, v13, v11
	s_delay_alu instid0(VALU_DEP_1) | instskip(NEXT) | instid1(VALU_DEP_1)
	v_fma_f32 v16, v10, v12, v13
	v_fmac_f32_e32 v12, v16, v11
	s_delay_alu instid0(VALU_DEP_1) | instskip(NEXT) | instid1(VALU_DEP_1)
	v_fmac_f32_e32 v13, v10, v12
	v_div_fmas_f32 v10, v13, v11, v12
	s_delay_alu instid0(VALU_DEP_1) | instskip(NEXT) | instid1(VALU_DEP_1)
	v_div_fixup_f32 v11, v10, v8, -v9
	v_readfirstlane_b32 s59, v11
	s_fmaak_f32 s59, s59, s59, 0x3f800000
	s_delay_alu instid0(SALU_CYCLE_3) | instskip(SKIP_1) | instid1(SALU_CYCLE_2)
	s_mul_f32 s63, s59, 0x4f800000
	s_cmp_lt_f32 s59, 0xf800000
	s_cselect_b32 s63, s63, s59
	s_delay_alu instid0(SALU_CYCLE_1) | instskip(SKIP_1) | instid1(TRANS32_DEP_1)
	v_s_sqrt_f32 s88, s63
	s_mov_b32 s90, s63
	s_add_co_i32 s89, s88, -1
	s_delay_alu instid0(SALU_CYCLE_1) | instskip(NEXT) | instid1(SALU_CYCLE_1)
	s_xor_b32 s91, s89, 0x80000000
	s_fmac_f32 s90, s91, s88
	s_mov_b32 s91, s63
	s_delay_alu instid0(SALU_CYCLE_2) | instskip(SKIP_2) | instid1(SALU_CYCLE_1)
	s_cmp_le_f32 s90, 0
	s_cselect_b32 s89, s89, s88
	s_add_co_i32 s90, s88, 1
	s_xor_b32 s92, s90, 0x80000000
	s_delay_alu instid0(SALU_CYCLE_1) | instskip(SKIP_1) | instid1(SALU_CYCLE_2)
	s_fmac_f32 s91, s92, s88
	v_cmp_class_f32_e64 s88, s63, 0x260
	s_cmp_gt_f32 s91, 0
	s_cselect_b32 s89, s90, s89
	s_cmp_lt_f32 s59, 0xf800000
	s_mul_f32 s59, s89, 0x37800000
	s_delay_alu instid0(SALU_CYCLE_3) | instskip(SKIP_2) | instid1(SALU_CYCLE_1)
	s_cselect_b32 s59, s59, s89
	s_and_b32 s88, s88, exec_lo
	s_cselect_b32 s59, s63, s59
	v_div_scale_f32 v10, null, s59, s59, 1.0
	s_delay_alu instid0(VALU_DEP_1)
	v_rcp_f32_e32 v12, v10
	v_nop
	v_xor_b32_e32 v10, 0x80000000, v10
	s_delay_alu instid0(TRANS32_DEP_1) | instid1(VALU_DEP_1)
	v_fma_f32 v13, v10, v12, 1.0
	s_delay_alu instid0(VALU_DEP_1) | instskip(SKIP_1) | instid1(VALU_DEP_1)
	v_fmac_f32_e32 v12, v13, v12
	v_div_scale_f32 v13, vcc_lo, 1.0, s59, 1.0
	v_mul_f32_e32 v16, v13, v12
	s_delay_alu instid0(VALU_DEP_1) | instskip(NEXT) | instid1(VALU_DEP_1)
	v_fma_f32 v17, v10, v16, v13
	v_fmac_f32_e32 v16, v17, v12
	s_delay_alu instid0(VALU_DEP_1) | instskip(NEXT) | instid1(VALU_DEP_1)
	v_fmac_f32_e32 v13, v10, v16
	v_div_fmas_f32 v10, v13, v12, v16
	s_delay_alu instid0(VALU_DEP_1) | instskip(NEXT) | instid1(VALU_DEP_1)
	v_div_fixup_f32 v10, v10, s59, 1.0
	v_mul_f32_e32 v11, v11, v10
.LBB101_126:                            ;   in Loop: Header=BB101_118 Depth=2
	s_delay_alu instid0(VALU_DEP_1) | instskip(NEXT) | instid1(VALU_DEP_1)
	v_pk_mul_f32 v[8:9], v[8:9], v[10:11]
	v_sub_f32_e32 v9, v9, v8
	s_branch .LBB101_128
.LBB101_127:                            ;   in Loop: Header=BB101_118 Depth=2
	s_wait_xcnt 0x0
	v_dual_mov_b32 v10, 1.0 :: v_dual_mov_b32 v11, 0
.LBB101_128:                            ;   in Loop: Header=BB101_118 Depth=2
	s_wait_xcnt 0x1
	s_add_nc_u64 s[88:89], s[84:85], s[86:87]
	s_wait_xcnt 0x0
	s_add_nc_u64 s[96:97], s[82:83], s[86:87]
	s_clause 0x1
	global_store_b32 v3, v9, s[88:89]
	global_load_b32 v8, v3, s[96:97]
	s_add_nc_u64 s[100:101], s[68:69], s[86:87]
	s_add_nc_u64 s[98:99], s[70:71], s[86:87]
	global_load_b32 v9, v3, s[100:101]
	v_cmp_ne_u32_e32 vcc_lo, 1, v14
	s_add_nc_u64 s[88:89], s[78:79], s[86:87]
	s_add_nc_u64 s[90:91], s[66:67], s[86:87]
	s_and_b32 vcc_lo, exec_lo, vcc_lo
	s_wait_loadcnt 0x1
	v_mul_f32_e32 v12, v11, v8
	s_wait_loadcnt 0x0
	s_delay_alu instid0(VALU_DEP_1)
	v_fmac_f32_e32 v12, v10, v9
	s_clause 0x1
	global_store_b32 v3, v12, s[96:97]
	global_load_b32 v12, v3, s[98:99]
	s_wait_loadcnt 0x0
	v_mul_f32_e32 v13, v11, v12
	global_store_b32 v3, v13, s[98:99]
	s_cbranch_vccnz .LBB101_130
; %bb.129:                              ;   in Loop: Header=BB101_118 Depth=2
	s_clause 0x1
	global_store_b32 v3, v11, s[88:89]
	global_store_b32 v3, v10, s[90:91]
.LBB101_130:                            ;   in Loop: Header=BB101_118 Depth=2
	s_and_not1_b32 vcc_lo, exec_lo, s47
	s_add_nc_u64 s[92:93], s[76:77], s[86:87]
	s_add_nc_u64 s[94:95], s[74:75], s[86:87]
	s_cbranch_vccnz .LBB101_132
; %bb.131:                              ;   in Loop: Header=BB101_118 Depth=2
	s_clause 0x1
	global_store_b32 v3, v11, s[92:93]
	global_store_b32 v3, v10, s[94:95]
.LBB101_132:                            ;   in Loop: Header=BB101_118 Depth=2
	s_wait_xcnt 0x0
	v_xor_b32_e32 v13, 0x80000000, v10
	s_delay_alu instid0(VALU_DEP_1) | instskip(NEXT) | instid1(VALU_DEP_1)
	v_dual_mul_f32 v10, v10, v8 :: v_dual_mul_f32 v8, v12, v13
	v_xor_b32_e32 v10, 0x80000000, v10
	s_delay_alu instid0(VALU_DEP_2) | instskip(NEXT) | instid1(VALU_DEP_2)
	v_cmp_eq_f32_e32 vcc_lo, 0, v8
	v_fmac_f32_e32 v10, v11, v9
	s_cbranch_vccnz .LBB101_136
; %bb.133:                              ;   in Loop: Header=BB101_118 Depth=2
	s_delay_alu instid0(VALU_DEP_1)
	v_cmp_neq_f32_e32 vcc_lo, 0, v10
	s_cbranch_vccz .LBB101_137
; %bb.134:                              ;   in Loop: Header=BB101_118 Depth=2
	v_and_b32_e32 v9, 0x7fffffff, v8
	v_and_b32_e32 v11, 0x7fffffff, v10
	s_delay_alu instid0(VALU_DEP_1)
	v_cmp_ngt_f32_e32 vcc_lo, v9, v11
	s_cbranch_vccz .LBB101_138
; %bb.135:                              ;   in Loop: Header=BB101_118 Depth=2
	v_div_scale_f32 v9, null, v10, v10, -v8
	v_div_scale_f32 v13, vcc_lo, -v8, v10, -v8
	s_delay_alu instid0(VALU_DEP_2)
	v_rcp_f32_e32 v11, v9
	v_nop
	v_xor_b32_e32 v9, 0x80000000, v9
	s_delay_alu instid0(TRANS32_DEP_1) | instid1(VALU_DEP_1)
	v_fma_f32 v12, v9, v11, 1.0
	s_delay_alu instid0(VALU_DEP_1) | instskip(NEXT) | instid1(VALU_DEP_1)
	v_fmac_f32_e32 v11, v12, v11
	v_mul_f32_e32 v12, v13, v11
	s_delay_alu instid0(VALU_DEP_1) | instskip(NEXT) | instid1(VALU_DEP_1)
	v_fma_f32 v16, v9, v12, v13
	v_fmac_f32_e32 v12, v16, v11
	s_delay_alu instid0(VALU_DEP_1) | instskip(NEXT) | instid1(VALU_DEP_1)
	v_fmac_f32_e32 v13, v9, v12
	v_div_fmas_f32 v9, v13, v11, v12
	s_delay_alu instid0(VALU_DEP_1) | instskip(NEXT) | instid1(VALU_DEP_1)
	v_div_fixup_f32 v9, v9, v10, -v8
	v_readfirstlane_b32 s0, v9
	s_fmaak_f32 s0, s0, s0, 0x3f800000
	s_delay_alu instid0(SALU_CYCLE_3) | instskip(SKIP_1) | instid1(SALU_CYCLE_2)
	s_mul_f32 s14, s0, 0x4f800000
	s_cmp_lt_f32 s0, 0xf800000
	s_cselect_b32 s14, s14, s0
	s_delay_alu instid0(SALU_CYCLE_1) | instskip(SKIP_1) | instid1(TRANS32_DEP_1)
	v_s_sqrt_f32 s15, s14
	s_mov_b32 s49, s14
	s_add_co_i32 s48, s15, -1
	s_delay_alu instid0(SALU_CYCLE_1) | instskip(NEXT) | instid1(SALU_CYCLE_1)
	s_xor_b32 s59, s48, 0x80000000
	s_fmac_f32 s49, s59, s15
	s_mov_b32 s59, s14
	s_delay_alu instid0(SALU_CYCLE_2) | instskip(SKIP_2) | instid1(SALU_CYCLE_1)
	s_cmp_le_f32 s49, 0
	s_cselect_b32 s48, s48, s15
	s_add_co_i32 s49, s15, 1
	s_xor_b32 s63, s49, 0x80000000
	s_delay_alu instid0(SALU_CYCLE_1) | instskip(SKIP_1) | instid1(SALU_CYCLE_2)
	s_fmac_f32 s59, s63, s15
	v_cmp_class_f32_e64 s15, s14, 0x260
	s_cmp_gt_f32 s59, 0
	s_cselect_b32 s48, s49, s48
	s_cmp_lt_f32 s0, 0xf800000
	s_mul_f32 s0, s48, 0x37800000
	s_delay_alu instid0(SALU_CYCLE_3) | instskip(SKIP_2) | instid1(SALU_CYCLE_1)
	s_cselect_b32 s0, s0, s48
	s_and_b32 s15, s15, exec_lo
	s_cselect_b32 s0, s14, s0
	v_div_scale_f32 v11, null, s0, s0, 1.0
	s_delay_alu instid0(VALU_DEP_1)
	v_rcp_f32_e32 v12, v11
	v_nop
	v_xor_b32_e32 v11, 0x80000000, v11
	s_delay_alu instid0(TRANS32_DEP_1) | instid1(VALU_DEP_1)
	v_fma_f32 v13, v11, v12, 1.0
	s_delay_alu instid0(VALU_DEP_1) | instskip(SKIP_1) | instid1(VALU_DEP_1)
	v_fmac_f32_e32 v12, v13, v12
	v_div_scale_f32 v13, vcc_lo, 1.0, s0, 1.0
	v_mul_f32_e32 v16, v13, v12
	s_delay_alu instid0(VALU_DEP_1) | instskip(NEXT) | instid1(VALU_DEP_1)
	v_fma_f32 v17, v11, v16, v13
	v_fmac_f32_e32 v16, v17, v12
	s_delay_alu instid0(VALU_DEP_1) | instskip(NEXT) | instid1(VALU_DEP_1)
	v_fmac_f32_e32 v13, v11, v16
	v_div_fmas_f32 v11, v13, v12, v16
	s_delay_alu instid0(VALU_DEP_1) | instskip(NEXT) | instid1(VALU_DEP_1)
	v_div_fixup_f32 v12, v11, s0, 1.0
	v_mul_f32_e32 v13, v9, v12
	s_cbranch_execz .LBB101_139
	s_branch .LBB101_140
.LBB101_136:                            ;   in Loop: Header=BB101_118 Depth=2
	v_dual_mov_b32 v13, 0 :: v_dual_mov_b32 v12, 1.0
	s_branch .LBB101_142
.LBB101_137:                            ;   in Loop: Header=BB101_118 Depth=2
	v_xor_b32_e32 v10, 0x80000000, v8
                                        ; implicit-def: $vgpr12
	s_cbranch_execnz .LBB101_141
	s_branch .LBB101_142
.LBB101_138:                            ;   in Loop: Header=BB101_118 Depth=2
                                        ; implicit-def: $vgpr13
.LBB101_139:                            ;   in Loop: Header=BB101_118 Depth=2
	v_div_scale_f32 v9, null, v8, v8, -v10
	v_div_scale_f32 v13, vcc_lo, -v10, v8, -v10
	s_delay_alu instid0(VALU_DEP_2)
	v_rcp_f32_e32 v11, v9
	v_nop
	v_xor_b32_e32 v9, 0x80000000, v9
	s_delay_alu instid0(TRANS32_DEP_1) | instid1(VALU_DEP_1)
	v_fma_f32 v12, v9, v11, 1.0
	s_delay_alu instid0(VALU_DEP_1) | instskip(NEXT) | instid1(VALU_DEP_1)
	v_fmac_f32_e32 v11, v12, v11
	v_mul_f32_e32 v12, v13, v11
	s_delay_alu instid0(VALU_DEP_1) | instskip(NEXT) | instid1(VALU_DEP_1)
	v_fma_f32 v16, v9, v12, v13
	v_fmac_f32_e32 v12, v16, v11
	s_delay_alu instid0(VALU_DEP_1) | instskip(NEXT) | instid1(VALU_DEP_1)
	v_fmac_f32_e32 v13, v9, v12
	v_div_fmas_f32 v9, v13, v11, v12
	s_delay_alu instid0(VALU_DEP_1) | instskip(NEXT) | instid1(VALU_DEP_1)
	v_div_fixup_f32 v9, v9, v8, -v10
	v_readfirstlane_b32 s59, v9
	s_fmaak_f32 s59, s59, s59, 0x3f800000
	s_delay_alu instid0(SALU_CYCLE_3) | instskip(SKIP_1) | instid1(SALU_CYCLE_2)
	s_mul_f32 s63, s59, 0x4f800000
	s_cmp_lt_f32 s59, 0xf800000
	s_cselect_b32 s14, s63, s59
	s_delay_alu instid0(SALU_CYCLE_1) | instskip(SKIP_1) | instid1(TRANS32_DEP_1)
	v_s_sqrt_f32 s48, s14
	s_mov_b32 s63, s14
	s_add_co_i32 s49, s48, -1
	s_delay_alu instid0(SALU_CYCLE_1) | instskip(NEXT) | instid1(SALU_CYCLE_1)
	s_xor_b32 s15, s49, 0x80000000
	s_fmac_f32 s63, s15, s48
	s_delay_alu instid0(SALU_CYCLE_3) | instskip(SKIP_3) | instid1(SALU_CYCLE_1)
	s_cmp_le_f32 s63, 0
	s_mov_b32 s63, s14
	s_cselect_b32 s15, s49, s48
	s_add_co_i32 s49, s48, 1
	s_xor_b32 s0, s49, 0x80000000
	s_delay_alu instid0(SALU_CYCLE_1) | instskip(SKIP_1) | instid1(SALU_CYCLE_2)
	s_fmac_f32 s63, s0, s48
	v_cmp_class_f32_e64 s0, s14, 0x260
	s_cmp_gt_f32 s63, 0
	s_cselect_b32 s15, s49, s15
	s_cmp_lt_f32 s59, 0xf800000
	s_mul_f32 s48, s15, 0x37800000
	s_delay_alu instid0(SALU_CYCLE_3) | instskip(SKIP_2) | instid1(SALU_CYCLE_1)
	s_cselect_b32 s15, s48, s15
	s_and_b32 s0, s0, exec_lo
	s_cselect_b32 s0, s14, s15
	v_div_scale_f32 v11, null, s0, s0, 1.0
	s_delay_alu instid0(VALU_DEP_1)
	v_rcp_f32_e32 v12, v11
	v_nop
	v_xor_b32_e32 v11, 0x80000000, v11
	s_delay_alu instid0(TRANS32_DEP_1) | instid1(VALU_DEP_1)
	v_fma_f32 v13, v11, v12, 1.0
	s_delay_alu instid0(VALU_DEP_1) | instskip(SKIP_1) | instid1(VALU_DEP_1)
	v_fmac_f32_e32 v12, v13, v12
	v_div_scale_f32 v13, vcc_lo, 1.0, s0, 1.0
	v_mul_f32_e32 v16, v13, v12
	s_delay_alu instid0(VALU_DEP_1) | instskip(NEXT) | instid1(VALU_DEP_1)
	v_fma_f32 v17, v11, v16, v13
	v_fmac_f32_e32 v16, v17, v12
	s_delay_alu instid0(VALU_DEP_1) | instskip(NEXT) | instid1(VALU_DEP_1)
	v_fmac_f32_e32 v13, v11, v16
	v_div_fmas_f32 v11, v13, v12, v16
	s_delay_alu instid0(VALU_DEP_1) | instskip(NEXT) | instid1(VALU_DEP_1)
	v_div_fixup_f32 v13, v11, s0, 1.0
	v_mul_f32_e32 v12, v9, v13
.LBB101_140:                            ;   in Loop: Header=BB101_118 Depth=2
	v_mov_b32_e32 v11, v8
	s_delay_alu instid0(VALU_DEP_1) | instskip(NEXT) | instid1(VALU_DEP_1)
	v_pk_mul_f32 v[10:11], v[10:11], v[12:13]
	v_sub_f32_e32 v10, v10, v11
	s_branch .LBB101_142
.LBB101_141:                            ;   in Loop: Header=BB101_118 Depth=2
	v_dual_mov_b32 v13, 1.0 :: v_dual_mov_b32 v12, 0
.LBB101_142:                            ;   in Loop: Header=BB101_118 Depth=2
	s_clause 0x2
	global_store_b32 v3, v10, s[100:101]
	global_load_b32 v9, v3, s[98:99]
	global_load_b32 v10, v3, s[96:97]
	s_cmp_ge_i32 s17, s7
	s_wait_loadcnt 0x1
	v_mul_f32_e32 v11, v12, v9
	s_wait_loadcnt 0x0
	s_delay_alu instid0(VALU_DEP_1)
	v_fmac_f32_e32 v11, v13, v10
	global_store_b32 v3, v11, s[98:99]
	s_cbranch_scc0 .LBB101_145
; %bb.143:                              ;   in Loop: Header=BB101_118 Depth=2
	v_cmp_ne_u32_e32 vcc_lo, 1, v15
	s_cbranch_vccz .LBB101_146
.LBB101_144:                            ;   in Loop: Header=BB101_118 Depth=2
	s_and_not1_b32 vcc_lo, exec_lo, s16
	s_cbranch_vccnz .LBB101_117
	s_branch .LBB101_147
.LBB101_145:                            ;   in Loop: Header=BB101_118 Depth=2
	s_wait_xcnt 0x1
	s_add_nc_u64 s[96:97], s[80:81], s[86:87]
	s_wait_xcnt 0x0
	v_xor_b32_e32 v11, 0x80000000, v13
	global_load_b32 v8, v3, s[96:97]
	s_wait_loadcnt 0x0
	v_mul_f32_e32 v16, v12, v8
	v_mul_f32_e32 v8, v8, v11
	global_store_b32 v3, v16, s[96:97]
	v_cmp_ne_u32_e32 vcc_lo, 1, v15
	s_cbranch_vccnz .LBB101_144
.LBB101_146:                            ;   in Loop: Header=BB101_118 Depth=2
	s_clause 0x1
	global_store_b32 v3, v12, s[88:89]
	global_store_b32 v3, v13, s[90:91]
	s_and_not1_b32 vcc_lo, exec_lo, s16
	s_cbranch_vccnz .LBB101_117
.LBB101_147:                            ;   in Loop: Header=BB101_118 Depth=2
	s_clause 0x1
	global_store_b32 v3, v12, s[92:93]
	global_store_b32 v3, v13, s[94:95]
	s_branch .LBB101_117
.LBB101_148:                            ;   in Loop: Header=BB101_11 Depth=1
	s_and_b32 s16, s46, exec_lo
	s_cselect_b32 s7, s7, 0
	s_delay_alu instid0(SALU_CYCLE_1)
	v_mov_b32_e32 v8, s7
	global_store_b32 v8, v9, s[64:65] scale_offset
.LBB101_149:                            ;   in Loop: Header=BB101_11 Depth=1
	s_wait_xcnt 0x0
	s_or_b32 exec_lo, exec_lo, s53
	s_delay_alu instid0(SALU_CYCLE_1)
	s_and_not1_b32 vcc_lo, exec_lo, s103
	s_wait_storecnt 0x0
	s_barrier_signal -1
	s_barrier_wait -1
	s_cbranch_vccz .LBB101_152
; %bb.150:                              ;   in Loop: Header=BB101_11 Depth=1
	s_and_not1_b32 vcc_lo, exec_lo, s104
	s_cbranch_vccz .LBB101_158
.LBB101_151:                            ;   in Loop: Header=BB101_11 Depth=1
	s_and_not1_b32 vcc_lo, exec_lo, vcc_hi
	s_cbranch_vccnz .LBB101_10
	s_branch .LBB101_164
.LBB101_152:                            ;   in Loop: Header=BB101_11 Depth=1
	s_mov_b32 s7, exec_lo
	v_readlane_b32 s0, v32, 2
	s_and_b32 s0, s7, s0
	s_delay_alu instid0(SALU_CYCLE_1)
	s_mov_b32 exec_lo, s0
	s_cbranch_execz .LBB101_157
; %bb.153:                              ;   in Loop: Header=BB101_11 Depth=1
	s_load_b32 s0, s[38:39], 0xc
	s_lshl_b64 s[46:47], s[54:55], 3
	s_add_co_i32 s14, s50, -1
	s_cmp_eq_u32 s58, 0
	s_add_nc_u64 s[64:65], s[30:31], s[46:47]
	s_cselect_b32 s66, s50, 0
	s_cselect_b32 s74, s14, 0
	s_lshl_b32 s14, s58, 1
	s_ashr_i32 s53, s52, 31
	s_ashr_i32 s59, s58, 31
	s_add_co_i32 s76, s14, -2
	s_lshl_b64 s[78:79], s[52:53], 2
	s_ashr_i32 s75, s74, 31
	s_lshl_b64 s[46:47], s[58:59], 1
	s_ashr_i32 s67, s66, 31
	s_ashr_i32 s77, s76, 31
	s_sub_nc_u64 s[78:79], s[78:79], s[56:57]
	s_lshl_b64 s[80:81], s[74:75], 2
	s_lshl_b64 s[82:83], s[60:61], 2
	v_dual_add_nc_u32 v8, s66, v1 :: v_dual_mov_b32 v10, v1
	v_mov_b32_e32 v22, v0
	s_add_nc_u64 s[68:69], s[46:47], s[66:67]
	s_lshl_b64 s[46:47], s[76:77], 3
	s_wait_kmcnt 0x0
	s_and_b32 s17, s0, 0xffff
	s_add_nc_u64 s[74:75], s[78:79], 20
	s_add_nc_u64 s[78:79], s[80:81], s[82:83]
	s_lshl_b64 s[80:81], s[76:77], 2
	s_mov_b32 s16, 0
	s_or_b64 s[70:71], s[76:77], 1
	s_or_b64 s[72:73], s[46:47], 8
	s_mul_i32 s46, s11, s17
	s_add_nc_u64 s[76:77], s[26:27], s[78:79]
	s_or_b64 s[78:79], s[80:81], 4
.LBB101_154:                            ;   Parent Loop BB101_11 Depth=1
                                        ; =>  This Loop Header: Depth=2
                                        ;       Child Loop BB101_155 Depth 3
	v_mad_u32 v9, v22, s11, s66
	v_ashrrev_i32_e32 v11, 31, v10
	s_mov_b32 s47, s50
	s_mov_b64 s[80:81], s[76:77]
	global_load_b64 v[12:13], v9, s[64:65] scale_offset
	s_wait_xcnt 0x0
	v_ashrrev_i32_e32 v9, 31, v8
	v_add_nc_u64_e32 v[14:15], s[68:69], v[10:11]
	s_delay_alu instid0(VALU_DEP_2)
	v_lshl_add_u64 v[16:17], v[8:9], 3, s[64:65]
.LBB101_155:                            ;   Parent Loop BB101_11 Depth=1
                                        ;     Parent Loop BB101_154 Depth=2
                                        ; =>    This Inner Loop Header: Depth=3
	s_delay_alu instid0(VALU_DEP_2)
	v_lshl_add_u64 v[18:19], v[14:15], 3, s[64:65]
	s_add_nc_u64 s[82:83], s[80:81], s[74:75]
	v_add_nc_u64_e32 v[14:15], s[70:71], v[14:15]
	s_clause 0x1
	global_load_b32 v24, v3, s[80:81] offset:16
	global_load_b32 v26, v3, s[82:83]
	global_load_b64 v[28:29], v[18:19], off offset:-8
	s_add_co_i32 s47, s47, -1
	s_wait_xcnt 0x2
	s_add_nc_u64 s[80:81], s[80:81], s[78:79]
	s_cmp_eq_u32 s47, 0
	s_wait_loadcnt 0x0
	v_pk_mul_f32 v[30:31], v[28:29], v[26:27] op_sel_hi:[1,0]
	s_delay_alu instid0(VALU_DEP_1)
	v_pk_fma_f32 v[30:31], v[12:13], v[24:25], v[30:31] op_sel_hi:[1,0,1] neg_lo:[0,0,1] neg_hi:[0,0,1]
	v_pk_mul_f32 v[12:13], v[12:13], v[26:27] op_sel_hi:[1,0]
	global_store_b64 v[16:17], v[30:31], off
	s_wait_xcnt 0x0
	v_add_nc_u64_e32 v[16:17], s[72:73], v[16:17]
	v_pk_fma_f32 v[12:13], v[28:29], v[24:25], v[12:13] op_sel_hi:[1,0,1]
	s_cbranch_scc0 .LBB101_155
; %bb.156:                              ;   in Loop: Header=BB101_154 Depth=2
	v_dual_add_nc_u32 v22, s17, v22 :: v_dual_add_nc_u32 v8, s46, v8
	v_add_nc_u32_e32 v10, s46, v10
	global_store_b64 v[18:19], v[12:13], off offset:-8
	v_cmp_le_i32_e32 vcc_lo, s21, v22
	s_or_b32 s16, vcc_lo, s16
	s_wait_xcnt 0x0
	s_and_not1_b32 exec_lo, exec_lo, s16
	s_cbranch_execnz .LBB101_154
.LBB101_157:                            ;   in Loop: Header=BB101_11 Depth=1
	s_or_b32 exec_lo, exec_lo, s7
	s_delay_alu instid0(SALU_CYCLE_1)
	s_and_not1_b32 vcc_lo, exec_lo, s104
	s_cbranch_vccnz .LBB101_151
.LBB101_158:                            ;   in Loop: Header=BB101_11 Depth=1
	s_and_saveexec_b32 s7, s1
	s_cbranch_execz .LBB101_163
; %bb.159:                              ;   in Loop: Header=BB101_11 Depth=1
	s_mul_i32 s46, s54, s9
	s_load_b32 s0, s[38:39], 0xc
	s_ashr_i32 s47, s46, 31
	s_add_co_i32 s14, s50, -1
	s_lshl_b64 s[46:47], s[46:47], 3
	s_cmp_eq_u32 s58, 0
	s_add_nc_u64 s[64:65], s[28:29], s[46:47]
	s_cselect_b32 s15, s50, 0
	s_cselect_b32 s14, s14, 0
	s_lshl_b32 s48, s58, 1
	s_add_co_i32 s70, s14, s62
	s_add_co_i32 s14, s15, s48
	s_ashr_i32 s53, s52, 31
	s_add_co_i32 s14, s14, -1
	s_ashr_i32 s71, s70, 31
	v_mad_u32 v12, s9, s14, v0
	s_add_co_i32 s72, s48, -2
	s_mul_i32 s17, s15, s9
	s_lshl_b64 s[68:69], s[60:61], 2
	s_lshl_b64 s[46:47], s[52:53], 2
	s_lshl_b64 s[70:71], s[70:71], 2
	s_ashr_i32 s73, s72, 31
	v_dual_mov_b32 v14, v0 :: v_dual_add_nc_u32 v13, s17, v0
	s_sub_nc_u64 s[46:47], s[46:47], s[56:57]
	s_add_nc_u64 s[68:69], s[68:69], s[70:71]
	s_lshl_b64 s[70:71], s[72:73], 2
	s_mov_b32 s16, 0
	s_add_nc_u64 s[66:67], s[46:47], 20
	s_wait_kmcnt 0x0
	s_and_b32 s46, s0, 0xffff
	s_add_nc_u64 s[68:69], s[26:27], s[68:69]
	s_or_b64 s[70:71], s[70:71], 4
	s_mul_i32 s47, s9, s51
.LBB101_160:                            ;   Parent Loop BB101_11 Depth=1
                                        ; =>  This Loop Header: Depth=2
                                        ;       Child Loop BB101_161 Depth 3
	v_add_nc_u32_e32 v8, s17, v14
	s_mov_b32 s51, 0
	s_mov_b64 s[72:73], s[68:69]
	s_mov_b32 s53, s50
	global_load_b64 v[8:9], v8, s[64:65] scale_offset
.LBB101_161:                            ;   Parent Loop BB101_11 Depth=1
                                        ;     Parent Loop BB101_160 Depth=2
                                        ; =>    This Inner Loop Header: Depth=3
	s_wait_xcnt 0x0
	v_dual_add_nc_u32 v10, s51, v12 :: v_dual_add_nc_u32 v11, s51, v13
	s_add_nc_u64 s[74:75], s[72:73], s[66:67]
	s_clause 0x1
	global_load_b32 v16, v3, s[72:73] offset:16
	global_load_b32 v18, v3, s[74:75]
	global_load_b64 v[22:23], v10, s[64:65] scale_offset
	s_add_co_i32 s53, s53, -1
	s_add_co_i32 s51, s51, s47
	s_cmp_eq_u32 s53, 0
	s_wait_xcnt 0x2
	s_add_nc_u64 s[72:73], s[72:73], s[70:71]
	s_wait_loadcnt 0x0
	v_pk_mul_f32 v[24:25], v[22:23], v[18:19] op_sel_hi:[1,0]
	v_pk_mul_f32 v[18:19], v[8:9], v[18:19] op_sel_hi:[1,0]
	s_delay_alu instid0(VALU_DEP_2) | instskip(NEXT) | instid1(VALU_DEP_2)
	v_pk_fma_f32 v[24:25], v[8:9], v[16:17], v[24:25] op_sel_hi:[1,0,1] neg_lo:[0,0,1] neg_hi:[0,0,1]
	v_pk_fma_f32 v[8:9], v[22:23], v[16:17], v[18:19] op_sel_hi:[1,0,1]
	global_store_b64 v11, v[24:25], s[64:65] scale_offset
	s_cbranch_scc0 .LBB101_161
; %bb.162:                              ;   in Loop: Header=BB101_160 Depth=2
	v_dual_add_nc_u32 v14, s46, v14 :: v_dual_add_nc_u32 v13, s46, v13
	s_wait_xcnt 0x0
	v_dual_ashrrev_i32 v11, 31, v10 :: v_dual_add_nc_u32 v12, s46, v12
	s_delay_alu instid0(VALU_DEP_2) | instskip(NEXT) | instid1(VALU_DEP_2)
	v_cmp_le_i32_e32 vcc_lo, s22, v14
	v_lshl_add_u64 v[10:11], v[10:11], 3, s[64:65]
	s_or_b32 s16, vcc_lo, s16
	global_store_b64 v[10:11], v[8:9], off
	s_wait_xcnt 0x0
	s_and_not1_b32 exec_lo, exec_lo, s16
	s_cbranch_execnz .LBB101_160
.LBB101_163:                            ;   in Loop: Header=BB101_11 Depth=1
	s_or_b32 exec_lo, exec_lo, s7
	s_delay_alu instid0(SALU_CYCLE_1)
	s_and_not1_b32 vcc_lo, exec_lo, vcc_hi
	s_cbranch_vccnz .LBB101_10
.LBB101_164:                            ;   in Loop: Header=BB101_11 Depth=1
	s_and_saveexec_b32 s7, s6
	s_cbranch_execz .LBB101_9
; %bb.165:                              ;   in Loop: Header=BB101_11 Depth=1
	s_load_b32 s0, s[38:39], 0xc
	s_lshl_b64 s[46:47], s[54:55], 3
	s_add_co_i32 s14, s50, -1
	s_cmp_eq_u32 s58, 0
	s_add_nc_u64 s[54:55], s[36:37], s[46:47]
	s_cselect_b32 s14, s14, 0
	s_cselect_b32 s64, s50, 0
	s_ashr_i32 s53, s52, 31
	s_lshl_b64 s[46:47], s[60:61], 2
	s_add_co_i32 s60, s14, s62
	s_lshl_b32 s15, s58, 1
	s_lshl_b64 s[52:53], s[52:53], 2
	s_ashr_i32 s61, s60, 31
	s_add_co_i32 s62, s15, -2
	s_sub_nc_u64 s[52:53], s[52:53], s[56:57]
	s_lshl_b64 s[56:57], s[60:61], 2
	s_ashr_i32 s59, s58, 31
	s_add_nc_u64 s[46:47], s[46:47], s[56:57]
	s_ashr_i32 s63, s62, 31
	v_dual_add_nc_u32 v8, s64, v20 :: v_dual_mov_b32 v10, v20
	v_mov_b32_e32 v22, v0
	s_wait_kmcnt 0x0
	s_and_b32 s17, s0, 0xffff
	s_add_nc_u64 s[56:57], s[26:27], s[46:47]
	s_lshl_b64 s[46:47], s[62:63], 2
	s_lshl_b64 s[60:61], s[58:59], 1
	s_ashr_i32 s65, s64, 31
	s_lshl_b64 s[66:67], s[62:63], 3
	s_mov_b32 s16, 0
	s_add_nc_u64 s[52:53], s[52:53], 20
	s_or_b64 s[58:59], s[46:47], 4
	s_add_nc_u64 s[60:61], s[60:61], s[64:65]
	s_mul_i32 s46, s35, s17
	s_or_b64 s[62:63], s[62:63], 1
	s_or_b64 s[66:67], s[66:67], 8
.LBB101_166:                            ;   Parent Loop BB101_11 Depth=1
                                        ; =>  This Loop Header: Depth=2
                                        ;       Child Loop BB101_167 Depth 3
	v_mad_u32 v9, v22, s35, s64
	v_ashrrev_i32_e32 v11, 31, v10
	s_mov_b64 s[68:69], s[56:57]
	s_mov_b32 s47, s50
	global_load_b64 v[12:13], v9, s[54:55] scale_offset
	s_wait_xcnt 0x0
	v_ashrrev_i32_e32 v9, 31, v8
	v_add_nc_u64_e32 v[14:15], s[60:61], v[10:11]
	s_delay_alu instid0(VALU_DEP_2)
	v_lshl_add_u64 v[16:17], v[8:9], 3, s[54:55]
.LBB101_167:                            ;   Parent Loop BB101_11 Depth=1
                                        ;     Parent Loop BB101_166 Depth=2
                                        ; =>    This Inner Loop Header: Depth=3
	s_delay_alu instid0(VALU_DEP_2)
	v_lshl_add_u64 v[18:19], v[14:15], 3, s[54:55]
	s_add_nc_u64 s[70:71], s[68:69], s[52:53]
	v_add_nc_u64_e32 v[14:15], s[62:63], v[14:15]
	s_clause 0x1
	global_load_b32 v24, v3, s[68:69] offset:16
	global_load_b32 v26, v3, s[70:71]
	global_load_b64 v[28:29], v[18:19], off offset:-8
	s_add_co_i32 s47, s47, -1
	s_wait_xcnt 0x2
	s_add_nc_u64 s[68:69], s[68:69], s[58:59]
	s_cmp_eq_u32 s47, 0
	s_wait_loadcnt 0x0
	v_pk_mul_f32 v[30:31], v[28:29], v[26:27] op_sel_hi:[1,0]
	s_delay_alu instid0(VALU_DEP_1)
	v_pk_fma_f32 v[30:31], v[12:13], v[24:25], v[30:31] op_sel_hi:[1,0,1] neg_lo:[0,0,1] neg_hi:[0,0,1]
	v_pk_mul_f32 v[12:13], v[12:13], v[26:27] op_sel_hi:[1,0]
	global_store_b64 v[16:17], v[30:31], off
	s_wait_xcnt 0x0
	v_add_nc_u64_e32 v[16:17], s[66:67], v[16:17]
	v_pk_fma_f32 v[12:13], v[28:29], v[24:25], v[12:13] op_sel_hi:[1,0,1]
	s_cbranch_scc0 .LBB101_167
; %bb.168:                              ;   in Loop: Header=BB101_166 Depth=2
	v_dual_add_nc_u32 v22, s17, v22 :: v_dual_add_nc_u32 v8, s46, v8
	v_add_nc_u32_e32 v10, s46, v10
	global_store_b64 v[18:19], v[12:13], off offset:-8
	v_cmp_le_i32_e32 vcc_lo, s23, v22
	s_or_b32 s16, vcc_lo, s16
	s_wait_xcnt 0x0
	s_and_not1_b32 exec_lo, exec_lo, s16
	s_cbranch_execnz .LBB101_166
	s_branch .LBB101_9
.LBB101_169:                            ;   in Loop: Header=BB101_11 Depth=1
	s_wait_xcnt 0x0
	v_mov_b32_e32 v13, s51
	v_xor_b32_e32 v15, 0x80000000, v11
	global_load_b32 v8, v13, s[76:77] offset:-4 scale_offset
	s_wait_loadcnt 0x0
	v_dual_mul_f32 v16, v10, v8 :: v_dual_mul_f32 v8, v8, v15
	global_store_b32 v13, v16, s[76:77] offset:-4 scale_offset
	s_and_b32 s7, s20, s7
	s_delay_alu instid0(SALU_CYCLE_1)
	v_cndmask_b32_e64 v15, 0, 1, s7
	s_and_not1_b32 vcc_lo, exec_lo, s7
	s_cbranch_vccnz .LBB101_113
.LBB101_170:                            ;   in Loop: Header=BB101_11 Depth=1
	s_wait_xcnt 0x0
	v_mov_b32_e32 v13, s68
	s_clause 0x1
	global_store_b32 v3, v10, s[82:83] offset:12
	global_store_b32 v13, v11, s[82:83] offset:12 scale_offset
	s_xor_b32 s7, s46, -1
	s_delay_alu instid0(SALU_CYCLE_1) | instskip(NEXT) | instid1(SALU_CYCLE_1)
	s_or_b32 s17, s102, s7
	s_and_b32 vcc_lo, exec_lo, s17
	s_cbranch_vccz .LBB101_114
	s_branch .LBB101_115
.LBB101_171:
	s_endpgm
	.section	.rodata,"a",@progbits
	.p2align	6, 0x0
	.amdhsa_kernel _ZN9rocsolver6v33100L13bdsqr_computeILi256E19rocblas_complex_numIfEfPS3_S4_S4_EEviiiiPT1_lS6_lT2_iilT3_iilT4_iiliS5_S5_S5_S5_PiS6_ilSA_
		.amdhsa_group_segment_fixed_size 1040
		.amdhsa_private_segment_fixed_size 0
		.amdhsa_kernarg_size 440
		.amdhsa_user_sgpr_count 2
		.amdhsa_user_sgpr_dispatch_ptr 0
		.amdhsa_user_sgpr_queue_ptr 0
		.amdhsa_user_sgpr_kernarg_segment_ptr 1
		.amdhsa_user_sgpr_dispatch_id 0
		.amdhsa_user_sgpr_kernarg_preload_length 0
		.amdhsa_user_sgpr_kernarg_preload_offset 0
		.amdhsa_user_sgpr_private_segment_size 0
		.amdhsa_wavefront_size32 1
		.amdhsa_uses_dynamic_stack 0
		.amdhsa_enable_private_segment 0
		.amdhsa_system_sgpr_workgroup_id_x 1
		.amdhsa_system_sgpr_workgroup_id_y 1
		.amdhsa_system_sgpr_workgroup_id_z 1
		.amdhsa_system_sgpr_workgroup_info 0
		.amdhsa_system_vgpr_workitem_id 0
		.amdhsa_next_free_vgpr 33
		.amdhsa_next_free_sgpr 105
		.amdhsa_named_barrier_count 0
		.amdhsa_reserve_vcc 1
		.amdhsa_float_round_mode_32 0
		.amdhsa_float_round_mode_16_64 0
		.amdhsa_float_denorm_mode_32 3
		.amdhsa_float_denorm_mode_16_64 3
		.amdhsa_fp16_overflow 0
		.amdhsa_memory_ordered 1
		.amdhsa_forward_progress 1
		.amdhsa_inst_pref_size 74
		.amdhsa_round_robin_scheduling 0
		.amdhsa_exception_fp_ieee_invalid_op 0
		.amdhsa_exception_fp_denorm_src 0
		.amdhsa_exception_fp_ieee_div_zero 0
		.amdhsa_exception_fp_ieee_overflow 0
		.amdhsa_exception_fp_ieee_underflow 0
		.amdhsa_exception_fp_ieee_inexact 0
		.amdhsa_exception_int_div_zero 0
	.end_amdhsa_kernel
	.section	.text._ZN9rocsolver6v33100L13bdsqr_computeILi256E19rocblas_complex_numIfEfPS3_S4_S4_EEviiiiPT1_lS6_lT2_iilT3_iilT4_iiliS5_S5_S5_S5_PiS6_ilSA_,"axG",@progbits,_ZN9rocsolver6v33100L13bdsqr_computeILi256E19rocblas_complex_numIfEfPS3_S4_S4_EEviiiiPT1_lS6_lT2_iilT3_iilT4_iiliS5_S5_S5_S5_PiS6_ilSA_,comdat
.Lfunc_end101:
	.size	_ZN9rocsolver6v33100L13bdsqr_computeILi256E19rocblas_complex_numIfEfPS3_S4_S4_EEviiiiPT1_lS6_lT2_iilT3_iilT4_iiliS5_S5_S5_S5_PiS6_ilSA_, .Lfunc_end101-_ZN9rocsolver6v33100L13bdsqr_computeILi256E19rocblas_complex_numIfEfPS3_S4_S4_EEviiiiPT1_lS6_lT2_iilT3_iilT4_iiliS5_S5_S5_S5_PiS6_ilSA_
                                        ; -- End function
	.set _ZN9rocsolver6v33100L13bdsqr_computeILi256E19rocblas_complex_numIfEfPS3_S4_S4_EEviiiiPT1_lS6_lT2_iilT3_iilT4_iiliS5_S5_S5_S5_PiS6_ilSA_.num_vgpr, 33
	.set _ZN9rocsolver6v33100L13bdsqr_computeILi256E19rocblas_complex_numIfEfPS3_S4_S4_EEviiiiPT1_lS6_lT2_iilT3_iilT4_iiliS5_S5_S5_S5_PiS6_ilSA_.num_agpr, 0
	.set _ZN9rocsolver6v33100L13bdsqr_computeILi256E19rocblas_complex_numIfEfPS3_S4_S4_EEviiiiPT1_lS6_lT2_iilT3_iilT4_iiliS5_S5_S5_S5_PiS6_ilSA_.numbered_sgpr, 105
	.set _ZN9rocsolver6v33100L13bdsqr_computeILi256E19rocblas_complex_numIfEfPS3_S4_S4_EEviiiiPT1_lS6_lT2_iilT3_iilT4_iiliS5_S5_S5_S5_PiS6_ilSA_.num_named_barrier, 0
	.set _ZN9rocsolver6v33100L13bdsqr_computeILi256E19rocblas_complex_numIfEfPS3_S4_S4_EEviiiiPT1_lS6_lT2_iilT3_iilT4_iiliS5_S5_S5_S5_PiS6_ilSA_.private_seg_size, 0
	.set _ZN9rocsolver6v33100L13bdsqr_computeILi256E19rocblas_complex_numIfEfPS3_S4_S4_EEviiiiPT1_lS6_lT2_iilT3_iilT4_iiliS5_S5_S5_S5_PiS6_ilSA_.uses_vcc, 1
	.set _ZN9rocsolver6v33100L13bdsqr_computeILi256E19rocblas_complex_numIfEfPS3_S4_S4_EEviiiiPT1_lS6_lT2_iilT3_iilT4_iiliS5_S5_S5_S5_PiS6_ilSA_.uses_flat_scratch, 0
	.set _ZN9rocsolver6v33100L13bdsqr_computeILi256E19rocblas_complex_numIfEfPS3_S4_S4_EEviiiiPT1_lS6_lT2_iilT3_iilT4_iiliS5_S5_S5_S5_PiS6_ilSA_.has_dyn_sized_stack, 0
	.set _ZN9rocsolver6v33100L13bdsqr_computeILi256E19rocblas_complex_numIfEfPS3_S4_S4_EEviiiiPT1_lS6_lT2_iilT3_iilT4_iiliS5_S5_S5_S5_PiS6_ilSA_.has_recursion, 0
	.set _ZN9rocsolver6v33100L13bdsqr_computeILi256E19rocblas_complex_numIfEfPS3_S4_S4_EEviiiiPT1_lS6_lT2_iilT3_iilT4_iiliS5_S5_S5_S5_PiS6_ilSA_.has_indirect_call, 0
	.section	.AMDGPU.csdata,"",@progbits
; Kernel info:
; codeLenInByte = 9468
; TotalNumSgprs: 107
; NumVgprs: 33
; ScratchSize: 0
; MemoryBound: 0
; FloatMode: 240
; IeeeMode: 1
; LDSByteSize: 1040 bytes/workgroup (compile time only)
; SGPRBlocks: 0
; VGPRBlocks: 2
; NumSGPRsForWavesPerEU: 107
; NumVGPRsForWavesPerEU: 33
; NamedBarCnt: 0
; Occupancy: 16
; WaveLimiterHint : 1
; COMPUTE_PGM_RSRC2:SCRATCH_EN: 0
; COMPUTE_PGM_RSRC2:USER_SGPR: 2
; COMPUTE_PGM_RSRC2:TRAP_HANDLER: 0
; COMPUTE_PGM_RSRC2:TGID_X_EN: 1
; COMPUTE_PGM_RSRC2:TGID_Y_EN: 1
; COMPUTE_PGM_RSRC2:TGID_Z_EN: 1
; COMPUTE_PGM_RSRC2:TIDIG_COMP_CNT: 0
	.section	.text._ZN9rocsolver6v33100L12bdsqr_rotateI19rocblas_complex_numIfEfPS3_S4_S4_EEviiiiT1_iilT2_iilT3_iiliPiPT0_ilS8_,"axG",@progbits,_ZN9rocsolver6v33100L12bdsqr_rotateI19rocblas_complex_numIfEfPS3_S4_S4_EEviiiiT1_iilT2_iilT3_iiliPiPT0_ilS8_,comdat
	.globl	_ZN9rocsolver6v33100L12bdsqr_rotateI19rocblas_complex_numIfEfPS3_S4_S4_EEviiiiT1_iilT2_iilT3_iiliPiPT0_ilS8_ ; -- Begin function _ZN9rocsolver6v33100L12bdsqr_rotateI19rocblas_complex_numIfEfPS3_S4_S4_EEviiiiT1_iilT2_iilT3_iiliPiPT0_ilS8_
	.p2align	8
	.type	_ZN9rocsolver6v33100L12bdsqr_rotateI19rocblas_complex_numIfEfPS3_S4_S4_EEviiiiT1_iilT2_iilT3_iiliPiPT0_ilS8_,@function
_ZN9rocsolver6v33100L12bdsqr_rotateI19rocblas_complex_numIfEfPS3_S4_S4_EEviiiiT1_iilT2_iilT3_iiliPiPT0_ilS8_: ; @_ZN9rocsolver6v33100L12bdsqr_rotateI19rocblas_complex_numIfEfPS3_S4_S4_EEviiiiT1_iilT2_iilT3_iiliPiPT0_ilS8_
; %bb.0:
	s_load_b128 s[12:15], s[0:1], 0x78
	s_bfe_u32 s2, ttmp6, 0x40014
	s_lshr_b32 s3, ttmp7, 16
	s_add_co_i32 s2, s2, 1
	s_bfe_u32 s4, ttmp6, 0x40008
	s_mul_i32 s2, s3, s2
	s_getreg_b32 s26, hwreg(HW_REG_IB_STS2, 6, 4)
	s_add_co_i32 s4, s4, s2
	s_cmp_eq_u32 s26, 0
	s_mov_b32 s23, 0
	s_cselect_b32 s22, s3, s4
	s_wait_kmcnt 0x0
	s_load_b32 s2, s[14:15], s22 offset:0x8 scale_offset
	s_wait_kmcnt 0x0
	s_cmp_lg_u32 s2, 0
	s_cbranch_scc1 .LBB102_25
; %bb.1:
	s_load_b256 s[4:11], s[0:1], 0x10
	s_mov_b64 s[2:3], 0
	s_mov_b64 s[20:21], 0
	s_wait_kmcnt 0x0
	s_cmp_eq_u64 s[4:5], 0
	s_cbranch_scc1 .LBB102_3
; %bb.2:
	s_mul_u64 s[8:9], s[8:9], s[22:23]
	s_ashr_i32 s15, s6, 31
	s_lshl_b64 s[8:9], s[8:9], 3
	s_mov_b32 s14, s6
	s_add_nc_u64 s[4:5], s[4:5], s[8:9]
	s_lshl_b64 s[8:9], s[14:15], 3
	s_delay_alu instid0(SALU_CYCLE_1)
	s_add_nc_u64 s[20:21], s[4:5], s[8:9]
.LBB102_3:
	s_clause 0x1
	s_load_b64 s[4:5], s[0:1], 0x30
	s_load_b128 s[16:19], s[0:1], 0x38
	s_cmp_eq_u64 s[10:11], 0
	s_cbranch_scc1 .LBB102_5
; %bb.4:
	s_wait_kmcnt 0x0
	s_mul_u64 s[2:3], s[16:17], s[22:23]
	s_ashr_i32 s9, s4, 31
	s_lshl_b64 s[2:3], s[2:3], 3
	s_mov_b32 s8, s4
	s_add_nc_u64 s[2:3], s[10:11], s[2:3]
	s_lshl_b64 s[8:9], s[8:9], 3
	s_delay_alu instid0(SALU_CYCLE_1)
	s_add_nc_u64 s[2:3], s[2:3], s[8:9]
.LBB102_5:
	s_load_b64 s[24:25], s[0:1], 0x48
	s_wait_kmcnt 0x0
	s_cmp_eq_u64 s[18:19], 0
	s_mov_b64 s[16:17], 0
	s_cbranch_scc1 .LBB102_7
; %bb.6:
	s_load_b64 s[8:9], s[0:1], 0x50
	s_ashr_i32 s11, s24, 31
	s_mov_b32 s10, s24
	s_delay_alu instid0(SALU_CYCLE_1) | instskip(SKIP_2) | instid1(SALU_CYCLE_1)
	s_lshl_b64 s[10:11], s[10:11], 3
	s_wait_kmcnt 0x0
	s_mul_u64 s[8:9], s[8:9], s[22:23]
	s_lshl_b64 s[8:9], s[8:9], 3
	s_delay_alu instid0(SALU_CYCLE_1) | instskip(NEXT) | instid1(SALU_CYCLE_1)
	s_add_nc_u64 s[8:9], s[18:19], s[8:9]
	s_add_nc_u64 s[16:17], s[8:9], s[10:11]
.LBB102_7:
	s_load_b128 s[8:11], s[0:1], 0x60
	s_bfe_u32 s4, ttmp6, 0x40010
	s_and_b32 s6, ttmp7, 0xffff
	s_add_co_i32 s4, s4, 1
	s_bfe_u32 s14, ttmp6, 0x40004
	s_mul_i32 s4, s6, s4
	s_mul_u64 s[12:13], s[12:13], s[22:23]
	s_add_co_i32 s14, s14, s4
	s_cmp_eq_u32 s26, 0
	s_cselect_b32 s4, s6, s14
	s_lshl_b64 s[12:13], s[12:13], 2
	s_wait_kmcnt 0x0
	s_add_nc_u64 s[10:11], s[10:11], s[12:13]
	s_load_b32 s6, s[10:11], 0x8
	s_wait_kmcnt 0x0
	s_cvt_i32_f32 s30, s6
	s_delay_alu instid0(SALU_CYCLE_3)
	s_cmp_ge_i32 s4, s30
	s_cbranch_scc1 .LBB102_25
; %bb.8:
	s_clause 0x3
	s_load_b128 s[12:15], s[0:1], 0x0
	s_load_b32 s6, s[0:1], 0x94
	s_load_b32 s31, s[0:1], 0x58
	s_load_b32 s33, s[0:1], 0x70
	s_bfe_u32 s18, ttmp6, 0x4000c
	s_and_b32 s19, ttmp6, 15
	s_add_co_i32 s18, s18, 1
	s_wait_xcnt 0x0
	s_add_nc_u64 s[0:1], s[0:1], 0x88
	v_mov_b32_e32 v9, 0
	s_load_b32 s34, s[0:1], 0x4
	s_wait_kmcnt 0x0
	s_mul_i32 s12, s22, s12
	s_mul_i32 s22, ttmp9, s18
	s_lshl_b32 s18, s12, 1
	s_add_co_i32 s12, s19, s22
	s_ashr_i32 s19, s18, 31
	s_and_b32 s6, 0xffff, s6
	s_lshl_b64 s[18:19], s[18:19], 2
	s_cmp_eq_u32 s26, 0
	s_cselect_b32 s12, ttmp9, s12
	s_cmp_eq_u32 s13, 0
	v_mad_u32 v6, s12, s6, v0
	s_cselect_b32 s35, -1, 0
	s_cmp_lg_u64 s[20:21], 0
	s_cselect_b32 s1, -1, 0
	s_delay_alu instid0(VALU_DEP_1)
	v_cmp_gt_i32_e32 vcc_lo, s13, v6
	v_cmp_gt_i32_e64 s0, s14, v6
	v_mul_lo_u32 v7, v6, s7
	v_mul_lo_u32 v8, v6, s25
	s_and_b32 s36, vcc_lo, s1
	s_cmp_lg_u64 s[2:3], 0
	v_cmp_gt_i32_e32 vcc_lo, s15, v6
	s_cselect_b32 s1, -1, 0
	s_delay_alu instid0(SALU_CYCLE_1) | instskip(SKIP_3) | instid1(SALU_CYCLE_1)
	s_and_b32 s37, s0, s1
	s_cmp_lg_u64 s[16:17], 0
	s_add_nc_u64 s[0:1], s[8:9], s[18:19]
	s_cselect_b32 s6, -1, 0
	s_and_b32 s38, vcc_lo, s6
	s_branch .LBB102_12
.LBB102_9:                              ;   in Loop: Header=BB102_12 Depth=1
	v_sub_nc_u64_e64 v[2:3], v[4:5], s[22:23]
	s_delay_alu instid0(VALU_DEP_1)
	v_add_nc_u64_e32 v[2:3], s[12:13], v[2:3]
	global_store_b64 v[2:3], v[0:1], off
.LBB102_10:                             ;   in Loop: Header=BB102_12 Depth=1
	s_wait_xcnt 0x0
	s_or_b32 exec_lo, exec_lo, s9
.LBB102_11:                             ;   in Loop: Header=BB102_12 Depth=1
	s_add_co_i32 s4, s34, s4
	s_delay_alu instid0(SALU_CYCLE_1)
	s_cmp_lt_i32 s4, s30
	s_cbranch_scc0 .LBB102_25
.LBB102_12:                             ; =>This Loop Header: Depth=1
                                        ;     Child Loop BB102_16 Depth 2
                                        ;     Child Loop BB102_20 Depth 2
	;; [unrolled: 1-line block ×3, first 2 shown]
	s_lshl_b32 s6, s4, 2
	s_delay_alu instid0(SALU_CYCLE_1) | instskip(NEXT) | instid1(SALU_CYCLE_1)
	s_ashr_i32 s7, s6, 31
	s_lshl_b64 s[6:7], s[6:7], 2
	s_wait_xcnt 0x0
	s_add_nc_u64 s[12:13], s[0:1], s[6:7]
	global_load_b96 v[0:2], v9, s[12:13]
	s_wait_loadcnt 0x0
	v_readfirstlane_b32 s6, v1
	v_readfirstlane_b32 s8, v2
	;; [unrolled: 1-line block ×3, first 2 shown]
	s_cmp_le_i32 s8, s6
	s_cbranch_scc1 .LBB102_11
; %bb.13:                               ;   in Loop: Header=BB102_12 Depth=1
	global_load_b32 v0, v9, s[12:13] offset:12
	s_cmp_lg_u32 s39, 0
	s_cselect_b32 s7, -1, 0
	s_wait_loadcnt 0x0
	v_cmp_gt_i32_e32 vcc_lo, s31, v0
	s_and_b32 s7, vcc_lo, s7
	s_delay_alu instid0(SALU_CYCLE_1)
	s_and_not1_b32 vcc_lo, exec_lo, s7
	s_cbranch_vccnz .LBB102_11
; %bb.14:                               ;   in Loop: Header=BB102_12 Depth=1
	s_mul_i32 s14, s6, s33
	s_delay_alu instid0(SALU_CYCLE_1)
	s_ashr_i32 s15, s14, 31
	s_cmp_gt_i32 s39, 0
	s_cselect_b32 s40, -1, 0
	s_wait_xcnt 0x0
	s_sub_co_i32 s12, s8, s6
	s_and_saveexec_b32 s13, s36
	s_cbranch_execz .LBB102_18
; %bb.15:                               ;   in Loop: Header=BB102_12 Depth=1
	s_and_b32 s7, s40, exec_lo
	s_cselect_b32 s7, s6, s8
	s_mov_b32 s26, s39
	v_add3_u32 v4, s7, s39, v7
	v_add_nc_u32_e32 v2, s7, v7
	s_add_co_i32 s7, s12, -1
	s_and_b32 s9, s40, exec_lo
	s_cselect_b32 s22, 0, s7
	v_ashrrev_i32_e32 v5, 31, v4
	global_load_b64 v[0:1], v2, s[20:21] scale_offset
	v_ashrrev_i32_e32 v3, 31, v2
	s_ashr_i32 s9, s8, 31
	s_ashr_i32 s7, s6, 31
	;; [unrolled: 1-line block ×3, first 2 shown]
	v_lshlrev_b64_e32 v[4:5], 3, v[4:5]
	s_wait_xcnt 0x0
	v_lshlrev_b64_e32 v[2:3], 3, v[2:3]
	s_lshl_b64 s[24:25], s[8:9], 2
	s_lshl_b64 s[28:29], s[6:7], 2
	;; [unrolled: 1-line block ×4, first 2 shown]
	s_ashr_i32 s27, s39, 31
	s_sub_nc_u64 s[24:25], s[24:25], s[28:29]
	s_add_nc_u64 s[28:29], s[22:23], s[42:43]
	s_lshl_b64 s[18:19], s[26:27], 3
	s_add_nc_u64 s[22:23], s[24:25], 20
	s_add_nc_u64 s[24:25], s[10:11], s[28:29]
	s_lshl_b64 s[26:27], s[26:27], 2
	s_mov_b32 s7, s12
	s_mov_b64 s[28:29], s[20:21]
.LBB102_16:                             ;   Parent Loop BB102_12 Depth=1
                                        ; =>  This Inner Loop Header: Depth=2
	s_wait_xcnt 0x0
	v_add_nc_u64_e32 v[10:11], s[28:29], v[4:5]
	s_add_nc_u64 s[42:43], s[24:25], s[22:23]
	v_add_nc_u64_e32 v[18:19], s[28:29], v[2:3]
	s_add_co_i32 s7, s7, -1
	s_add_nc_u64 s[28:29], s[28:29], s[18:19]
	s_clause 0x1
	global_load_b32 v12, v9, s[24:25] offset:16
	global_load_b32 v14, v9, s[42:43]
	global_load_b64 v[16:17], v[10:11], off
	s_cmp_eq_u32 s7, 0
	s_wait_xcnt 0x2
	s_add_nc_u64 s[24:25], s[24:25], s[26:27]
	s_wait_loadcnt 0x0
	s_wait_xcnt 0x0
	v_pk_mul_f32 v[10:11], v[16:17], v[14:15] op_sel_hi:[1,0]
	v_pk_mul_f32 v[14:15], v[0:1], v[14:15] op_sel_hi:[1,0]
	s_delay_alu instid0(VALU_DEP_2) | instskip(NEXT) | instid1(VALU_DEP_2)
	v_pk_fma_f32 v[10:11], v[0:1], v[12:13], v[10:11] op_sel_hi:[1,0,1] neg_lo:[0,0,1] neg_hi:[0,0,1]
	v_pk_fma_f32 v[0:1], v[16:17], v[12:13], v[14:15] op_sel_hi:[1,0,1]
	global_store_b64 v[18:19], v[10:11], off
	s_cbranch_scc0 .LBB102_16
; %bb.17:                               ;   in Loop: Header=BB102_12 Depth=1
	v_sub_nc_u64_e64 v[2:3], v[4:5], s[18:19]
	s_delay_alu instid0(VALU_DEP_1)
	v_add_nc_u64_e32 v[2:3], s[28:29], v[2:3]
	global_store_b64 v[2:3], v[0:1], off
.LBB102_18:                             ;   in Loop: Header=BB102_12 Depth=1
	s_wait_xcnt 0x0
	s_or_b32 exec_lo, exec_lo, s13
	s_lshl_b32 s7, s12, 1
	s_delay_alu instid0(SALU_CYCLE_1)
	s_add_co_i32 s7, s7, 2
	s_and_b32 s9, s35, exec_lo
	s_cselect_b32 s7, 0, s7
	s_and_saveexec_b32 s9, s37
	s_cbranch_execz .LBB102_22
; %bb.19:                               ;   in Loop: Header=BB102_12 Depth=1
	s_and_b32 s13, s40, exec_lo
	s_cselect_b32 s13, s6, s8
	s_add_co_i32 s18, s12, -1
	s_mul_i32 s26, s13, s5
	s_and_b32 s19, s40, exec_lo
	v_dual_mov_b32 v3, v6 :: v_dual_add_nc_u32 v0, s26, v6
	s_cselect_b32 s18, 0, s18
	s_add_co_i32 s19, s39, s13
	s_add_co_i32 s18, s7, s18
	global_load_b64 v[0:1], v0, s[2:3] scale_offset
	s_ashr_i32 s13, s12, 31
	s_mul_i32 s27, s5, s19
	s_ashr_i32 s19, s18, 31
	s_lshl_b64 s[22:23], s[12:13], 2
	s_lshl_b64 s[24:25], s[14:15], 2
	;; [unrolled: 1-line block ×3, first 2 shown]
	s_add_nc_u64 s[18:19], s[22:23], 20
	s_add_nc_u64 s[22:23], s[24:25], s[42:43]
	s_ashr_i32 s25, s39, 31
	s_mov_b32 s24, s39
	s_mul_i32 s28, s5, s39
	s_add_nc_u64 s[22:23], s[10:11], s[22:23]
	s_lshl_b64 s[24:25], s[24:25], 2
	s_mov_b32 s13, s12
.LBB102_20:                             ;   Parent Loop BB102_12 Depth=1
                                        ; =>  This Inner Loop Header: Depth=2
	s_wait_xcnt 0x0
	v_dual_add_nc_u32 v2, s27, v3 :: v_dual_add_nc_u32 v5, s26, v3
	s_add_nc_u64 s[42:43], s[22:23], s[18:19]
	s_clause 0x1
	global_load_b32 v4, v9, s[22:23] offset:16
	global_load_b32 v10, v9, s[42:43]
	global_load_b64 v[12:13], v2, s[2:3] scale_offset
	v_add_nc_u32_e32 v3, s28, v3
	s_add_co_i32 s13, s13, -1
	s_wait_xcnt 0x2
	s_add_nc_u64 s[22:23], s[22:23], s[24:25]
	s_cmp_eq_u32 s13, 0
	s_wait_loadcnt 0x0
	v_pk_mul_f32 v[14:15], v[12:13], v[10:11] op_sel_hi:[1,0]
	v_pk_mul_f32 v[10:11], v[0:1], v[10:11] op_sel_hi:[1,0]
	s_delay_alu instid0(VALU_DEP_2) | instskip(NEXT) | instid1(VALU_DEP_2)
	v_pk_fma_f32 v[14:15], v[0:1], v[4:5], v[14:15] op_sel_hi:[1,0,1] neg_lo:[0,0,1] neg_hi:[0,0,1]
	v_pk_fma_f32 v[0:1], v[12:13], v[4:5], v[10:11] op_sel_hi:[1,0,1]
	global_store_b64 v5, v[14:15], s[2:3] scale_offset
	s_cbranch_scc0 .LBB102_20
; %bb.21:                               ;   in Loop: Header=BB102_12 Depth=1
	v_ashrrev_i32_e32 v3, 31, v2
	s_wait_xcnt 0x1
	s_delay_alu instid0(VALU_DEP_1)
	v_lshl_add_u64 v[2:3], v[2:3], 3, s[2:3]
	global_store_b64 v[2:3], v[0:1], off
.LBB102_22:                             ;   in Loop: Header=BB102_12 Depth=1
	s_wait_xcnt 0x0
	s_or_b32 exec_lo, exec_lo, s9
	s_and_saveexec_b32 s9, s38
	s_cbranch_execz .LBB102_10
; %bb.23:                               ;   in Loop: Header=BB102_12 Depth=1
	s_lshl_b64 s[14:15], s[14:15], 2
	s_and_b32 s13, s40, exec_lo
	s_cselect_b32 s13, s6, s8
	s_mov_b32 s22, s39
	v_add_nc_u32_e32 v2, s13, v8
	v_add3_u32 v4, s13, s39, v8
	s_add_co_i32 s13, s12, -1
	s_and_b32 s18, s40, exec_lo
	s_cselect_b32 s13, 0, s13
	global_load_b64 v[0:1], v2, s[16:17] scale_offset
	v_dual_ashrrev_i32 v3, 31, v2 :: v_dual_ashrrev_i32 v5, 31, v4
	s_add_co_i32 s18, s7, s13
	s_ashr_i32 s23, s39, 31
	s_ashr_i32 s13, s12, 31
	s_wait_xcnt 0x0
	v_lshlrev_b64_e32 v[2:3], 3, v[2:3]
	v_lshlrev_b64_e32 v[4:5], 3, v[4:5]
	s_add_nc_u64 s[14:15], s[10:11], s[14:15]
	s_lshl_b64 s[22:23], s[22:23], 3
	s_lshl_b64 s[24:25], s[12:13], 2
	s_mov_b64 s[12:13], s[16:17]
.LBB102_24:                             ;   Parent Loop BB102_12 Depth=1
                                        ; =>  This Inner Loop Header: Depth=2
	s_ashr_i32 s19, s18, 31
	s_wait_xcnt 0x0
	v_add_nc_u64_e32 v[10:11], s[12:13], v[4:5]
	s_lshl_b64 s[26:27], s[18:19], 2
	v_mov_b32_e32 v15, s18
	s_add_nc_u64 s[26:27], s[14:15], s[26:27]
	v_add_nc_u64_e32 v[18:19], s[12:13], v[2:3]
	s_add_nc_u64 s[26:27], s[26:27], s[24:25]
	global_load_b64 v[12:13], v[10:11], off
	s_clause 0x1
	global_load_b32 v14, v9, s[26:27] offset:20
	global_load_b32 v16, v15, s[14:15] offset:16 scale_offset
	s_add_co_i32 s6, s6, 1
	s_add_co_i32 s18, s18, s39
	s_cmp_eq_u32 s6, s8
	s_add_nc_u64 s[12:13], s[12:13], s[22:23]
	s_wait_loadcnt 0x1
	s_wait_xcnt 0x2
	v_pk_mul_f32 v[10:11], v[12:13], v[14:15] op_sel_hi:[1,0]
	s_wait_xcnt 0x0
	v_pk_mul_f32 v[14:15], v[0:1], v[14:15] op_sel_hi:[1,0]
	s_wait_loadcnt 0x0
	s_delay_alu instid0(VALU_DEP_2) | instskip(NEXT) | instid1(VALU_DEP_2)
	v_pk_fma_f32 v[10:11], v[0:1], v[16:17], v[10:11] op_sel_hi:[1,0,1] neg_lo:[0,0,1] neg_hi:[0,0,1]
	v_pk_fma_f32 v[0:1], v[12:13], v[16:17], v[14:15] op_sel_hi:[1,0,1]
	global_store_b64 v[18:19], v[10:11], off
	s_cbranch_scc0 .LBB102_24
	s_branch .LBB102_9
.LBB102_25:
	s_endpgm
	.section	.rodata,"a",@progbits
	.p2align	6, 0x0
	.amdhsa_kernel _ZN9rocsolver6v33100L12bdsqr_rotateI19rocblas_complex_numIfEfPS3_S4_S4_EEviiiiT1_iilT2_iilT3_iiliPiPT0_ilS8_
		.amdhsa_group_segment_fixed_size 0
		.amdhsa_private_segment_fixed_size 0
		.amdhsa_kernarg_size 392
		.amdhsa_user_sgpr_count 2
		.amdhsa_user_sgpr_dispatch_ptr 0
		.amdhsa_user_sgpr_queue_ptr 0
		.amdhsa_user_sgpr_kernarg_segment_ptr 1
		.amdhsa_user_sgpr_dispatch_id 0
		.amdhsa_user_sgpr_kernarg_preload_length 0
		.amdhsa_user_sgpr_kernarg_preload_offset 0
		.amdhsa_user_sgpr_private_segment_size 0
		.amdhsa_wavefront_size32 1
		.amdhsa_uses_dynamic_stack 0
		.amdhsa_enable_private_segment 0
		.amdhsa_system_sgpr_workgroup_id_x 1
		.amdhsa_system_sgpr_workgroup_id_y 1
		.amdhsa_system_sgpr_workgroup_id_z 1
		.amdhsa_system_sgpr_workgroup_info 0
		.amdhsa_system_vgpr_workitem_id 0
		.amdhsa_next_free_vgpr 20
		.amdhsa_next_free_sgpr 44
		.amdhsa_named_barrier_count 0
		.amdhsa_reserve_vcc 1
		.amdhsa_float_round_mode_32 0
		.amdhsa_float_round_mode_16_64 0
		.amdhsa_float_denorm_mode_32 3
		.amdhsa_float_denorm_mode_16_64 3
		.amdhsa_fp16_overflow 0
		.amdhsa_memory_ordered 1
		.amdhsa_forward_progress 1
		.amdhsa_inst_pref_size 14
		.amdhsa_round_robin_scheduling 0
		.amdhsa_exception_fp_ieee_invalid_op 0
		.amdhsa_exception_fp_denorm_src 0
		.amdhsa_exception_fp_ieee_div_zero 0
		.amdhsa_exception_fp_ieee_overflow 0
		.amdhsa_exception_fp_ieee_underflow 0
		.amdhsa_exception_fp_ieee_inexact 0
		.amdhsa_exception_int_div_zero 0
	.end_amdhsa_kernel
	.section	.text._ZN9rocsolver6v33100L12bdsqr_rotateI19rocblas_complex_numIfEfPS3_S4_S4_EEviiiiT1_iilT2_iilT3_iiliPiPT0_ilS8_,"axG",@progbits,_ZN9rocsolver6v33100L12bdsqr_rotateI19rocblas_complex_numIfEfPS3_S4_S4_EEviiiiT1_iilT2_iilT3_iiliPiPT0_ilS8_,comdat
.Lfunc_end102:
	.size	_ZN9rocsolver6v33100L12bdsqr_rotateI19rocblas_complex_numIfEfPS3_S4_S4_EEviiiiT1_iilT2_iilT3_iiliPiPT0_ilS8_, .Lfunc_end102-_ZN9rocsolver6v33100L12bdsqr_rotateI19rocblas_complex_numIfEfPS3_S4_S4_EEviiiiT1_iilT2_iilT3_iiliPiPT0_ilS8_
                                        ; -- End function
	.set _ZN9rocsolver6v33100L12bdsqr_rotateI19rocblas_complex_numIfEfPS3_S4_S4_EEviiiiT1_iilT2_iilT3_iiliPiPT0_ilS8_.num_vgpr, 20
	.set _ZN9rocsolver6v33100L12bdsqr_rotateI19rocblas_complex_numIfEfPS3_S4_S4_EEviiiiT1_iilT2_iilT3_iiliPiPT0_ilS8_.num_agpr, 0
	.set _ZN9rocsolver6v33100L12bdsqr_rotateI19rocblas_complex_numIfEfPS3_S4_S4_EEviiiiT1_iilT2_iilT3_iiliPiPT0_ilS8_.numbered_sgpr, 44
	.set _ZN9rocsolver6v33100L12bdsqr_rotateI19rocblas_complex_numIfEfPS3_S4_S4_EEviiiiT1_iilT2_iilT3_iiliPiPT0_ilS8_.num_named_barrier, 0
	.set _ZN9rocsolver6v33100L12bdsqr_rotateI19rocblas_complex_numIfEfPS3_S4_S4_EEviiiiT1_iilT2_iilT3_iiliPiPT0_ilS8_.private_seg_size, 0
	.set _ZN9rocsolver6v33100L12bdsqr_rotateI19rocblas_complex_numIfEfPS3_S4_S4_EEviiiiT1_iilT2_iilT3_iiliPiPT0_ilS8_.uses_vcc, 1
	.set _ZN9rocsolver6v33100L12bdsqr_rotateI19rocblas_complex_numIfEfPS3_S4_S4_EEviiiiT1_iilT2_iilT3_iiliPiPT0_ilS8_.uses_flat_scratch, 0
	.set _ZN9rocsolver6v33100L12bdsqr_rotateI19rocblas_complex_numIfEfPS3_S4_S4_EEviiiiT1_iilT2_iilT3_iiliPiPT0_ilS8_.has_dyn_sized_stack, 0
	.set _ZN9rocsolver6v33100L12bdsqr_rotateI19rocblas_complex_numIfEfPS3_S4_S4_EEviiiiT1_iilT2_iilT3_iiliPiPT0_ilS8_.has_recursion, 0
	.set _ZN9rocsolver6v33100L12bdsqr_rotateI19rocblas_complex_numIfEfPS3_S4_S4_EEviiiiT1_iilT2_iilT3_iiliPiPT0_ilS8_.has_indirect_call, 0
	.section	.AMDGPU.csdata,"",@progbits
; Kernel info:
; codeLenInByte = 1676
; TotalNumSgprs: 46
; NumVgprs: 20
; ScratchSize: 0
; MemoryBound: 0
; FloatMode: 240
; IeeeMode: 1
; LDSByteSize: 0 bytes/workgroup (compile time only)
; SGPRBlocks: 0
; VGPRBlocks: 1
; NumSGPRsForWavesPerEU: 46
; NumVGPRsForWavesPerEU: 20
; NamedBarCnt: 0
; Occupancy: 16
; WaveLimiterHint : 1
; COMPUTE_PGM_RSRC2:SCRATCH_EN: 0
; COMPUTE_PGM_RSRC2:USER_SGPR: 2
; COMPUTE_PGM_RSRC2:TRAP_HANDLER: 0
; COMPUTE_PGM_RSRC2:TGID_X_EN: 1
; COMPUTE_PGM_RSRC2:TGID_Y_EN: 1
; COMPUTE_PGM_RSRC2:TGID_Z_EN: 1
; COMPUTE_PGM_RSRC2:TIDIG_COMP_CNT: 0
	.section	.text._ZN9rocsolver6v33100L22bdsqr_update_endpointsI19rocblas_complex_numIfEfEEviPT0_lPiS5_lS6_,"axG",@progbits,_ZN9rocsolver6v33100L22bdsqr_update_endpointsI19rocblas_complex_numIfEfEEviPT0_lPiS5_lS6_,comdat
	.globl	_ZN9rocsolver6v33100L22bdsqr_update_endpointsI19rocblas_complex_numIfEfEEviPT0_lPiS5_lS6_ ; -- Begin function _ZN9rocsolver6v33100L22bdsqr_update_endpointsI19rocblas_complex_numIfEfEEviPT0_lPiS5_lS6_
	.p2align	8
	.type	_ZN9rocsolver6v33100L22bdsqr_update_endpointsI19rocblas_complex_numIfEfEEviPT0_lPiS5_lS6_,@function
_ZN9rocsolver6v33100L22bdsqr_update_endpointsI19rocblas_complex_numIfEfEEviPT0_lPiS5_lS6_: ; @_ZN9rocsolver6v33100L22bdsqr_update_endpointsI19rocblas_complex_numIfEfEEviPT0_lPiS5_lS6_
; %bb.0:
	s_load_b128 s[12:15], s[0:1], 0x28
	s_bfe_u32 s2, ttmp6, 0x40014
	s_lshr_b32 s3, ttmp7, 16
	s_add_co_i32 s2, s2, 1
	s_bfe_u32 s5, ttmp6, 0x40008
	s_mul_i32 s4, s3, s2
	s_getreg_b32 s2, hwreg(HW_REG_IB_STS2, 6, 4)
	s_add_co_i32 s5, s5, s4
	s_cmp_eq_u32 s2, 0
	s_mov_b32 s17, 0
	s_cselect_b32 s16, s3, s5
	s_wait_kmcnt 0x0
	s_load_b32 s3, s[14:15], s16 offset:0x8 scale_offset
	s_wait_kmcnt 0x0
	s_cmp_lg_u32 s3, 0
	s_cbranch_scc1 .LBB103_28
; %bb.1:
	s_load_b256 s[4:11], s[0:1], 0x8
	s_bfe_u32 s3, ttmp6, 0x40010
	s_and_b32 s14, ttmp7, 0xffff
	s_add_co_i32 s3, s3, 1
	s_bfe_u32 s15, ttmp6, 0x40004
	s_mul_i32 s3, s14, s3
	s_delay_alu instid0(SALU_CYCLE_1)
	s_add_co_i32 s15, s15, s3
	s_cmp_eq_u32 s2, 0
	s_mul_u64 s[2:3], s[12:13], s[16:17]
	s_cselect_b32 s20, s14, s15
	s_lshl_b64 s[2:3], s[2:3], 2
	s_wait_kmcnt 0x0
	s_add_nc_u64 s[2:3], s[10:11], s[2:3]
	s_load_b64 s[10:11], s[2:3], 0x4
	s_wait_kmcnt 0x0
	s_cvt_i32_f32 s11, s11
	s_delay_alu instid0(SALU_CYCLE_3)
	s_cmp_ge_i32 s20, s11
	s_cbranch_scc1 .LBB103_28
; %bb.2:
	s_clause 0x1
	s_load_b32 s12, s[0:1], 0x0
	s_load_b32 s21, s[0:1], 0x3c
	s_wait_xcnt 0x0
	s_mul_u64 s[0:1], s[6:7], s[16:17]
	v_mov_b32_e32 v4, 0
	s_lshl_b64 s[0:1], s[0:1], 2
	s_cvt_f32_i32 s22, s11
	s_add_nc_u64 s[4:5], s[4:5], s[0:1]
	s_wait_kmcnt 0x0
	s_mul_i32 s6, s16, s12
	s_delay_alu instid0(SALU_CYCLE_1) | instskip(NEXT) | instid1(SALU_CYCLE_1)
	s_lshl_b32 s6, s6, 1
	s_ashr_i32 s7, s6, 31
	s_delay_alu instid0(SALU_CYCLE_1) | instskip(NEXT) | instid1(SALU_CYCLE_1)
	s_lshl_b64 s[6:7], s[6:7], 2
	s_add_nc_u64 s[6:7], s[8:9], s[6:7]
	s_add_nc_u64 s[8:9], s[4:5], -4
	s_branch .LBB103_4
.LBB103_3:                              ;   in Loop: Header=BB103_4 Depth=1
	s_wait_xcnt 0x0
	v_dual_mov_b32 v0, s23 :: v_dual_mov_b32 v1, s15
	s_add_co_i32 s20, s21, s20
	s_delay_alu instid0(SALU_CYCLE_1)
	s_cmp_lt_i32 s20, s11
	global_store_b64 v4, v[0:1], s[12:13] offset:4
	s_cbranch_scc0 .LBB103_28
.LBB103_4:                              ; =>This Loop Header: Depth=1
                                        ;     Child Loop BB103_9 Depth 2
                                        ;     Child Loop BB103_14 Depth 2
	;; [unrolled: 1-line block ×3, first 2 shown]
	s_lshl_b32 s0, s20, 2
	s_delay_alu instid0(SALU_CYCLE_1) | instskip(NEXT) | instid1(SALU_CYCLE_1)
	s_ashr_i32 s1, s0, 31
	s_lshl_b64 s[0:1], s[0:1], 2
	s_wait_xcnt 0x0
	s_add_nc_u64 s[12:13], s[6:7], s[0:1]
	global_load_b128 v[0:3], v4, s[12:13]
	s_wait_loadcnt 0x0
	v_cmp_eq_u32_e64 s0, 0, v0
	v_readfirstlane_b32 s16, v1
	v_readfirstlane_b32 s14, v2
	v_mov_b32_e32 v2, v3
	s_and_b32 vcc_lo, exec_lo, s0
	s_cbranch_vccnz .LBB103_6
; %bb.5:                                ;   in Loop: Header=BB103_4 Depth=1
	s_sub_co_i32 s1, s14, s16
	s_delay_alu instid0(SALU_CYCLE_1)
	v_add_nc_u32_e32 v2, s1, v3
	global_store_b32 v4, v2, s[12:13] offset:12
.LBB103_6:                              ;   in Loop: Header=BB103_4 Depth=1
	s_cmp_le_i32 s14, s16
	s_cbranch_scc1 .LBB103_16
; %bb.7:                                ;   in Loop: Header=BB103_4 Depth=1
	s_ashr_i32 s17, s16, 31
	s_delay_alu instid0(SALU_CYCLE_1) | instskip(NEXT) | instid1(SALU_CYCLE_1)
	s_lshl_b64 s[18:19], s[16:17], 2
	s_add_nc_u64 s[18:19], s[4:5], s[18:19]
	s_branch .LBB103_9
.LBB103_8:                              ;   in Loop: Header=BB103_9 Depth=2
	s_add_co_i32 s16, s16, 1
	global_store_b32 v4, v4, s[18:19]
	s_cmp_ge_i32 s16, s14
	s_wait_xcnt 0x0
	s_add_nc_u64 s[18:19], s[18:19], 4
	s_cselect_b32 s1, -1, 0
	s_mov_b32 s23, s14
	s_and_not1_b32 vcc_lo, exec_lo, s1
	s_cbranch_vccz .LBB103_11
.LBB103_9:                              ;   Parent Loop BB103_4 Depth=1
                                        ; =>  This Inner Loop Header: Depth=2
	global_load_b32 v0, v4, s[18:19]
	s_mov_b32 s1, -1
	s_wait_loadcnt 0x0
	v_and_b32_e32 v0, 0x7fffffff, v0
	s_delay_alu instid0(VALU_DEP_1)
	v_cmp_ngt_f32_e32 vcc_lo, s10, v0
	s_cbranch_vccz .LBB103_8
; %bb.10:                               ;   in Loop: Header=BB103_9 Depth=2
	s_mov_b32 s23, s16
                                        ; implicit-def: $sgpr16
                                        ; implicit-def: $sgpr18_sgpr19
	s_and_not1_b32 vcc_lo, exec_lo, s1
	s_cbranch_vccnz .LBB103_9
.LBB103_11:                             ;   in Loop: Header=BB103_4 Depth=1
	s_cmp_le_i32 s14, s23
	s_cbranch_scc1 .LBB103_17
.LBB103_12:                             ;   in Loop: Header=BB103_4 Depth=1
	s_ashr_i32 s15, s14, 31
	s_delay_alu instid0(SALU_CYCLE_1) | instskip(NEXT) | instid1(SALU_CYCLE_1)
	s_lshl_b64 s[16:17], s[14:15], 2
	s_add_nc_u64 s[16:17], s[8:9], s[16:17]
	s_branch .LBB103_14
.LBB103_13:                             ;   in Loop: Header=BB103_14 Depth=2
	s_add_co_i32 s14, s14, -1
	global_store_b32 v4, v4, s[16:17]
	s_cmp_le_i32 s14, s23
	s_wait_xcnt 0x0
	s_add_nc_u64 s[16:17], s[16:17], -4
	s_cselect_b32 s1, -1, 0
	s_mov_b32 s15, s23
	s_and_not1_b32 vcc_lo, exec_lo, s1
	s_cbranch_vccz .LBB103_18
.LBB103_14:                             ;   Parent Loop BB103_4 Depth=1
                                        ; =>  This Inner Loop Header: Depth=2
	global_load_b32 v0, v4, s[16:17]
	s_mov_b32 s1, -1
	s_wait_loadcnt 0x0
	v_and_b32_e32 v0, 0x7fffffff, v0
	s_delay_alu instid0(VALU_DEP_1)
	v_cmp_ngt_f32_e32 vcc_lo, s10, v0
	s_cbranch_vccz .LBB103_13
; %bb.15:                               ;   in Loop: Header=BB103_14 Depth=2
	s_mov_b32 s15, s14
                                        ; implicit-def: $sgpr14
                                        ; implicit-def: $sgpr16_sgpr17
	s_and_not1_b32 vcc_lo, exec_lo, s1
	s_cbranch_vccnz .LBB103_14
	s_branch .LBB103_18
.LBB103_16:                             ;   in Loop: Header=BB103_4 Depth=1
	s_mov_b32 s23, s16
	s_delay_alu instid0(SALU_CYCLE_1)
	s_cmp_le_i32 s14, s23
	s_cbranch_scc0 .LBB103_12
.LBB103_17:                             ;   in Loop: Header=BB103_4 Depth=1
	s_mov_b32 s15, s14
.LBB103_18:                             ;   in Loop: Header=BB103_4 Depth=1
	s_delay_alu instid0(SALU_CYCLE_1) | instskip(SKIP_1) | instid1(SALU_CYCLE_1)
	s_cmp_lt_i32 s23, s15
	s_cselect_b32 s1, -1, 0
	s_and_b32 s0, s0, s1
	s_delay_alu instid0(SALU_CYCLE_1)
	s_and_not1_b32 vcc_lo, exec_lo, s0
	s_mov_b32 s0, s23
	s_cbranch_vccz .LBB103_20
	s_branch .LBB103_3
.LBB103_19:                             ;   in Loop: Header=BB103_20 Depth=2
	s_mov_b32 s0, s1
	s_delay_alu instid0(SALU_CYCLE_1)
	s_cmp_lt_i32 s0, s15
	s_cbranch_scc0 .LBB103_3
.LBB103_20:                             ;   Parent Loop BB103_4 Depth=1
                                        ; =>  This Inner Loop Header: Depth=2
	s_wait_xcnt 0x0
	v_mov_b32_e32 v0, s0
	s_mov_b32 s14, -1
                                        ; implicit-def: $sgpr1
	global_load_b32 v0, v0, s[4:5] scale_offset
	s_wait_loadcnt 0x0
	s_wait_xcnt 0x0
	v_and_b32_e32 v0, 0x7fffffff, v0
	s_delay_alu instid0(VALU_DEP_1)
	v_cmp_gt_f32_e32 vcc_lo, s10, v0
	s_cbranch_vccnz .LBB103_22
; %bb.21:                               ;   in Loop: Header=BB103_20 Depth=2
	s_add_co_i32 s1, s0, 1
	s_mov_b32 s14, 0
.LBB103_22:                             ;   in Loop: Header=BB103_20 Depth=2
	s_delay_alu instid0(SALU_CYCLE_1)
	s_and_not1_b32 vcc_lo, exec_lo, s14
	s_cbranch_vccnz .LBB103_19
; %bb.23:                               ;   in Loop: Header=BB103_20 Depth=2
	s_ashr_i32 s1, s0, 31
	s_delay_alu instid0(SALU_CYCLE_1)
	s_lshl_b64 s[16:17], s[0:1], 2
	s_cmp_ge_i32 s23, s0
	s_add_nc_u64 s[16:17], s[4:5], s[16:17]
	global_store_b32 v4, v4, s[16:17]
	s_cbranch_scc1 .LBB103_27
; %bb.24:                               ;   in Loop: Header=BB103_20 Depth=2
	s_mov_b32 s14, exec_lo
                                        ; implicit-def: $vgpr1
	s_delay_alu instid0(SALU_CYCLE_1) | instskip(NEXT) | instid1(VALU_DEP_1)
	v_mbcnt_lo_u32_b32 v0, s14, 0
	v_cmp_eq_u32_e32 vcc_lo, 0, v0
	s_wait_xcnt 0x0
	s_and_saveexec_b32 s1, vcc_lo
	s_cbranch_execz .LBB103_26
; %bb.25:                               ;   in Loop: Header=BB103_20 Depth=2
	s_bcnt1_i32_b32 s14, s14
	s_delay_alu instid0(SALU_CYCLE_1)
	v_cvt_f32_ubyte0_e32 v1, s14
	global_atomic_add_f32 v1, v4, v1, s[2:3] offset:12 th:TH_ATOMIC_RETURN scope:SCOPE_DEV
.LBB103_26:                             ;   in Loop: Header=BB103_20 Depth=2
	s_wait_xcnt 0x0
	s_or_b32 exec_lo, exec_lo, s1
	s_wait_loadcnt 0x0
	v_readfirstlane_b32 s1, v1
	v_cvt_f32_ubyte0_e32 v0, v0
	s_delay_alu instid0(VALU_DEP_1) | instskip(NEXT) | instid1(VALU_DEP_1)
	v_dual_mov_b32 v1, s0 :: v_dual_add_f32 v0, s1, v0
	v_cndmask_b32_e64 v0, v0, s1, vcc_lo
	s_delay_alu instid0(VALU_DEP_1) | instskip(NEXT) | instid1(VALU_DEP_1)
	v_add_f32_e32 v0, s22, v0
	v_cvt_i32_f32_e32 v0, v0
	s_delay_alu instid0(VALU_DEP_1) | instskip(NEXT) | instid1(VALU_DEP_1)
	v_dual_lshlrev_b32 v6, 2, v0 :: v_dual_mov_b32 v0, s23
	v_ashrrev_i32_e32 v7, 31, v6
	s_delay_alu instid0(VALU_DEP_1)
	v_lshl_add_u64 v[6:7], v[6:7], 2, s[6:7]
	global_store_b96 v[6:7], v[0:2], off offset:4
.LBB103_27:                             ;   in Loop: Header=BB103_20 Depth=2
	s_add_co_i32 s0, s0, 1
	s_delay_alu instid0(SALU_CYCLE_1)
	s_mov_b32 s23, s0
	s_cmp_lt_i32 s0, s15
	s_cbranch_scc1 .LBB103_20
	s_branch .LBB103_3
.LBB103_28:
	s_endpgm
	.section	.rodata,"a",@progbits
	.p2align	6, 0x0
	.amdhsa_kernel _ZN9rocsolver6v33100L22bdsqr_update_endpointsI19rocblas_complex_numIfEfEEviPT0_lPiS5_lS6_
		.amdhsa_group_segment_fixed_size 0
		.amdhsa_private_segment_fixed_size 0
		.amdhsa_kernarg_size 312
		.amdhsa_user_sgpr_count 2
		.amdhsa_user_sgpr_dispatch_ptr 0
		.amdhsa_user_sgpr_queue_ptr 0
		.amdhsa_user_sgpr_kernarg_segment_ptr 1
		.amdhsa_user_sgpr_dispatch_id 0
		.amdhsa_user_sgpr_kernarg_preload_length 0
		.amdhsa_user_sgpr_kernarg_preload_offset 0
		.amdhsa_user_sgpr_private_segment_size 0
		.amdhsa_wavefront_size32 1
		.amdhsa_uses_dynamic_stack 0
		.amdhsa_enable_private_segment 0
		.amdhsa_system_sgpr_workgroup_id_x 1
		.amdhsa_system_sgpr_workgroup_id_y 1
		.amdhsa_system_sgpr_workgroup_id_z 1
		.amdhsa_system_sgpr_workgroup_info 0
		.amdhsa_system_vgpr_workitem_id 0
		.amdhsa_next_free_vgpr 8
		.amdhsa_next_free_sgpr 24
		.amdhsa_named_barrier_count 0
		.amdhsa_reserve_vcc 1
		.amdhsa_float_round_mode_32 0
		.amdhsa_float_round_mode_16_64 0
		.amdhsa_float_denorm_mode_32 3
		.amdhsa_float_denorm_mode_16_64 3
		.amdhsa_fp16_overflow 0
		.amdhsa_memory_ordered 1
		.amdhsa_forward_progress 1
		.amdhsa_inst_pref_size 8
		.amdhsa_round_robin_scheduling 0
		.amdhsa_exception_fp_ieee_invalid_op 0
		.amdhsa_exception_fp_denorm_src 0
		.amdhsa_exception_fp_ieee_div_zero 0
		.amdhsa_exception_fp_ieee_overflow 0
		.amdhsa_exception_fp_ieee_underflow 0
		.amdhsa_exception_fp_ieee_inexact 0
		.amdhsa_exception_int_div_zero 0
	.end_amdhsa_kernel
	.section	.text._ZN9rocsolver6v33100L22bdsqr_update_endpointsI19rocblas_complex_numIfEfEEviPT0_lPiS5_lS6_,"axG",@progbits,_ZN9rocsolver6v33100L22bdsqr_update_endpointsI19rocblas_complex_numIfEfEEviPT0_lPiS5_lS6_,comdat
.Lfunc_end103:
	.size	_ZN9rocsolver6v33100L22bdsqr_update_endpointsI19rocblas_complex_numIfEfEEviPT0_lPiS5_lS6_, .Lfunc_end103-_ZN9rocsolver6v33100L22bdsqr_update_endpointsI19rocblas_complex_numIfEfEEviPT0_lPiS5_lS6_
                                        ; -- End function
	.set _ZN9rocsolver6v33100L22bdsqr_update_endpointsI19rocblas_complex_numIfEfEEviPT0_lPiS5_lS6_.num_vgpr, 8
	.set _ZN9rocsolver6v33100L22bdsqr_update_endpointsI19rocblas_complex_numIfEfEEviPT0_lPiS5_lS6_.num_agpr, 0
	.set _ZN9rocsolver6v33100L22bdsqr_update_endpointsI19rocblas_complex_numIfEfEEviPT0_lPiS5_lS6_.numbered_sgpr, 24
	.set _ZN9rocsolver6v33100L22bdsqr_update_endpointsI19rocblas_complex_numIfEfEEviPT0_lPiS5_lS6_.num_named_barrier, 0
	.set _ZN9rocsolver6v33100L22bdsqr_update_endpointsI19rocblas_complex_numIfEfEEviPT0_lPiS5_lS6_.private_seg_size, 0
	.set _ZN9rocsolver6v33100L22bdsqr_update_endpointsI19rocblas_complex_numIfEfEEviPT0_lPiS5_lS6_.uses_vcc, 1
	.set _ZN9rocsolver6v33100L22bdsqr_update_endpointsI19rocblas_complex_numIfEfEEviPT0_lPiS5_lS6_.uses_flat_scratch, 0
	.set _ZN9rocsolver6v33100L22bdsqr_update_endpointsI19rocblas_complex_numIfEfEEviPT0_lPiS5_lS6_.has_dyn_sized_stack, 0
	.set _ZN9rocsolver6v33100L22bdsqr_update_endpointsI19rocblas_complex_numIfEfEEviPT0_lPiS5_lS6_.has_recursion, 0
	.set _ZN9rocsolver6v33100L22bdsqr_update_endpointsI19rocblas_complex_numIfEfEEviPT0_lPiS5_lS6_.has_indirect_call, 0
	.section	.AMDGPU.csdata,"",@progbits
; Kernel info:
; codeLenInByte = 1008
; TotalNumSgprs: 26
; NumVgprs: 8
; ScratchSize: 0
; MemoryBound: 0
; FloatMode: 240
; IeeeMode: 1
; LDSByteSize: 0 bytes/workgroup (compile time only)
; SGPRBlocks: 0
; VGPRBlocks: 0
; NumSGPRsForWavesPerEU: 26
; NumVGPRsForWavesPerEU: 8
; NamedBarCnt: 0
; Occupancy: 16
; WaveLimiterHint : 1
; COMPUTE_PGM_RSRC2:SCRATCH_EN: 0
; COMPUTE_PGM_RSRC2:USER_SGPR: 2
; COMPUTE_PGM_RSRC2:TRAP_HANDLER: 0
; COMPUTE_PGM_RSRC2:TGID_X_EN: 1
; COMPUTE_PGM_RSRC2:TGID_Y_EN: 1
; COMPUTE_PGM_RSRC2:TGID_Z_EN: 1
; COMPUTE_PGM_RSRC2:TIDIG_COMP_CNT: 0
	.section	.text._ZN9rocsolver6v33100L19bdsqr_chk_completedI19rocblas_complex_numIfEfEEviiPiPT0_lS4_,"axG",@progbits,_ZN9rocsolver6v33100L19bdsqr_chk_completedI19rocblas_complex_numIfEfEEviiPiPT0_lS4_,comdat
	.globl	_ZN9rocsolver6v33100L19bdsqr_chk_completedI19rocblas_complex_numIfEfEEviiPiPT0_lS4_ ; -- Begin function _ZN9rocsolver6v33100L19bdsqr_chk_completedI19rocblas_complex_numIfEfEEviiPiPT0_lS4_
	.p2align	8
	.type	_ZN9rocsolver6v33100L19bdsqr_chk_completedI19rocblas_complex_numIfEfEEviiPiPT0_lS4_,@function
_ZN9rocsolver6v33100L19bdsqr_chk_completedI19rocblas_complex_numIfEfEEviiPiPT0_lS4_: ; @_ZN9rocsolver6v33100L19bdsqr_chk_completedI19rocblas_complex_numIfEfEEviiPiPT0_lS4_
; %bb.0:
	s_load_b256 s[4:11], s[0:1], 0x8
	s_bfe_u32 s2, ttmp6, 0x40010
	s_bfe_u32 s3, ttmp6, 0x40004
	s_add_co_i32 s2, s2, 1
	s_getreg_b32 s12, hwreg(HW_REG_IB_STS2, 6, 4)
	s_mul_i32 s2, ttmp7, s2
	s_delay_alu instid0(SALU_CYCLE_1) | instskip(SKIP_2) | instid1(SALU_CYCLE_1)
	s_add_co_i32 s3, s3, s2
	s_cmp_eq_u32 s12, 0
	s_cselect_b32 s12, ttmp7, s3
	s_ashr_i32 s13, s12, 31
	s_delay_alu instid0(SALU_CYCLE_1)
	s_lshl_b64 s[2:3], s[12:13], 2
	s_wait_kmcnt 0x0
	s_add_nc_u64 s[2:3], s[10:11], s[2:3]
	s_load_b32 s14, s[2:3], 0x8
	s_wait_kmcnt 0x0
	s_cmp_lg_u32 s14, 0
	s_cbranch_scc0 .LBB104_2
.LBB104_1:
	s_endpgm
.LBB104_2:
	s_mul_u64 s[8:9], s[8:9], s[12:13]
	s_delay_alu instid0(SALU_CYCLE_1) | instskip(NEXT) | instid1(SALU_CYCLE_1)
	s_lshl_b64 s[8:9], s[8:9], 2
	s_add_nc_u64 s[14:15], s[6:7], s[8:9]
	s_load_b64 s[6:7], s[14:15], 0x8
	s_load_b32 s8, s[10:11], 0x4
	s_wait_kmcnt 0x0
	s_add_f32 s6, s6, s7
	s_delay_alu instid0(SALU_CYCLE_3) | instskip(NEXT) | instid1(SALU_CYCLE_3)
	s_cvt_i32_f32 s6, s6
	s_cvt_f32_i32 s7, s6
	v_mov_b32_e32 v1, 0
	s_cmp_ge_i32 s8, s6
	s_delay_alu instid0(SALU_CYCLE_1)
	v_mov_b32_e32 v0, s7
	s_mov_b32 s7, 0
	global_store_b64 v1, v[0:1], s[14:15] offset:8
	s_cbranch_scc1 .LBB104_6
; %bb.3:
	v_mov_b32_e32 v3, s8
.LBB104_4:                              ; =>This Inner Loop Header: Depth=1
	v_mov_b32_e32 v2, s6
	s_wait_xcnt 0x0
	global_atomic_cmpswap_b32 v3, v1, v[2:3], s[10:11] offset:4 th:TH_ATOMIC_RETURN scope:SCOPE_DEV
	s_wait_loadcnt 0x0
	v_cmp_le_i32_e32 vcc_lo, s6, v3
	s_or_b32 s7, vcc_lo, s7
	s_wait_xcnt 0x0
	s_and_not1_b32 exec_lo, exec_lo, s7
	s_cbranch_execnz .LBB104_4
; %bb.5:
	s_or_b32 exec_lo, exec_lo, s7
.LBB104_6:
	s_cmp_lt_i32 s6, 1
	s_cbranch_scc1 .LBB104_14
; %bb.7:
	s_load_b64 s[0:1], s[0:1], 0x0
	v_mov_b32_e32 v0, 0
	s_wait_kmcnt 0x0
	s_mul_i32 s0, s12, s0
	s_delay_alu instid0(SALU_CYCLE_1) | instskip(NEXT) | instid1(SALU_CYCLE_1)
	s_lshl_b32 s8, s0, 1
	s_ashr_i32 s9, s8, 31
	s_delay_alu instid0(SALU_CYCLE_1) | instskip(NEXT) | instid1(SALU_CYCLE_1)
	s_lshl_b64 s[8:9], s[8:9], 2
	s_add_nc_u64 s[4:5], s[4:5], s[8:9]
	s_delay_alu instid0(SALU_CYCLE_1)
	s_add_nc_u64 s[4:5], s[4:5], 12
	s_branch .LBB104_9
.LBB104_8:                              ;   in Loop: Header=BB104_9 Depth=1
	s_and_not1_b32 vcc_lo, exec_lo, s7
	s_cbranch_vccz .LBB104_13
.LBB104_9:                              ; =>This Inner Loop Header: Depth=1
	global_load_b64 v[2:3], v0, s[4:5] offset:-8
	s_mov_b32 s7, -1
	s_wait_loadcnt 0x0
	v_cmp_ge_i32_e32 vcc_lo, v2, v3
	s_cbranch_vccz .LBB104_11
; %bb.10:                               ;   in Loop: Header=BB104_9 Depth=1
	s_mov_b32 s0, -1
	s_and_not1_b32 vcc_lo, exec_lo, s7
	s_mov_b32 s7, -1
	s_cbranch_vccnz .LBB104_8
	s_branch .LBB104_12
.LBB104_11:                             ;   in Loop: Header=BB104_9 Depth=1
	global_load_b32 v1, v0, s[4:5]
	s_wait_loadcnt 0x0
	v_cmp_le_i32_e64 s7, s1, v1
	s_mov_b32 s0, -1
	s_and_not1_b32 vcc_lo, exec_lo, s7
	s_mov_b32 s7, -1
	s_cbranch_vccnz .LBB104_8
.LBB104_12:                             ;   in Loop: Header=BB104_9 Depth=1
	s_add_co_i32 s6, s6, -1
	s_wait_xcnt 0x0
	s_add_nc_u64 s[4:5], s[4:5], 16
	s_cmp_eq_u32 s6, 0
	s_mov_b32 s0, 0
	s_cselect_b32 s7, -1, 0
	s_branch .LBB104_8
.LBB104_13:
	s_xor_b32 s0, s0, -1
	s_delay_alu instid0(SALU_CYCLE_1)
	s_and_b32 vcc_lo, exec_lo, s0
	s_cbranch_vccz .LBB104_1
	s_branch .LBB104_15
.LBB104_14:
	s_cbranch_execz .LBB104_1
.LBB104_15:
	s_mov_b32 s0, exec_lo
	s_wait_xcnt 0x0
	v_dual_mov_b32 v0, 0 :: v_dual_mov_b32 v2, 1
	v_mbcnt_lo_u32_b32 v1, s0, 0
	s_mov_b32 s1, exec_lo
	global_store_b32 v0, v2, s[2:3] offset:8
	s_wait_xcnt 0x0
	v_cmpx_eq_u32_e32 0, v1
	s_cbranch_execz .LBB104_1
; %bb.16:
	s_bcnt1_i32_b32 s0, s0
	s_delay_alu instid0(SALU_CYCLE_1)
	v_mov_b32_e32 v1, s0
	global_atomic_add_u32 v0, v1, s[10:11] scope:SCOPE_DEV
	s_endpgm
	.section	.rodata,"a",@progbits
	.p2align	6, 0x0
	.amdhsa_kernel _ZN9rocsolver6v33100L19bdsqr_chk_completedI19rocblas_complex_numIfEfEEviiPiPT0_lS4_
		.amdhsa_group_segment_fixed_size 0
		.amdhsa_private_segment_fixed_size 0
		.amdhsa_kernarg_size 40
		.amdhsa_user_sgpr_count 2
		.amdhsa_user_sgpr_dispatch_ptr 0
		.amdhsa_user_sgpr_queue_ptr 0
		.amdhsa_user_sgpr_kernarg_segment_ptr 1
		.amdhsa_user_sgpr_dispatch_id 0
		.amdhsa_user_sgpr_kernarg_preload_length 0
		.amdhsa_user_sgpr_kernarg_preload_offset 0
		.amdhsa_user_sgpr_private_segment_size 0
		.amdhsa_wavefront_size32 1
		.amdhsa_uses_dynamic_stack 0
		.amdhsa_enable_private_segment 0
		.amdhsa_system_sgpr_workgroup_id_x 1
		.amdhsa_system_sgpr_workgroup_id_y 1
		.amdhsa_system_sgpr_workgroup_id_z 0
		.amdhsa_system_sgpr_workgroup_info 0
		.amdhsa_system_vgpr_workitem_id 0
		.amdhsa_next_free_vgpr 4
		.amdhsa_next_free_sgpr 16
		.amdhsa_named_barrier_count 0
		.amdhsa_reserve_vcc 1
		.amdhsa_float_round_mode_32 0
		.amdhsa_float_round_mode_16_64 0
		.amdhsa_float_denorm_mode_32 3
		.amdhsa_float_denorm_mode_16_64 3
		.amdhsa_fp16_overflow 0
		.amdhsa_memory_ordered 1
		.amdhsa_forward_progress 1
		.amdhsa_inst_pref_size 5
		.amdhsa_round_robin_scheduling 0
		.amdhsa_exception_fp_ieee_invalid_op 0
		.amdhsa_exception_fp_denorm_src 0
		.amdhsa_exception_fp_ieee_div_zero 0
		.amdhsa_exception_fp_ieee_overflow 0
		.amdhsa_exception_fp_ieee_underflow 0
		.amdhsa_exception_fp_ieee_inexact 0
		.amdhsa_exception_int_div_zero 0
	.end_amdhsa_kernel
	.section	.text._ZN9rocsolver6v33100L19bdsqr_chk_completedI19rocblas_complex_numIfEfEEviiPiPT0_lS4_,"axG",@progbits,_ZN9rocsolver6v33100L19bdsqr_chk_completedI19rocblas_complex_numIfEfEEviiPiPT0_lS4_,comdat
.Lfunc_end104:
	.size	_ZN9rocsolver6v33100L19bdsqr_chk_completedI19rocblas_complex_numIfEfEEviiPiPT0_lS4_, .Lfunc_end104-_ZN9rocsolver6v33100L19bdsqr_chk_completedI19rocblas_complex_numIfEfEEviiPiPT0_lS4_
                                        ; -- End function
	.set _ZN9rocsolver6v33100L19bdsqr_chk_completedI19rocblas_complex_numIfEfEEviiPiPT0_lS4_.num_vgpr, 4
	.set _ZN9rocsolver6v33100L19bdsqr_chk_completedI19rocblas_complex_numIfEfEEviiPiPT0_lS4_.num_agpr, 0
	.set _ZN9rocsolver6v33100L19bdsqr_chk_completedI19rocblas_complex_numIfEfEEviiPiPT0_lS4_.numbered_sgpr, 16
	.set _ZN9rocsolver6v33100L19bdsqr_chk_completedI19rocblas_complex_numIfEfEEviiPiPT0_lS4_.num_named_barrier, 0
	.set _ZN9rocsolver6v33100L19bdsqr_chk_completedI19rocblas_complex_numIfEfEEviiPiPT0_lS4_.private_seg_size, 0
	.set _ZN9rocsolver6v33100L19bdsqr_chk_completedI19rocblas_complex_numIfEfEEviiPiPT0_lS4_.uses_vcc, 1
	.set _ZN9rocsolver6v33100L19bdsqr_chk_completedI19rocblas_complex_numIfEfEEviiPiPT0_lS4_.uses_flat_scratch, 0
	.set _ZN9rocsolver6v33100L19bdsqr_chk_completedI19rocblas_complex_numIfEfEEviiPiPT0_lS4_.has_dyn_sized_stack, 0
	.set _ZN9rocsolver6v33100L19bdsqr_chk_completedI19rocblas_complex_numIfEfEEviiPiPT0_lS4_.has_recursion, 0
	.set _ZN9rocsolver6v33100L19bdsqr_chk_completedI19rocblas_complex_numIfEfEEviiPiPT0_lS4_.has_indirect_call, 0
	.section	.AMDGPU.csdata,"",@progbits
; Kernel info:
; codeLenInByte = 532
; TotalNumSgprs: 18
; NumVgprs: 4
; ScratchSize: 0
; MemoryBound: 0
; FloatMode: 240
; IeeeMode: 1
; LDSByteSize: 0 bytes/workgroup (compile time only)
; SGPRBlocks: 0
; VGPRBlocks: 0
; NumSGPRsForWavesPerEU: 18
; NumVGPRsForWavesPerEU: 4
; NamedBarCnt: 0
; Occupancy: 16
; WaveLimiterHint : 0
; COMPUTE_PGM_RSRC2:SCRATCH_EN: 0
; COMPUTE_PGM_RSRC2:USER_SGPR: 2
; COMPUTE_PGM_RSRC2:TRAP_HANDLER: 0
; COMPUTE_PGM_RSRC2:TGID_X_EN: 1
; COMPUTE_PGM_RSRC2:TGID_Y_EN: 1
; COMPUTE_PGM_RSRC2:TGID_Z_EN: 0
; COMPUTE_PGM_RSRC2:TIDIG_COMP_CNT: 0
	.section	.text._ZN9rocsolver6v33100L14bdsqr_finalizeI19rocblas_complex_numIfEfPS3_S4_S4_EEviiiiPT0_lS6_lT1_iilT2_iilT3_iilPiSA_SA_,"axG",@progbits,_ZN9rocsolver6v33100L14bdsqr_finalizeI19rocblas_complex_numIfEfPS3_S4_S4_EEviiiiPT0_lS6_lT1_iilT2_iilT3_iilPiSA_SA_,comdat
	.globl	_ZN9rocsolver6v33100L14bdsqr_finalizeI19rocblas_complex_numIfEfPS3_S4_S4_EEviiiiPT0_lS6_lT1_iilT2_iilT3_iilPiSA_SA_ ; -- Begin function _ZN9rocsolver6v33100L14bdsqr_finalizeI19rocblas_complex_numIfEfPS3_S4_S4_EEviiiiPT0_lS6_lT1_iilT2_iilT3_iilPiSA_SA_
	.p2align	8
	.type	_ZN9rocsolver6v33100L14bdsqr_finalizeI19rocblas_complex_numIfEfPS3_S4_S4_EEviiiiPT0_lS6_lT1_iilT2_iilT3_iilPiSA_SA_,@function
_ZN9rocsolver6v33100L14bdsqr_finalizeI19rocblas_complex_numIfEfPS3_S4_S4_EEviiiiPT0_lS6_lT1_iilT2_iilT3_iilPiSA_SA_: ; @_ZN9rocsolver6v33100L14bdsqr_finalizeI19rocblas_complex_numIfEfPS3_S4_S4_EEviiiiPT0_lS6_lT1_iilT2_iilT3_iilPiSA_SA_
; %bb.0:
	s_load_b256 s[36:43], s[0:1], 0x70
	s_bfe_u32 s2, ttmp6, 0x40010
	s_bfe_u32 s3, ttmp6, 0x40004
	s_add_co_i32 s2, s2, 1
	s_getreg_b32 s4, hwreg(HW_REG_IB_STS2, 6, 4)
	s_mul_i32 s2, ttmp7, s2
	s_mov_b32 s32, 0
	s_add_co_i32 s3, s3, s2
	s_cmp_eq_u32 s4, 0
	s_cselect_b32 s8, ttmp7, s3
	s_delay_alu instid0(SALU_CYCLE_1) | instskip(NEXT) | instid1(SALU_CYCLE_1)
	s_ashr_i32 s9, s8, 31
	s_lshl_b64 s[22:23], s[8:9], 2
	s_wait_kmcnt 0x0
	s_add_nc_u64 s[2:3], s[42:43], s[22:23]
	s_load_b32 s2, s[2:3], 0x8
	s_wait_kmcnt 0x0
	s_cmp_gt_i32 s2, 1
	s_cbranch_scc1 .LBB105_311
; %bb.1:
	s_clause 0x2
	s_load_b64 s[2:3], s[0:1], 0x9c
	s_load_b256 s[44:51], s[0:1], 0x30
	s_load_b256 s[52:59], s[0:1], 0x10
	s_mov_b64 s[28:29], 0
	s_mov_b64 s[34:35], 0
	s_wait_kmcnt 0x0
	s_and_b32 s3, s3, 0xffff
	s_cmp_eq_u64 s[44:45], 0
	s_cbranch_scc1 .LBB105_3
; %bb.2:
	s_mul_u64 s[4:5], s[48:49], s[8:9]
	s_ashr_i32 s7, s46, 31
	s_lshl_b64 s[4:5], s[4:5], 3
	s_mov_b32 s6, s46
	s_add_nc_u64 s[4:5], s[44:45], s[4:5]
	s_lshl_b64 s[6:7], s[6:7], 3
	s_delay_alu instid0(SALU_CYCLE_1)
	s_add_nc_u64 s[34:35], s[4:5], s[6:7]
.LBB105_3:
	s_clause 0x1
	s_load_b64 s[42:43], s[0:1], 0x50
	s_load_b128 s[4:7], s[0:1], 0x58
	s_cmp_eq_u64 s[50:51], 0
	s_cbranch_scc1 .LBB105_5
; %bb.4:
	s_wait_kmcnt 0x0
	s_mul_u64 s[4:5], s[4:5], s[8:9]
	s_ashr_i32 s11, s42, 31
	s_lshl_b64 s[4:5], s[4:5], 3
	s_mov_b32 s10, s42
	s_add_nc_u64 s[4:5], s[50:51], s[4:5]
	s_lshl_b64 s[10:11], s[10:11], 3
	s_delay_alu instid0(SALU_CYCLE_1)
	s_add_nc_u64 s[28:29], s[4:5], s[10:11]
.LBB105_5:
	s_load_b64 s[48:49], s[0:1], 0x68
	s_wait_kmcnt 0x0
	s_cmp_eq_u64 s[6:7], 0
	s_mov_b64 s[44:45], 0
	s_cbranch_scc1 .LBB105_7
; %bb.6:
	s_mul_u64 s[4:5], s[36:37], s[8:9]
	s_ashr_i32 s11, s48, 31
	s_lshl_b64 s[4:5], s[4:5], 3
	s_mov_b32 s10, s48
	s_add_nc_u64 s[4:5], s[6:7], s[4:5]
	s_lshl_b64 s[6:7], s[10:11], 3
	s_delay_alu instid0(SALU_CYCLE_1)
	s_add_nc_u64 s[44:45], s[4:5], s[6:7]
.LBB105_7:
	v_and_b32_e32 v42, 0x3ff, v0
	v_bfe_u32 v43, v0, 10, 10
	s_and_b32 s21, s2, 0xffff
	s_load_b128 s[24:27], s[0:1], 0x0
	v_bfe_u32 v44, v0, 20, 10
	s_lshr_b32 s2, s2, 16
	v_mad_u32_u24 v1, v43, s21, v42
	s_mul_i32 s46, s2, s21
	s_mul_u64 s[4:5], s[54:55], s[8:9]
	s_and_b32 s3, s3, 0xffff
	s_lshl_b64 s[50:51], s[4:5], 2
	v_mad_u32 v41, s46, v44, v1
	s_add_nc_u64 s[36:37], s[52:53], s[50:51]
	s_mul_i32 s46, s46, s3
	s_delay_alu instid0(VALU_DEP_1)
	v_cmp_eq_u32_e64 s2, 0, v41
	s_wait_kmcnt 0x0
	s_cmp_lt_i32 s24, 1
	s_cbranch_scc1 .LBB105_22
; %bb.8:
	s_mul_u64 s[4:5], s[58:59], s[8:9]
	s_add_co_i32 s9, s24, -1
	s_lshl_b64 s[4:5], s[4:5], 2
	v_cmp_gt_u32_e64 s3, s25, v41
	v_mov_b32_e32 v1, 0
	s_cmp_lg_u32 s25, 0
	s_mov_b32 s7, 0
	s_add_nc_u64 s[4:5], s[56:57], s[4:5]
	s_cselect_b32 s16, -1, 0
	s_ashr_i32 s11, s47, 31
	s_mov_b32 s10, s47
	s_mov_b32 s6, s7
	;; [unrolled: 1-line block ×3, first 2 shown]
	s_branch .LBB105_11
.LBB105_9:                              ;   in Loop: Header=BB105_11 Depth=1
	s_wait_xcnt 0x0
	s_or_b32 exec_lo, exec_lo, s14
.LBB105_10:                             ;   in Loop: Header=BB105_11 Depth=1
	s_add_co_i32 s6, s6, 1
	s_delay_alu instid0(SALU_CYCLE_1)
	s_cmp_eq_u32 s6, s24
	s_cbranch_scc1 .LBB105_23
.LBB105_11:                             ; =>This Loop Header: Depth=1
                                        ;     Child Loop BB105_18 Depth 2
	s_cmp_ge_i32 s6, s9
	s_cbranch_scc1 .LBB105_14
; %bb.12:                               ;   in Loop: Header=BB105_11 Depth=1
	s_wait_xcnt 0x0
	s_lshl_b64 s[12:13], s[6:7], 2
	s_delay_alu instid0(SALU_CYCLE_1)
	s_add_nc_u64 s[12:13], s[4:5], s[12:13]
	global_load_b32 v0, v1, s[12:13]
	s_wait_loadcnt 0x0
	v_cmp_eq_f32_e32 vcc_lo, 0, v0
	s_cbranch_vccnz .LBB105_14
; %bb.13:                               ;   in Loop: Header=BB105_11 Depth=1
	s_add_co_i32 s42, s42, 1
.LBB105_14:                             ;   in Loop: Header=BB105_11 Depth=1
	s_wait_xcnt 0x0
	s_lshl_b64 s[12:13], s[6:7], 2
	s_delay_alu instid0(SALU_CYCLE_1)
	s_add_nc_u64 s[12:13], s[36:37], s[12:13]
	global_load_b32 v0, v1, s[12:13]
	s_wait_loadcnt 0x0
	v_cmp_ngt_f32_e32 vcc_lo, 0, v0
	s_cbranch_vccnz .LBB105_10
; %bb.15:                               ;   in Loop: Header=BB105_11 Depth=1
	s_and_not1_b32 vcc_lo, exec_lo, s16
	s_cbranch_vccnz .LBB105_20
; %bb.16:                               ;   in Loop: Header=BB105_11 Depth=1
	s_wait_xcnt 0x0
	s_and_saveexec_b32 s17, s3
	s_cbranch_execz .LBB105_19
; %bb.17:                               ;   in Loop: Header=BB105_11 Depth=1
	v_mov_b32_e32 v0, v41
	s_lshl_b64 s[14:15], s[6:7], 3
	s_mov_b32 s18, 0
	s_add_nc_u64 s[14:15], s[34:35], s[14:15]
.LBB105_18:                             ;   Parent Loop BB105_11 Depth=1
                                        ; =>  This Inner Loop Header: Depth=2
	s_delay_alu instid0(VALU_DEP_1) | instskip(SKIP_1) | instid1(VALU_DEP_1)
	v_mul_u64_e32 v[2:3], s[10:11], v[0:1]
	v_add_nc_u32_e32 v0, s46, v0
	v_cmp_le_u32_e32 vcc_lo, s25, v0
	s_or_b32 s18, vcc_lo, s18
	s_delay_alu instid0(VALU_DEP_3)
	v_lshl_add_u64 v[2:3], v[2:3], 3, s[14:15]
	global_load_b64 v[4:5], v[2:3], off
	s_wait_loadcnt 0x0
	v_pk_add_f32 v[4:5], v[4:5], 0 neg_lo:[1,1] neg_hi:[1,1]
	global_store_b64 v[2:3], v[4:5], off
	s_wait_xcnt 0x0
	s_and_not1_b32 exec_lo, exec_lo, s18
	s_cbranch_execnz .LBB105_18
.LBB105_19:                             ;   in Loop: Header=BB105_11 Depth=1
	s_or_b32 exec_lo, exec_lo, s17
	s_wait_storecnt 0x0
	s_barrier_signal -1
	s_barrier_wait -1
.LBB105_20:                             ;   in Loop: Header=BB105_11 Depth=1
	s_wait_xcnt 0x0
	s_and_saveexec_b32 s14, s2
	s_cbranch_execz .LBB105_9
; %bb.21:                               ;   in Loop: Header=BB105_11 Depth=1
	global_load_b32 v0, v1, s[12:13]
	s_wait_loadcnt 0x0
	v_xor_b32_e32 v0, 0x80000000, v0
	global_store_b32 v1, v0, s[12:13]
	s_branch .LBB105_9
.LBB105_22:
	s_mov_b32 s42, 0
.LBB105_23:
	s_delay_alu instid0(SALU_CYCLE_1)
	s_cmp_lt_i32 s42, 1
	s_mov_b32 s2, -1
	s_cbranch_scc0 .LBB105_308
; %bb.24:
	s_mul_i32 s2, s8, s24
	s_mov_b32 s54, 0
	s_lshl_b32 s2, s2, 1
	s_wait_storecnt 0x0
	s_ashr_i32 s3, s2, 31
	s_barrier_signal -1
	s_lshl_b64 s[2:3], s[2:3], 2
	s_cmp_lg_u64 s[40:41], 0
	s_add_nc_u64 s[2:3], s[40:41], s[2:3]
	s_barrier_wait -1
	s_cselect_b32 s41, s3, 0
	s_cselect_b32 s40, s2, 0
	s_delay_alu instid0(SALU_CYCLE_1)
	s_cmp_lg_u64 s[40:41], 0
	s_cbranch_scc0 .LBB105_43
; %bb.25:
	s_or_b32 s2, s26, s25
	s_delay_alu instid0(SALU_CYCLE_1) | instskip(SKIP_4) | instid1(SALU_CYCLE_1)
	s_or_b32 s2, s2, s27
	s_cmp_gt_i32 s24, 0
	s_cselect_b32 s57, -1, 0
	s_cmp_lg_u64 s[52:53], 0
	s_cselect_b32 s3, -1, 0
	s_and_b32 s48, s57, s3
	s_cmp_eq_u32 s2, 0
	s_cbranch_scc1 .LBB105_44
; %bb.26:
	s_mov_b32 s58, -1
	s_mov_b32 s56, 0
	s_and_b32 vcc_lo, exec_lo, s48
	s_cbranch_vccz .LBB105_142
; %bb.27:
	s_mov_b32 s2, exec_lo
	s_barrier_signal -1
	s_barrier_wait -1
	s_wait_xcnt 0x0
	v_cmpx_gt_u32_e64 s24, v41
	s_cbranch_execz .LBB105_30
; %bb.28:
	v_mov_b32_e32 v0, v41
	s_mov_b32 s3, 0
.LBB105_29:                             ; =>This Inner Loop Header: Depth=1
	global_store_b32 v0, v0, s[40:41] scale_offset
	s_wait_xcnt 0x0
	v_add_nc_u32_e32 v0, s46, v0
	s_delay_alu instid0(VALU_DEP_1) | instskip(SKIP_1) | instid1(SALU_CYCLE_1)
	v_cmp_le_u32_e32 vcc_lo, s24, v0
	s_or_b32 s3, vcc_lo, s3
	s_and_not1_b32 exec_lo, exec_lo, s3
	s_cbranch_execnz .LBB105_29
.LBB105_30:
	s_or_b32 exec_lo, exec_lo, s2
	v_or3_b32 v0, v43, v44, v42
	s_mov_b32 s12, exec_lo
	s_wait_storecnt 0x0
	s_barrier_signal -1
	s_barrier_wait -1
	v_cmpx_eq_u32_e32 0, v0
	s_cbranch_execz .LBB105_126
; %bb.31:
	s_cmp_lt_u32 s24, 0x2be
	s_cbranch_scc1 .LBB105_45
; %bb.32:
	v_mov_b32_e32 v0, 0
	s_mov_b64 s[2:3], 0xfffffffffffff50c
	s_add_nc_u64 s[4:5], s[40:41], 0xaf4
	s_movk_i32 s13, 0x2bd
	s_movk_i32 s14, 0x57a
	s_mov_b64 s[6:7], s[36:37]
	s_branch .LBB105_34
.LBB105_33:                             ;   in Loop: Header=BB105_34 Depth=1
	v_mov_b32_e32 v3, s8
	s_add_co_i32 s13, s13, 1
	s_add_co_i32 s14, s14, 1
	s_add_nc_u64 s[4:5], s[4:5], 4
	s_add_nc_u64 s[6:7], s[6:7], 4
	s_cmp_eq_u32 s13, s24
	s_clause 0x1
	global_store_b32 v3, v1, s[36:37] scale_offset
	global_store_b32 v3, v2, s[40:41] scale_offset
	s_cbranch_scc1 .LBB105_45
.LBB105_34:                             ; =>This Loop Header: Depth=1
                                        ;     Child Loop BB105_35 Depth 2
	s_wait_xcnt 0x0
	v_mov_b32_e32 v3, s13
	s_mov_b64 s[8:9], s[6:7]
	s_mov_b64 s[10:11], s[4:5]
	s_mov_b32 s15, s14
	s_clause 0x1
	global_load_b32 v1, v3, s[36:37] scale_offset
	global_load_b32 v2, v3, s[40:41] scale_offset
.LBB105_35:                             ;   Parent Loop BB105_34 Depth=1
                                        ; =>  This Inner Loop Header: Depth=2
	global_load_b32 v3, v0, s[8:9]
	s_mov_b32 s17, -1
	s_mov_b32 s18, -1
                                        ; implicit-def: $sgpr16
	s_wait_loadcnt 0x0
	v_cmp_nlt_f32_e32 vcc_lo, v3, v1
	s_cbranch_vccnz .LBB105_37
; %bb.36:                               ;   in Loop: Header=BB105_35 Depth=2
	global_load_b32 v4, v0, s[10:11] offset:-2804
	s_add_co_i32 s16, s15, 0xfffffd43
	s_add_nc_u64 s[30:31], s[10:11], s[2:3]
	s_cmp_lt_i32 s16, 0x57a
	global_store_b32 v0, v3, s[8:9] offset:2804
	s_wait_xcnt 0x0
	s_add_nc_u64 s[8:9], s[8:9], s[2:3]
	s_mov_b32 s17, 0
	s_cselect_b32 s18, -1, 0
	s_wait_loadcnt 0x0
	global_store_b32 v0, v4, s[10:11]
	s_wait_xcnt 0x0
	s_mov_b64 s[10:11], s[30:31]
.LBB105_37:                             ;   in Loop: Header=BB105_35 Depth=2
	s_and_not1_b32 vcc_lo, exec_lo, s18
	s_cbranch_vccz .LBB105_39
; %bb.38:                               ;   in Loop: Header=BB105_35 Depth=2
	s_mov_b32 s15, s16
	s_branch .LBB105_35
.LBB105_39:                             ;   in Loop: Header=BB105_34 Depth=1
	s_and_not1_b32 vcc_lo, exec_lo, s17
	s_wait_xcnt 0x0
	s_mov_b32 s9, -1
                                        ; implicit-def: $sgpr8
	s_cbranch_vccz .LBB105_41
; %bb.40:                               ;   in Loop: Header=BB105_34 Depth=1
	s_add_co_i32 s8, s16, 0xfffffd43
	s_mov_b32 s9, 0
.LBB105_41:                             ;   in Loop: Header=BB105_34 Depth=1
	s_delay_alu instid0(SALU_CYCLE_1)
	s_and_not1_b32 vcc_lo, exec_lo, s9
	s_cbranch_vccnz .LBB105_33
; %bb.42:                               ;   in Loop: Header=BB105_34 Depth=1
	s_add_co_i32 s8, s15, 0xfffffd43
	s_branch .LBB105_33
.LBB105_43:
	s_branch .LBB105_284
.LBB105_44:
	s_mov_b32 s56, 0
	s_cbranch_execnz .LBB105_168
	s_branch .LBB105_279
.LBB105_45:
	s_cmp_lt_i32 s24, 0x12e
	s_cbranch_scc1 .LBB105_57
; %bb.46:
	v_mov_b32_e32 v0, 0
	s_mov_b64 s[2:3], 0xfffffffffffffb4c
	s_add_nc_u64 s[4:5], s[40:41], 0x4b4
	s_movk_i32 s13, 0x12d
	s_movk_i32 s14, 0x25a
	s_mov_b64 s[6:7], s[36:37]
	s_branch .LBB105_48
.LBB105_47:                             ;   in Loop: Header=BB105_48 Depth=1
	v_mov_b32_e32 v3, s8
	s_add_co_i32 s13, s13, 1
	s_add_co_i32 s14, s14, 1
	s_add_nc_u64 s[4:5], s[4:5], 4
	s_add_nc_u64 s[6:7], s[6:7], 4
	s_cmp_lg_u32 s13, s24
	s_clause 0x1
	global_store_b32 v3, v1, s[36:37] scale_offset
	global_store_b32 v3, v2, s[40:41] scale_offset
	s_cbranch_scc0 .LBB105_57
.LBB105_48:                             ; =>This Loop Header: Depth=1
                                        ;     Child Loop BB105_49 Depth 2
	s_wait_xcnt 0x0
	v_mov_b32_e32 v3, s13
	s_mov_b64 s[8:9], s[6:7]
	s_mov_b64 s[10:11], s[4:5]
	s_mov_b32 s15, s14
	s_clause 0x1
	global_load_b32 v1, v3, s[36:37] scale_offset
	global_load_b32 v2, v3, s[40:41] scale_offset
.LBB105_49:                             ;   Parent Loop BB105_48 Depth=1
                                        ; =>  This Inner Loop Header: Depth=2
	global_load_b32 v3, v0, s[8:9]
	s_mov_b32 s17, -1
	s_mov_b32 s18, -1
                                        ; implicit-def: $sgpr16
	s_wait_loadcnt 0x0
	v_cmp_nlt_f32_e32 vcc_lo, v3, v1
	s_cbranch_vccnz .LBB105_51
; %bb.50:                               ;   in Loop: Header=BB105_49 Depth=2
	global_load_b32 v4, v0, s[10:11] offset:-1204
	s_add_co_i32 s16, s15, 0xfffffed3
	s_add_nc_u64 s[30:31], s[10:11], s[2:3]
	s_cmp_lt_i32 s16, 0x25a
	global_store_b32 v0, v3, s[8:9] offset:1204
	s_wait_xcnt 0x0
	s_add_nc_u64 s[8:9], s[8:9], s[2:3]
	s_mov_b32 s17, 0
	s_cselect_b32 s18, -1, 0
	s_wait_loadcnt 0x0
	global_store_b32 v0, v4, s[10:11]
	s_wait_xcnt 0x0
	s_mov_b64 s[10:11], s[30:31]
.LBB105_51:                             ;   in Loop: Header=BB105_49 Depth=2
	s_and_not1_b32 vcc_lo, exec_lo, s18
	s_cbranch_vccz .LBB105_53
; %bb.52:                               ;   in Loop: Header=BB105_49 Depth=2
	s_mov_b32 s15, s16
	s_branch .LBB105_49
.LBB105_53:                             ;   in Loop: Header=BB105_48 Depth=1
	s_and_not1_b32 vcc_lo, exec_lo, s17
	s_wait_xcnt 0x0
	s_mov_b32 s9, -1
                                        ; implicit-def: $sgpr8
	s_cbranch_vccz .LBB105_55
; %bb.54:                               ;   in Loop: Header=BB105_48 Depth=1
	s_add_co_i32 s8, s16, 0xfffffed3
	s_mov_b32 s9, 0
.LBB105_55:                             ;   in Loop: Header=BB105_48 Depth=1
	s_delay_alu instid0(SALU_CYCLE_1)
	s_and_not1_b32 vcc_lo, exec_lo, s9
	s_cbranch_vccnz .LBB105_47
; %bb.56:                               ;   in Loop: Header=BB105_48 Depth=1
	s_add_co_i32 s8, s15, 0xfffffed3
	s_branch .LBB105_47
.LBB105_57:
	s_cmp_lt_i32 s24, 0x85
	s_cbranch_scc1 .LBB105_69
; %bb.58:
	v_mov_b32_e32 v0, 0
	s_mov_b64 s[2:3], 0xfffffffffffffdf0
	s_add_nc_u64 s[4:5], s[40:41], 0x210
	s_movk_i32 s13, 0x84
	s_movk_i32 s14, 0x108
	s_mov_b64 s[6:7], s[36:37]
	s_branch .LBB105_60
.LBB105_59:                             ;   in Loop: Header=BB105_60 Depth=1
	v_mov_b32_e32 v3, s8
	s_add_co_i32 s13, s13, 1
	s_add_co_i32 s14, s14, 1
	s_add_nc_u64 s[4:5], s[4:5], 4
	s_add_nc_u64 s[6:7], s[6:7], 4
	s_cmp_lg_u32 s13, s24
	s_clause 0x1
	global_store_b32 v3, v1, s[36:37] scale_offset
	global_store_b32 v3, v2, s[40:41] scale_offset
	s_cbranch_scc0 .LBB105_69
.LBB105_60:                             ; =>This Loop Header: Depth=1
                                        ;     Child Loop BB105_61 Depth 2
	s_wait_xcnt 0x0
	v_mov_b32_e32 v3, s13
	s_mov_b64 s[8:9], s[6:7]
	s_mov_b64 s[10:11], s[4:5]
	s_mov_b32 s15, s14
	s_clause 0x1
	global_load_b32 v1, v3, s[36:37] scale_offset
	global_load_b32 v2, v3, s[40:41] scale_offset
.LBB105_61:                             ;   Parent Loop BB105_60 Depth=1
                                        ; =>  This Inner Loop Header: Depth=2
	global_load_b32 v3, v0, s[8:9]
	s_mov_b32 s17, -1
	s_mov_b32 s18, -1
                                        ; implicit-def: $sgpr16
	s_wait_loadcnt 0x0
	v_cmp_nlt_f32_e32 vcc_lo, v3, v1
	s_cbranch_vccnz .LBB105_63
; %bb.62:                               ;   in Loop: Header=BB105_61 Depth=2
	global_load_b32 v4, v0, s[10:11] offset:-528
	s_add_co_i32 s16, s15, 0xffffff7c
	s_add_nc_u64 s[30:31], s[10:11], s[2:3]
	s_cmp_lt_i32 s16, 0x108
	global_store_b32 v0, v3, s[8:9] offset:528
	s_wait_xcnt 0x0
	s_add_nc_u64 s[8:9], s[8:9], s[2:3]
	s_mov_b32 s17, 0
	s_cselect_b32 s18, -1, 0
	s_wait_loadcnt 0x0
	global_store_b32 v0, v4, s[10:11]
	s_wait_xcnt 0x0
	s_mov_b64 s[10:11], s[30:31]
.LBB105_63:                             ;   in Loop: Header=BB105_61 Depth=2
	s_and_not1_b32 vcc_lo, exec_lo, s18
	s_cbranch_vccz .LBB105_65
; %bb.64:                               ;   in Loop: Header=BB105_61 Depth=2
	s_mov_b32 s15, s16
	s_branch .LBB105_61
.LBB105_65:                             ;   in Loop: Header=BB105_60 Depth=1
	s_and_not1_b32 vcc_lo, exec_lo, s17
	s_wait_xcnt 0x0
	s_mov_b32 s9, -1
                                        ; implicit-def: $sgpr8
	s_cbranch_vccz .LBB105_67
; %bb.66:                               ;   in Loop: Header=BB105_60 Depth=1
	s_add_co_i32 s8, s16, 0xffffff7c
	s_mov_b32 s9, 0
.LBB105_67:                             ;   in Loop: Header=BB105_60 Depth=1
	s_delay_alu instid0(SALU_CYCLE_1)
	s_and_not1_b32 vcc_lo, exec_lo, s9
	s_cbranch_vccnz .LBB105_59
; %bb.68:                               ;   in Loop: Header=BB105_60 Depth=1
	s_add_co_i32 s8, s15, 0xffffff7c
	s_branch .LBB105_59
.LBB105_69:
	s_cmp_lt_i32 s24, 58
	s_cbranch_scc1 .LBB105_81
; %bb.70:
	v_mov_b32_e32 v0, 0
	s_mov_b64 s[2:3], 0xffffffffffffff1c
	s_add_nc_u64 s[4:5], s[40:41], 0xe4
	s_mov_b32 s13, 57
	s_movk_i32 s14, 0x72
	s_mov_b64 s[6:7], s[36:37]
	s_branch .LBB105_72
.LBB105_71:                             ;   in Loop: Header=BB105_72 Depth=1
	v_mov_b32_e32 v3, s8
	s_add_co_i32 s13, s13, 1
	s_add_co_i32 s14, s14, 1
	s_add_nc_u64 s[4:5], s[4:5], 4
	s_add_nc_u64 s[6:7], s[6:7], 4
	s_cmp_lg_u32 s13, s24
	s_clause 0x1
	global_store_b32 v3, v1, s[36:37] scale_offset
	global_store_b32 v3, v2, s[40:41] scale_offset
	s_cbranch_scc0 .LBB105_81
.LBB105_72:                             ; =>This Loop Header: Depth=1
                                        ;     Child Loop BB105_73 Depth 2
	s_wait_xcnt 0x0
	v_mov_b32_e32 v3, s13
	s_mov_b64 s[8:9], s[6:7]
	s_mov_b64 s[10:11], s[4:5]
	s_mov_b32 s15, s14
	s_clause 0x1
	global_load_b32 v1, v3, s[36:37] scale_offset
	global_load_b32 v2, v3, s[40:41] scale_offset
.LBB105_73:                             ;   Parent Loop BB105_72 Depth=1
                                        ; =>  This Inner Loop Header: Depth=2
	global_load_b32 v3, v0, s[8:9]
	s_mov_b32 s17, -1
	s_mov_b32 s18, -1
                                        ; implicit-def: $sgpr16
	s_wait_loadcnt 0x0
	v_cmp_nlt_f32_e32 vcc_lo, v3, v1
	s_cbranch_vccnz .LBB105_75
; %bb.74:                               ;   in Loop: Header=BB105_73 Depth=2
	global_load_b32 v4, v0, s[10:11] offset:-228
	s_sub_co_i32 s16, s15, 57
	s_add_nc_u64 s[30:31], s[10:11], s[2:3]
	s_cmp_lt_i32 s16, 0x72
	global_store_b32 v0, v3, s[8:9] offset:228
	s_wait_xcnt 0x0
	s_add_nc_u64 s[8:9], s[8:9], s[2:3]
	s_mov_b32 s17, 0
	s_cselect_b32 s18, -1, 0
	s_wait_loadcnt 0x0
	global_store_b32 v0, v4, s[10:11]
	s_wait_xcnt 0x0
	s_mov_b64 s[10:11], s[30:31]
.LBB105_75:                             ;   in Loop: Header=BB105_73 Depth=2
	s_and_not1_b32 vcc_lo, exec_lo, s18
	s_cbranch_vccz .LBB105_77
; %bb.76:                               ;   in Loop: Header=BB105_73 Depth=2
	s_mov_b32 s15, s16
	s_branch .LBB105_73
.LBB105_77:                             ;   in Loop: Header=BB105_72 Depth=1
	s_and_not1_b32 vcc_lo, exec_lo, s17
	s_wait_xcnt 0x0
	s_mov_b32 s9, -1
                                        ; implicit-def: $sgpr8
	s_cbranch_vccz .LBB105_79
; %bb.78:                               ;   in Loop: Header=BB105_72 Depth=1
	s_sub_co_i32 s8, s16, 57
	s_mov_b32 s9, 0
.LBB105_79:                             ;   in Loop: Header=BB105_72 Depth=1
	s_delay_alu instid0(SALU_CYCLE_1)
	s_and_not1_b32 vcc_lo, exec_lo, s9
	s_cbranch_vccnz .LBB105_71
; %bb.80:                               ;   in Loop: Header=BB105_72 Depth=1
	s_sub_co_i32 s8, s15, 57
	s_branch .LBB105_71
.LBB105_81:
	s_cmp_lt_i32 s24, 24
	s_cbranch_scc1 .LBB105_93
; %bb.82:
	v_mov_b32_e32 v0, 0
	s_mov_b64 s[2:3], 0xffffffffffffffa4
	s_add_nc_u64 s[4:5], s[40:41], 0x5c
	s_mov_b32 s13, 23
	s_mov_b32 s14, 46
	s_mov_b64 s[6:7], s[36:37]
	s_branch .LBB105_84
.LBB105_83:                             ;   in Loop: Header=BB105_84 Depth=1
	v_mov_b32_e32 v3, s8
	s_add_co_i32 s13, s13, 1
	s_add_co_i32 s14, s14, 1
	s_add_nc_u64 s[4:5], s[4:5], 4
	s_add_nc_u64 s[6:7], s[6:7], 4
	s_cmp_lg_u32 s13, s24
	s_clause 0x1
	global_store_b32 v3, v1, s[36:37] scale_offset
	global_store_b32 v3, v2, s[40:41] scale_offset
	s_cbranch_scc0 .LBB105_93
.LBB105_84:                             ; =>This Loop Header: Depth=1
                                        ;     Child Loop BB105_85 Depth 2
	s_wait_xcnt 0x0
	v_mov_b32_e32 v3, s13
	s_mov_b64 s[8:9], s[6:7]
	s_mov_b64 s[10:11], s[4:5]
	s_mov_b32 s15, s14
	s_clause 0x1
	global_load_b32 v1, v3, s[36:37] scale_offset
	global_load_b32 v2, v3, s[40:41] scale_offset
.LBB105_85:                             ;   Parent Loop BB105_84 Depth=1
                                        ; =>  This Inner Loop Header: Depth=2
	global_load_b32 v3, v0, s[8:9]
	s_mov_b32 s17, -1
	s_mov_b32 s18, -1
                                        ; implicit-def: $sgpr16
	s_wait_loadcnt 0x0
	v_cmp_nlt_f32_e32 vcc_lo, v3, v1
	s_cbranch_vccnz .LBB105_87
; %bb.86:                               ;   in Loop: Header=BB105_85 Depth=2
	global_load_b32 v4, v0, s[10:11] offset:-92
	s_sub_co_i32 s16, s15, 23
	s_add_nc_u64 s[30:31], s[10:11], s[2:3]
	s_cmp_lt_i32 s16, 46
	global_store_b32 v0, v3, s[8:9] offset:92
	s_wait_xcnt 0x0
	s_add_nc_u64 s[8:9], s[8:9], s[2:3]
	s_mov_b32 s17, 0
	s_cselect_b32 s18, -1, 0
	s_wait_loadcnt 0x0
	global_store_b32 v0, v4, s[10:11]
	s_wait_xcnt 0x0
	s_mov_b64 s[10:11], s[30:31]
.LBB105_87:                             ;   in Loop: Header=BB105_85 Depth=2
	s_and_not1_b32 vcc_lo, exec_lo, s18
	s_cbranch_vccz .LBB105_89
; %bb.88:                               ;   in Loop: Header=BB105_85 Depth=2
	s_mov_b32 s15, s16
	s_branch .LBB105_85
.LBB105_89:                             ;   in Loop: Header=BB105_84 Depth=1
	s_and_not1_b32 vcc_lo, exec_lo, s17
	s_wait_xcnt 0x0
	s_mov_b32 s9, -1
                                        ; implicit-def: $sgpr8
	s_cbranch_vccz .LBB105_91
; %bb.90:                               ;   in Loop: Header=BB105_84 Depth=1
	s_sub_co_i32 s8, s16, 23
	s_mov_b32 s9, 0
.LBB105_91:                             ;   in Loop: Header=BB105_84 Depth=1
	s_delay_alu instid0(SALU_CYCLE_1)
	s_and_not1_b32 vcc_lo, exec_lo, s9
	s_cbranch_vccnz .LBB105_83
; %bb.92:                               ;   in Loop: Header=BB105_84 Depth=1
	s_sub_co_i32 s8, s15, 23
	s_branch .LBB105_83
.LBB105_93:
	s_cmp_lt_i32 s24, 11
	s_cbranch_scc1 .LBB105_105
; %bb.94:
	v_mov_b32_e32 v0, 0
	s_mov_b64 s[2:3], 0xffffffffffffffd8
	s_add_nc_u64 s[4:5], s[40:41], 40
	s_mov_b32 s13, 10
	s_mov_b32 s14, 20
	s_mov_b64 s[6:7], s[36:37]
	s_branch .LBB105_96
.LBB105_95:                             ;   in Loop: Header=BB105_96 Depth=1
	v_mov_b32_e32 v3, s8
	s_add_co_i32 s13, s13, 1
	s_add_co_i32 s14, s14, 1
	s_add_nc_u64 s[4:5], s[4:5], 4
	s_add_nc_u64 s[6:7], s[6:7], 4
	s_cmp_lg_u32 s13, s24
	s_clause 0x1
	global_store_b32 v3, v1, s[36:37] scale_offset
	global_store_b32 v3, v2, s[40:41] scale_offset
	s_cbranch_scc0 .LBB105_105
.LBB105_96:                             ; =>This Loop Header: Depth=1
                                        ;     Child Loop BB105_97 Depth 2
	s_wait_xcnt 0x0
	v_mov_b32_e32 v3, s13
	s_mov_b64 s[8:9], s[6:7]
	s_mov_b64 s[10:11], s[4:5]
	s_mov_b32 s15, s14
	s_clause 0x1
	global_load_b32 v1, v3, s[36:37] scale_offset
	global_load_b32 v2, v3, s[40:41] scale_offset
.LBB105_97:                             ;   Parent Loop BB105_96 Depth=1
                                        ; =>  This Inner Loop Header: Depth=2
	global_load_b32 v3, v0, s[8:9]
	s_mov_b32 s17, -1
	s_mov_b32 s18, -1
                                        ; implicit-def: $sgpr16
	s_wait_loadcnt 0x0
	v_cmp_nlt_f32_e32 vcc_lo, v3, v1
	s_cbranch_vccnz .LBB105_99
; %bb.98:                               ;   in Loop: Header=BB105_97 Depth=2
	global_load_b32 v4, v0, s[10:11] offset:-40
	s_add_co_i32 s16, s15, -10
	s_add_nc_u64 s[30:31], s[10:11], s[2:3]
	s_cmp_lt_i32 s16, 20
	global_store_b32 v0, v3, s[8:9] offset:40
	s_wait_xcnt 0x0
	s_add_nc_u64 s[8:9], s[8:9], s[2:3]
	s_mov_b32 s17, 0
	s_cselect_b32 s18, -1, 0
	s_wait_loadcnt 0x0
	global_store_b32 v0, v4, s[10:11]
	s_wait_xcnt 0x0
	s_mov_b64 s[10:11], s[30:31]
.LBB105_99:                             ;   in Loop: Header=BB105_97 Depth=2
	s_and_not1_b32 vcc_lo, exec_lo, s18
	s_cbranch_vccz .LBB105_101
; %bb.100:                              ;   in Loop: Header=BB105_97 Depth=2
	s_mov_b32 s15, s16
	s_branch .LBB105_97
.LBB105_101:                            ;   in Loop: Header=BB105_96 Depth=1
	s_and_not1_b32 vcc_lo, exec_lo, s17
	s_wait_xcnt 0x0
	s_mov_b32 s9, -1
                                        ; implicit-def: $sgpr8
	s_cbranch_vccz .LBB105_103
; %bb.102:                              ;   in Loop: Header=BB105_96 Depth=1
	s_add_co_i32 s8, s16, -10
	s_mov_b32 s9, 0
.LBB105_103:                            ;   in Loop: Header=BB105_96 Depth=1
	s_delay_alu instid0(SALU_CYCLE_1)
	s_and_not1_b32 vcc_lo, exec_lo, s9
	s_cbranch_vccnz .LBB105_95
; %bb.104:                              ;   in Loop: Header=BB105_96 Depth=1
	s_add_co_i32 s8, s15, -10
	s_branch .LBB105_95
.LBB105_105:
	s_cmp_lt_i32 s24, 5
	s_cbranch_scc1 .LBB105_117
; %bb.106:
	v_mov_b32_e32 v0, 0
	s_add_nc_u64 s[4:5], s[52:53], s[50:51]
	s_add_nc_u64 s[2:3], s[40:41], 16
	;; [unrolled: 1-line block ×3, first 2 shown]
	s_mov_b32 s10, 4
	s_mov_b32 s11, 8
	s_branch .LBB105_108
.LBB105_107:                            ;   in Loop: Header=BB105_108 Depth=1
	v_mov_b32_e32 v3, s6
	s_add_co_i32 s10, s10, 1
	s_add_co_i32 s11, s11, 1
	s_add_nc_u64 s[2:3], s[2:3], 4
	s_add_nc_u64 s[4:5], s[4:5], 4
	s_cmp_lg_u32 s10, s24
	s_clause 0x1
	global_store_b32 v3, v1, s[36:37] scale_offset
	global_store_b32 v3, v2, s[40:41] scale_offset
	s_cbranch_scc0 .LBB105_117
.LBB105_108:                            ; =>This Loop Header: Depth=1
                                        ;     Child Loop BB105_109 Depth 2
	s_wait_xcnt 0x0
	v_mov_b32_e32 v3, s10
	s_mov_b64 s[6:7], s[4:5]
	s_mov_b64 s[8:9], s[2:3]
	s_mov_b32 s13, s11
	s_clause 0x1
	global_load_b32 v1, v3, s[36:37] scale_offset
	global_load_b32 v2, v3, s[40:41] scale_offset
.LBB105_109:                            ;   Parent Loop BB105_108 Depth=1
                                        ; =>  This Inner Loop Header: Depth=2
	global_load_b32 v3, v0, s[6:7] offset:-16
	s_mov_b32 s15, -1
	s_mov_b32 s16, -1
                                        ; implicit-def: $sgpr14
	s_wait_loadcnt 0x0
	v_cmp_nlt_f32_e32 vcc_lo, v3, v1
	s_cbranch_vccnz .LBB105_111
; %bb.110:                              ;   in Loop: Header=BB105_109 Depth=2
	global_load_b32 v4, v0, s[8:9] offset:-16
	s_add_co_i32 s14, s13, -4
	s_add_nc_u64 s[18:19], s[8:9], -16
	s_cmp_lt_i32 s14, 8
	s_mov_b32 s15, 0
	s_cselect_b32 s16, -1, 0
	global_store_b32 v0, v3, s[6:7]
	s_wait_loadcnt 0x0
	global_store_b32 v0, v4, s[8:9]
	s_wait_xcnt 0x0
	s_mov_b64 s[8:9], s[18:19]
.LBB105_111:                            ;   in Loop: Header=BB105_109 Depth=2
	s_and_not1_b32 vcc_lo, exec_lo, s16
	s_wait_xcnt 0x0
	s_add_nc_u64 s[6:7], s[6:7], -16
	s_cbranch_vccz .LBB105_113
; %bb.112:                              ;   in Loop: Header=BB105_109 Depth=2
	s_mov_b32 s13, s14
	s_branch .LBB105_109
.LBB105_113:                            ;   in Loop: Header=BB105_108 Depth=1
	s_and_not1_b32 vcc_lo, exec_lo, s15
	s_mov_b32 s7, -1
                                        ; implicit-def: $sgpr6
	s_cbranch_vccz .LBB105_115
; %bb.114:                              ;   in Loop: Header=BB105_108 Depth=1
	s_add_co_i32 s6, s14, -4
	s_mov_b32 s7, 0
.LBB105_115:                            ;   in Loop: Header=BB105_108 Depth=1
	s_delay_alu instid0(SALU_CYCLE_1)
	s_and_not1_b32 vcc_lo, exec_lo, s7
	s_cbranch_vccnz .LBB105_107
; %bb.116:                              ;   in Loop: Header=BB105_108 Depth=1
	s_add_co_i32 s6, s13, -4
	s_branch .LBB105_107
.LBB105_117:
	s_cmp_lt_i32 s24, 2
	s_mov_b32 s10, 2
	s_cbranch_scc1 .LBB105_126
; %bb.118:
	v_mov_b32_e32 v0, 0
	s_add_nc_u64 s[4:5], s[52:53], s[50:51]
	s_add_nc_u64 s[2:3], s[40:41], 4
	;; [unrolled: 1-line block ×3, first 2 shown]
	s_mov_b32 s11, 1
	s_branch .LBB105_120
.LBB105_119:                            ;   in Loop: Header=BB105_120 Depth=1
	v_mov_b32_e32 v3, s6
	s_add_co_i32 s11, s11, 1
	s_add_co_i32 s10, s10, 1
	s_add_nc_u64 s[2:3], s[2:3], 4
	s_add_nc_u64 s[4:5], s[4:5], 4
	s_cmp_eq_u32 s11, s24
	s_clause 0x1
	global_store_b32 v3, v1, s[36:37] scale_offset
	global_store_b32 v3, v2, s[40:41] scale_offset
	s_cbranch_scc1 .LBB105_126
.LBB105_120:                            ; =>This Loop Header: Depth=1
                                        ;     Child Loop BB105_122 Depth 2
	s_wait_xcnt 0x0
	v_mov_b32_e32 v3, s11
	s_mov_b64 s[6:7], s[4:5]
	s_mov_b64 s[8:9], s[2:3]
	s_mov_b32 s14, s10
	s_clause 0x1
	global_load_b32 v1, v3, s[36:37] scale_offset
	global_load_b32 v2, v3, s[40:41] scale_offset
	s_branch .LBB105_122
.LBB105_121:                            ;   in Loop: Header=BB105_122 Depth=2
	s_and_not1_b32 vcc_lo, exec_lo, s16
	s_wait_xcnt 0x0
	s_add_nc_u64 s[6:7], s[6:7], -4
	s_cbranch_vccz .LBB105_124
.LBB105_122:                            ;   Parent Loop BB105_120 Depth=1
                                        ; =>  This Inner Loop Header: Depth=2
	global_load_b32 v3, v0, s[6:7] offset:-4
	s_mov_b32 s13, s14
	s_mov_b32 s15, -1
	s_mov_b32 s16, -1
                                        ; implicit-def: $sgpr14
	s_wait_loadcnt 0x0
	v_cmp_nlt_f32_e32 vcc_lo, v3, v1
	s_cbranch_vccnz .LBB105_121
; %bb.123:                              ;   in Loop: Header=BB105_122 Depth=2
	global_load_b32 v4, v0, s[8:9] offset:-4
	s_add_co_i32 s14, s13, -1
	s_add_nc_u64 s[18:19], s[8:9], -4
	s_cmp_lt_i32 s14, 2
	s_mov_b32 s15, 0
	s_cselect_b32 s16, -1, 0
	global_store_b32 v0, v3, s[6:7]
	s_wait_loadcnt 0x0
	global_store_b32 v0, v4, s[8:9]
	s_wait_xcnt 0x0
	s_mov_b64 s[8:9], s[18:19]
	s_branch .LBB105_121
.LBB105_124:                            ;   in Loop: Header=BB105_120 Depth=1
	s_and_b32 vcc_lo, exec_lo, s15
	s_mov_b32 s6, 0
	s_cbranch_vccz .LBB105_119
; %bb.125:                              ;   in Loop: Header=BB105_120 Depth=1
	s_add_co_i32 s6, s13, -1
	s_branch .LBB105_119
.LBB105_126:
	s_wait_xcnt 0x0
	s_or_b32 exec_lo, exec_lo, s12
	s_cmp_lt_i32 s24, 2
	s_mov_b32 s58, 0
	s_cselect_b32 s5, -1, 0
	s_wait_storecnt 0x0
	s_and_b32 vcc_lo, exec_lo, s5
	s_barrier_signal -1
	s_barrier_wait -1
	s_cbranch_vccnz .LBB105_134
; %bb.127:
	s_add_co_i32 s4, s24, -1
	s_mov_b32 s5, -1
	s_mov_b32 s2, 0
	s_mov_b32 s3, exec_lo
	v_cmpx_gt_u32_e64 s4, v41
	s_cbranch_execz .LBB105_136
; %bb.128:
	v_dual_mov_b32 v1, 0 :: v_dual_mov_b32 v0, v41
	s_mov_b32 s5, 0
                                        ; implicit-def: $sgpr6
	s_branch .LBB105_130
.LBB105_129:                            ;   in Loop: Header=BB105_130 Depth=1
	s_or_b32 exec_lo, exec_lo, s9
	s_xor_b32 s7, s8, -1
	s_and_b32 s2, exec_lo, s2
	s_delay_alu instid0(SALU_CYCLE_1) | instskip(SKIP_2) | instid1(SALU_CYCLE_1)
	s_or_b32 s5, s2, s5
	s_and_not1_b32 s2, s6, exec_lo
	s_and_b32 s6, s7, exec_lo
	s_or_b32 s6, s2, s6
	s_and_not1_b32 exec_lo, exec_lo, s5
	s_cbranch_execz .LBB105_135
.LBB105_130:                            ; =>This Inner Loop Header: Depth=1
	global_load_b32 v2, v0, s[36:37] scale_offset
	s_mov_b32 s8, exec_lo
	s_wait_loadcnt 0x0
	v_cmp_u_f32_e64 s7, v2, v2
	v_cmpx_o_f32_e32 v2, v2
	s_cbranch_execz .LBB105_132
; %bb.131:                              ;   in Loop: Header=BB105_130 Depth=1
	v_lshl_add_u64 v[4:5], v[0:1], 2, s[36:37]
	s_and_not1_b32 s7, s7, exec_lo
	global_load_b32 v3, v[4:5], off offset:4
	s_wait_loadcnt 0x0
	v_cmp_u_f32_e32 vcc_lo, v3, v3
	v_cmp_ge_f32_e64 s2, v2, v3
	s_or_b32 s2, vcc_lo, s2
	s_delay_alu instid0(SALU_CYCLE_1) | instskip(NEXT) | instid1(SALU_CYCLE_1)
	s_and_b32 s2, s2, exec_lo
	s_or_b32 s7, s7, s2
.LBB105_132:                            ;   in Loop: Header=BB105_130 Depth=1
	s_or_b32 exec_lo, exec_lo, s8
	s_mov_b32 s2, -1
	s_mov_b32 s8, -1
	s_and_saveexec_b32 s9, s7
	s_cbranch_execz .LBB105_129
; %bb.133:                              ;   in Loop: Header=BB105_130 Depth=1
	v_add_nc_u32_e32 v0, s46, v0
	s_xor_b32 s8, exec_lo, -1
	s_delay_alu instid0(VALU_DEP_1)
	v_cmp_le_u32_e32 vcc_lo, s4, v0
	s_or_not1_b32 s2, vcc_lo, exec_lo
	s_branch .LBB105_129
.LBB105_134:
	s_mov_b32 s2, 0
	s_branch .LBB105_137
.LBB105_135:
	s_or_b32 exec_lo, exec_lo, s5
	s_delay_alu instid0(SALU_CYCLE_1)
	s_mov_b32 s2, exec_lo
	s_or_not1_b32 s5, s6, exec_lo
.LBB105_136:
	s_or_b32 exec_lo, exec_lo, s3
.LBB105_137:
	s_and_saveexec_b32 s3, s5
	s_cbranch_execz .LBB105_139
; %bb.138:
	s_mov_b32 s58, exec_lo
	s_barrier_signal -1
	s_barrier_wait -1
	s_and_not1_b32 s2, s2, exec_lo
.LBB105_139:
	s_or_b32 exec_lo, exec_lo, s3
	s_mov_b32 s54, 0
	s_and_saveexec_b32 s59, s2
	s_cbranch_execz .LBB105_141
; %bb.140:
	s_get_pc_i64 s[2:3]
	s_add_nc_u64 s[2:3], s[2:3], __PRETTY_FUNCTION__._ZN9rocsolver6v33100L21shell_sort_descendingIfiEEvT0_PT_PS2_@rel64+4
	s_add_nc_u64 s[8:9], s[0:1], 0x90
	v_dual_mov_b32 v0, s2 :: v_dual_mov_b32 v1, s3
	s_get_pc_i64 s[4:5]
	s_add_nc_u64 s[4:5], s[4:5], __assert_fail@rel64+4
	s_mov_b64 s[54:55], s[0:1]
	s_swap_pc_i64 s[30:31], s[4:5]
	s_mov_b64 s[0:1], s[54:55]
	s_mov_b32 s54, exec_lo
.LBB105_141:
	s_or_b32 exec_lo, exec_lo, s59
.LBB105_142:
	s_wait_xcnt 0x0
	s_and_saveexec_b32 s20, s58
	s_cbranch_execz .LBB105_167
; %bb.143:
	s_and_not1_b32 vcc_lo, exec_lo, s57
	s_wait_storecnt 0x0
	s_barrier_signal -1
	s_barrier_wait -1
	s_cbranch_vccnz .LBB105_166
; %bb.144:
	s_cmp_gt_i32 s25, 0
	v_cmp_eq_u32_e64 s2, 0, v41
	s_cselect_b32 s30, -1, 0
	s_ashr_i32 s9, s47, 31
	s_cmp_gt_i32 s26, 0
	v_cmp_gt_u32_e64 s3, s25, v41
	s_cselect_b32 s31, -1, 0
	v_cmp_gt_u32_e64 s4, s26, v41
	s_ashr_i32 s11, s43, 31
	v_cmp_gt_u32_e64 s5, s27, v41
	v_mov_b32_e32 v1, 0
	s_mov_b32 s7, 0
	s_cmp_gt_i32 s27, 0
	s_mov_b32 s8, s47
	s_mov_b32 s10, s43
	s_cselect_b32 s33, -1, 0
	s_ashr_i32 s13, s49, 31
	s_mov_b32 s12, s49
	s_mov_b32 s6, s7
	s_branch .LBB105_146
.LBB105_145:                            ;   in Loop: Header=BB105_146 Depth=1
	s_add_co_i32 s6, s6, 1
	s_delay_alu instid0(SALU_CYCLE_1)
	s_cmp_eq_u32 s6, s24
	s_cbranch_scc1 .LBB105_166
.LBB105_146:                            ; =>This Loop Header: Depth=1
                                        ;     Child Loop BB105_150 Depth 2
                                        ;       Child Loop BB105_155 Depth 3
                                        ;       Child Loop BB105_160 Depth 3
	;; [unrolled: 1-line block ×3, first 2 shown]
	v_mov_b32_e32 v0, s6
	global_load_b32 v2, v0, s[40:41] scale_offset
	s_wait_loadcnt 0x0
	v_cmp_eq_u32_e32 vcc_lo, s6, v2
	s_cbranch_vccnz .LBB105_145
; %bb.147:                              ;   in Loop: Header=BB105_146 Depth=1
	s_lshl_b64 s[14:15], s[6:7], 2
	s_delay_alu instid0(SALU_CYCLE_1)
	s_add_nc_u64 s[14:15], s[40:41], s[14:15]
	s_branch .LBB105_150
.LBB105_148:                            ;   in Loop: Header=BB105_150 Depth=2
	s_or_b32 exec_lo, exec_lo, s18
	s_wait_storecnt 0x0
	s_barrier_signal -1
	s_barrier_wait -1
.LBB105_149:                            ;   in Loop: Header=BB105_150 Depth=2
	global_load_b32 v2, v1, s[14:15]
	s_wait_loadcnt 0x0
	v_cmp_ne_u32_e32 vcc_lo, s6, v2
	s_cbranch_vccz .LBB105_145
.LBB105_150:                            ;   Parent Loop BB105_146 Depth=1
                                        ; =>  This Loop Header: Depth=2
                                        ;       Child Loop BB105_155 Depth 3
                                        ;       Child Loop BB105_160 Depth 3
	;; [unrolled: 1-line block ×3, first 2 shown]
	global_load_b32 v0, v2, s[40:41] scale_offset
	v_ashrrev_i32_e32 v3, 31, v2
	s_wait_loadcnt 0x0
	s_barrier_signal -1
	s_barrier_wait -1
	v_readfirstlane_b32 s16, v0
	s_wait_xcnt 0x0
	s_and_saveexec_b32 s17, s2
	s_cbranch_execz .LBB105_152
; %bb.151:                              ;   in Loop: Header=BB105_150 Depth=2
	v_lshlrev_b64_e32 v[4:5], 2, v[2:3]
	v_mov_b32_e32 v0, s16
	s_delay_alu instid0(VALU_DEP_2)
	v_add_nc_u64_e32 v[4:5], s[40:41], v[4:5]
	s_clause 0x1
	global_store_b32 v[4:5], v2, off
	global_store_b32 v1, v0, s[14:15]
.LBB105_152:                            ;   in Loop: Header=BB105_150 Depth=2
	s_wait_xcnt 0x0
	s_or_b32 exec_lo, exec_lo, s17
	s_delay_alu instid0(SALU_CYCLE_1)
	s_and_not1_b32 vcc_lo, exec_lo, s30
	s_wait_storecnt 0x0
	s_barrier_signal -1
	s_barrier_wait -1
	s_cbranch_vccnz .LBB105_157
; %bb.153:                              ;   in Loop: Header=BB105_150 Depth=2
	s_and_saveexec_b32 s18, s3
	s_cbranch_execz .LBB105_156
; %bb.154:                              ;   in Loop: Header=BB105_150 Depth=2
	v_mov_b32_e32 v0, v41
	s_ashr_i32 s17, s16, 31
	s_mov_b32 s19, 0
.LBB105_155:                            ;   Parent Loop BB105_146 Depth=1
                                        ;     Parent Loop BB105_150 Depth=2
                                        ; =>    This Inner Loop Header: Depth=3
	s_delay_alu instid0(VALU_DEP_1) | instskip(SKIP_1) | instid1(VALU_DEP_1)
	v_mul_u64_e32 v[4:5], s[8:9], v[0:1]
	v_add_nc_u32_e32 v0, s46, v0
	v_cmp_le_u32_e32 vcc_lo, s25, v0
	s_or_b32 s19, vcc_lo, s19
	s_delay_alu instid0(VALU_DEP_3) | instskip(NEXT) | instid1(VALU_DEP_1)
	v_lshl_add_u64 v[4:5], v[4:5], 3, s[34:35]
	v_lshl_add_u64 v[6:7], s[16:17], 3, v[4:5]
	;; [unrolled: 1-line block ×3, first 2 shown]
	s_clause 0x1
	global_load_b64 v[8:9], v[6:7], off
	global_load_b64 v[10:11], v[4:5], off
	s_wait_loadcnt 0x1
	global_store_b64 v[4:5], v[8:9], off
	s_wait_loadcnt 0x0
	global_store_b64 v[6:7], v[10:11], off
	s_wait_xcnt 0x0
	s_and_not1_b32 exec_lo, exec_lo, s19
	s_cbranch_execnz .LBB105_155
.LBB105_156:                            ;   in Loop: Header=BB105_150 Depth=2
	s_or_b32 exec_lo, exec_lo, s18
	s_wait_storecnt 0x0
	s_barrier_signal -1
	s_barrier_wait -1
.LBB105_157:                            ;   in Loop: Header=BB105_150 Depth=2
	s_and_not1_b32 vcc_lo, exec_lo, s31
	s_cbranch_vccnz .LBB105_162
; %bb.158:                              ;   in Loop: Header=BB105_150 Depth=2
	s_and_saveexec_b32 s55, s4
	s_cbranch_execz .LBB105_161
; %bb.159:                              ;   in Loop: Header=BB105_150 Depth=2
	v_mul_u64_e32 v[4:5], s[10:11], v[2:3]
	s_ashr_i32 s17, s16, 31
	v_mov_b32_e32 v0, v41
	s_mul_u64 s[18:19], s[16:17], s[10:11]
	s_mov_b32 s17, 0
	s_lshl_b64 s[18:19], s[18:19], 3
	s_delay_alu instid0(SALU_CYCLE_1) | instskip(NEXT) | instid1(VALU_DEP_2)
	s_add_nc_u64 s[18:19], s[28:29], s[18:19]
	v_lshlrev_b64_e32 v[4:5], 3, v[4:5]
	s_delay_alu instid0(VALU_DEP_1)
	v_add_nc_u64_e32 v[4:5], s[28:29], v[4:5]
.LBB105_160:                            ;   Parent Loop BB105_146 Depth=1
                                        ;     Parent Loop BB105_150 Depth=2
                                        ; =>    This Inner Loop Header: Depth=3
	s_delay_alu instid0(VALU_DEP_1) | instskip(NEXT) | instid1(VALU_DEP_2)
	v_readfirstlane_b32 s56, v4
	v_readfirstlane_b32 s57, v5
	s_clause 0x1
	global_load_b64 v[6:7], v0, s[18:19] scale_offset
	global_load_b64 v[8:9], v0, s[56:57] scale_offset
	s_wait_loadcnt 0x1
	global_store_b64 v0, v[6:7], s[56:57] scale_offset
	s_wait_loadcnt 0x0
	global_store_b64 v0, v[8:9], s[18:19] scale_offset
	s_wait_xcnt 0x0
	v_add_nc_u32_e32 v0, s46, v0
	s_delay_alu instid0(VALU_DEP_1) | instskip(SKIP_1) | instid1(SALU_CYCLE_1)
	v_cmp_le_u32_e32 vcc_lo, s26, v0
	s_or_b32 s17, vcc_lo, s17
	s_and_not1_b32 exec_lo, exec_lo, s17
	s_cbranch_execnz .LBB105_160
.LBB105_161:                            ;   in Loop: Header=BB105_150 Depth=2
	s_or_b32 exec_lo, exec_lo, s55
	s_wait_storecnt 0x0
	s_barrier_signal -1
	s_barrier_wait -1
.LBB105_162:                            ;   in Loop: Header=BB105_150 Depth=2
	s_and_not1_b32 vcc_lo, exec_lo, s33
	s_cbranch_vccnz .LBB105_149
; %bb.163:                              ;   in Loop: Header=BB105_150 Depth=2
	s_and_saveexec_b32 s18, s5
	s_cbranch_execz .LBB105_148
; %bb.164:                              ;   in Loop: Header=BB105_150 Depth=2
	v_mov_b32_e32 v0, v41
	s_ashr_i32 s17, s16, 31
	s_mov_b32 s19, 0
.LBB105_165:                            ;   Parent Loop BB105_146 Depth=1
                                        ;     Parent Loop BB105_150 Depth=2
                                        ; =>    This Inner Loop Header: Depth=3
	s_delay_alu instid0(VALU_DEP_1) | instskip(SKIP_1) | instid1(VALU_DEP_1)
	v_mul_u64_e32 v[4:5], s[12:13], v[0:1]
	v_add_nc_u32_e32 v0, s46, v0
	v_cmp_le_u32_e32 vcc_lo, s27, v0
	s_or_b32 s19, vcc_lo, s19
	s_delay_alu instid0(VALU_DEP_3) | instskip(NEXT) | instid1(VALU_DEP_1)
	v_lshl_add_u64 v[4:5], v[4:5], 3, s[44:45]
	v_lshl_add_u64 v[6:7], s[16:17], 3, v[4:5]
	;; [unrolled: 1-line block ×3, first 2 shown]
	s_clause 0x1
	global_load_b64 v[8:9], v[6:7], off
	global_load_b64 v[10:11], v[4:5], off
	s_wait_loadcnt 0x1
	global_store_b64 v[4:5], v[8:9], off
	s_wait_loadcnt 0x0
	global_store_b64 v[6:7], v[10:11], off
	s_wait_xcnt 0x0
	s_and_not1_b32 exec_lo, exec_lo, s19
	s_cbranch_execnz .LBB105_165
	s_branch .LBB105_148
.LBB105_166:
	s_mov_b32 s56, exec_lo
.LBB105_167:
	s_or_b32 exec_lo, exec_lo, s20
	s_branch .LBB105_279
.LBB105_168:
	s_and_b32 vcc_lo, exec_lo, s48
	s_mov_b32 s56, -1
	s_cbranch_vccz .LBB105_279
; %bb.169:
	v_or3_b32 v0, v43, v44, v42
	s_mov_b32 s8, exec_lo
	s_wait_storecnt 0x0
	s_barrier_signal -1
	s_barrier_wait -1
	s_barrier_signal -1
	s_barrier_wait -1
	s_wait_xcnt 0x0
	v_cmpx_eq_u32_e32 0, v0
	s_cbranch_execz .LBB105_263
; %bb.170:
	s_cmp_lt_u32 s24, 0x2be
	s_cbranch_scc1 .LBB105_182
; %bb.171:
	v_mov_b32_e32 v0, 0
	s_add_nc_u64 s[4:5], s[52:53], s[50:51]
	s_mov_b64 s[2:3], 0xfffffffffffff50c
	s_add_nc_u64 s[4:5], s[4:5], 0xaf4
	s_movk_i32 s9, 0x2bd
	s_movk_i32 s10, 0x57a
	s_branch .LBB105_173
.LBB105_172:                            ;   in Loop: Header=BB105_173 Depth=1
	v_mov_b32_e32 v2, s6
	s_add_co_i32 s9, s9, 1
	s_add_co_i32 s10, s10, 1
	s_cmp_eq_u32 s9, s24
	s_add_nc_u64 s[4:5], s[4:5], 4
	global_store_b32 v2, v1, s[36:37] scale_offset
	s_cbranch_scc1 .LBB105_182
.LBB105_173:                            ; =>This Loop Header: Depth=1
                                        ;     Child Loop BB105_174 Depth 2
	s_wait_xcnt 0x0
	v_mov_b32_e32 v1, s9
	s_mov_b64 s[6:7], s[4:5]
	s_mov_b32 s11, s10
	global_load_b32 v1, v1, s[36:37] scale_offset
.LBB105_174:                            ;   Parent Loop BB105_173 Depth=1
                                        ; =>  This Inner Loop Header: Depth=2
	global_load_b32 v2, v0, s[6:7] offset:-2804
	s_mov_b32 s13, -1
	s_mov_b32 s14, -1
                                        ; implicit-def: $sgpr12
	s_wait_loadcnt 0x0
	v_cmp_nlt_f32_e32 vcc_lo, v2, v1
	s_cbranch_vccnz .LBB105_176
; %bb.175:                              ;   in Loop: Header=BB105_174 Depth=2
	s_add_co_i32 s12, s11, 0xfffffd43
	s_mov_b32 s13, 0
	s_cmp_lt_i32 s12, 0x57a
	global_store_b32 v0, v2, s[6:7]
	s_cselect_b32 s14, -1, 0
.LBB105_176:                            ;   in Loop: Header=BB105_174 Depth=2
	s_delay_alu instid0(SALU_CYCLE_1)
	s_and_not1_b32 vcc_lo, exec_lo, s14
	s_wait_xcnt 0x0
	s_add_nc_u64 s[6:7], s[6:7], s[2:3]
	s_cbranch_vccz .LBB105_178
; %bb.177:                              ;   in Loop: Header=BB105_174 Depth=2
	s_mov_b32 s11, s12
	s_branch .LBB105_174
.LBB105_178:                            ;   in Loop: Header=BB105_173 Depth=1
	s_and_not1_b32 vcc_lo, exec_lo, s13
	s_mov_b32 s7, -1
                                        ; implicit-def: $sgpr6
	s_cbranch_vccz .LBB105_180
; %bb.179:                              ;   in Loop: Header=BB105_173 Depth=1
	s_add_co_i32 s6, s12, 0xfffffd43
	s_mov_b32 s7, 0
.LBB105_180:                            ;   in Loop: Header=BB105_173 Depth=1
	s_delay_alu instid0(SALU_CYCLE_1)
	s_and_not1_b32 vcc_lo, exec_lo, s7
	s_cbranch_vccnz .LBB105_172
; %bb.181:                              ;   in Loop: Header=BB105_173 Depth=1
	s_add_co_i32 s6, s11, 0xfffffd43
	s_branch .LBB105_172
.LBB105_182:
	s_cmp_lt_i32 s24, 0x12e
	s_cbranch_scc1 .LBB105_194
; %bb.183:
	v_mov_b32_e32 v0, 0
	s_add_nc_u64 s[4:5], s[52:53], s[50:51]
	s_mov_b64 s[2:3], 0xfffffffffffffb4c
	s_add_nc_u64 s[4:5], s[4:5], 0x4b4
	s_movk_i32 s9, 0x12d
	s_movk_i32 s10, 0x25a
	s_branch .LBB105_185
.LBB105_184:                            ;   in Loop: Header=BB105_185 Depth=1
	v_mov_b32_e32 v2, s6
	s_add_co_i32 s9, s9, 1
	s_add_co_i32 s10, s10, 1
	s_cmp_lg_u32 s9, s24
	s_add_nc_u64 s[4:5], s[4:5], 4
	global_store_b32 v2, v1, s[36:37] scale_offset
	s_cbranch_scc0 .LBB105_194
.LBB105_185:                            ; =>This Loop Header: Depth=1
                                        ;     Child Loop BB105_186 Depth 2
	s_wait_xcnt 0x0
	v_mov_b32_e32 v1, s9
	s_mov_b64 s[6:7], s[4:5]
	s_mov_b32 s11, s10
	global_load_b32 v1, v1, s[36:37] scale_offset
.LBB105_186:                            ;   Parent Loop BB105_185 Depth=1
                                        ; =>  This Inner Loop Header: Depth=2
	global_load_b32 v2, v0, s[6:7] offset:-1204
	s_mov_b32 s13, -1
	s_mov_b32 s14, -1
                                        ; implicit-def: $sgpr12
	s_wait_loadcnt 0x0
	v_cmp_nlt_f32_e32 vcc_lo, v2, v1
	s_cbranch_vccnz .LBB105_188
; %bb.187:                              ;   in Loop: Header=BB105_186 Depth=2
	s_add_co_i32 s12, s11, 0xfffffed3
	s_mov_b32 s13, 0
	s_cmp_lt_i32 s12, 0x25a
	global_store_b32 v0, v2, s[6:7]
	s_cselect_b32 s14, -1, 0
.LBB105_188:                            ;   in Loop: Header=BB105_186 Depth=2
	s_delay_alu instid0(SALU_CYCLE_1)
	s_and_not1_b32 vcc_lo, exec_lo, s14
	s_wait_xcnt 0x0
	s_add_nc_u64 s[6:7], s[6:7], s[2:3]
	s_cbranch_vccz .LBB105_190
; %bb.189:                              ;   in Loop: Header=BB105_186 Depth=2
	s_mov_b32 s11, s12
	s_branch .LBB105_186
.LBB105_190:                            ;   in Loop: Header=BB105_185 Depth=1
	s_and_not1_b32 vcc_lo, exec_lo, s13
	s_mov_b32 s7, -1
                                        ; implicit-def: $sgpr6
	s_cbranch_vccz .LBB105_192
; %bb.191:                              ;   in Loop: Header=BB105_185 Depth=1
	s_add_co_i32 s6, s12, 0xfffffed3
	s_mov_b32 s7, 0
.LBB105_192:                            ;   in Loop: Header=BB105_185 Depth=1
	s_delay_alu instid0(SALU_CYCLE_1)
	s_and_not1_b32 vcc_lo, exec_lo, s7
	s_cbranch_vccnz .LBB105_184
; %bb.193:                              ;   in Loop: Header=BB105_185 Depth=1
	s_add_co_i32 s6, s11, 0xfffffed3
	s_branch .LBB105_184
.LBB105_194:
	s_cmp_lt_i32 s24, 0x85
	s_cbranch_scc1 .LBB105_206
; %bb.195:
	v_mov_b32_e32 v0, 0
	s_add_nc_u64 s[4:5], s[52:53], s[50:51]
	s_mov_b64 s[2:3], 0xfffffffffffffdf0
	s_add_nc_u64 s[4:5], s[4:5], 0x210
	s_movk_i32 s9, 0x84
	s_movk_i32 s10, 0x108
	s_branch .LBB105_197
.LBB105_196:                            ;   in Loop: Header=BB105_197 Depth=1
	v_mov_b32_e32 v2, s6
	s_add_co_i32 s9, s9, 1
	s_add_co_i32 s10, s10, 1
	s_cmp_lg_u32 s9, s24
	s_add_nc_u64 s[4:5], s[4:5], 4
	global_store_b32 v2, v1, s[36:37] scale_offset
	s_cbranch_scc0 .LBB105_206
.LBB105_197:                            ; =>This Loop Header: Depth=1
                                        ;     Child Loop BB105_198 Depth 2
	s_wait_xcnt 0x0
	v_mov_b32_e32 v1, s9
	s_mov_b64 s[6:7], s[4:5]
	s_mov_b32 s11, s10
	global_load_b32 v1, v1, s[36:37] scale_offset
.LBB105_198:                            ;   Parent Loop BB105_197 Depth=1
                                        ; =>  This Inner Loop Header: Depth=2
	global_load_b32 v2, v0, s[6:7] offset:-528
	s_mov_b32 s13, -1
	s_mov_b32 s14, -1
                                        ; implicit-def: $sgpr12
	s_wait_loadcnt 0x0
	v_cmp_nlt_f32_e32 vcc_lo, v2, v1
	s_cbranch_vccnz .LBB105_200
; %bb.199:                              ;   in Loop: Header=BB105_198 Depth=2
	s_add_co_i32 s12, s11, 0xffffff7c
	s_mov_b32 s13, 0
	s_cmp_lt_i32 s12, 0x108
	global_store_b32 v0, v2, s[6:7]
	s_cselect_b32 s14, -1, 0
.LBB105_200:                            ;   in Loop: Header=BB105_198 Depth=2
	s_delay_alu instid0(SALU_CYCLE_1)
	s_and_not1_b32 vcc_lo, exec_lo, s14
	s_wait_xcnt 0x0
	s_add_nc_u64 s[6:7], s[6:7], s[2:3]
	s_cbranch_vccz .LBB105_202
; %bb.201:                              ;   in Loop: Header=BB105_198 Depth=2
	s_mov_b32 s11, s12
	s_branch .LBB105_198
.LBB105_202:                            ;   in Loop: Header=BB105_197 Depth=1
	s_and_not1_b32 vcc_lo, exec_lo, s13
	s_mov_b32 s7, -1
                                        ; implicit-def: $sgpr6
	s_cbranch_vccz .LBB105_204
; %bb.203:                              ;   in Loop: Header=BB105_197 Depth=1
	s_add_co_i32 s6, s12, 0xffffff7c
	s_mov_b32 s7, 0
.LBB105_204:                            ;   in Loop: Header=BB105_197 Depth=1
	s_delay_alu instid0(SALU_CYCLE_1)
	s_and_not1_b32 vcc_lo, exec_lo, s7
	s_cbranch_vccnz .LBB105_196
; %bb.205:                              ;   in Loop: Header=BB105_197 Depth=1
	s_add_co_i32 s6, s11, 0xffffff7c
	s_branch .LBB105_196
.LBB105_206:
	s_cmp_lt_i32 s24, 58
	s_cbranch_scc1 .LBB105_218
; %bb.207:
	v_mov_b32_e32 v0, 0
	s_add_nc_u64 s[4:5], s[52:53], s[50:51]
	s_mov_b64 s[2:3], 0xffffffffffffff1c
	s_add_nc_u64 s[4:5], s[4:5], 0xe4
	s_mov_b32 s9, 57
	s_movk_i32 s10, 0x72
	s_branch .LBB105_209
.LBB105_208:                            ;   in Loop: Header=BB105_209 Depth=1
	v_mov_b32_e32 v2, s6
	s_add_co_i32 s9, s9, 1
	s_add_co_i32 s10, s10, 1
	s_cmp_lg_u32 s9, s24
	s_add_nc_u64 s[4:5], s[4:5], 4
	global_store_b32 v2, v1, s[36:37] scale_offset
	s_cbranch_scc0 .LBB105_218
.LBB105_209:                            ; =>This Loop Header: Depth=1
                                        ;     Child Loop BB105_210 Depth 2
	s_wait_xcnt 0x0
	v_mov_b32_e32 v1, s9
	s_mov_b64 s[6:7], s[4:5]
	s_mov_b32 s11, s10
	global_load_b32 v1, v1, s[36:37] scale_offset
.LBB105_210:                            ;   Parent Loop BB105_209 Depth=1
                                        ; =>  This Inner Loop Header: Depth=2
	global_load_b32 v2, v0, s[6:7] offset:-228
	s_mov_b32 s13, -1
	s_mov_b32 s14, -1
                                        ; implicit-def: $sgpr12
	s_wait_loadcnt 0x0
	v_cmp_nlt_f32_e32 vcc_lo, v2, v1
	s_cbranch_vccnz .LBB105_212
; %bb.211:                              ;   in Loop: Header=BB105_210 Depth=2
	s_sub_co_i32 s12, s11, 57
	s_mov_b32 s13, 0
	s_cmp_lt_i32 s12, 0x72
	global_store_b32 v0, v2, s[6:7]
	s_cselect_b32 s14, -1, 0
.LBB105_212:                            ;   in Loop: Header=BB105_210 Depth=2
	s_delay_alu instid0(SALU_CYCLE_1)
	s_and_not1_b32 vcc_lo, exec_lo, s14
	s_wait_xcnt 0x0
	s_add_nc_u64 s[6:7], s[6:7], s[2:3]
	s_cbranch_vccz .LBB105_214
; %bb.213:                              ;   in Loop: Header=BB105_210 Depth=2
	s_mov_b32 s11, s12
	s_branch .LBB105_210
.LBB105_214:                            ;   in Loop: Header=BB105_209 Depth=1
	s_and_not1_b32 vcc_lo, exec_lo, s13
	s_mov_b32 s7, -1
                                        ; implicit-def: $sgpr6
	s_cbranch_vccz .LBB105_216
; %bb.215:                              ;   in Loop: Header=BB105_209 Depth=1
	s_sub_co_i32 s6, s12, 57
	s_mov_b32 s7, 0
.LBB105_216:                            ;   in Loop: Header=BB105_209 Depth=1
	s_delay_alu instid0(SALU_CYCLE_1)
	s_and_not1_b32 vcc_lo, exec_lo, s7
	s_cbranch_vccnz .LBB105_208
; %bb.217:                              ;   in Loop: Header=BB105_209 Depth=1
	s_sub_co_i32 s6, s11, 57
	s_branch .LBB105_208
.LBB105_218:
	s_cmp_lt_i32 s24, 24
	s_cbranch_scc1 .LBB105_230
; %bb.219:
	v_mov_b32_e32 v0, 0
	s_add_nc_u64 s[4:5], s[52:53], s[50:51]
	s_mov_b64 s[2:3], 0xffffffffffffffa4
	s_add_nc_u64 s[4:5], s[4:5], 0x5c
	s_mov_b32 s9, 23
	s_mov_b32 s10, 46
	s_branch .LBB105_221
.LBB105_220:                            ;   in Loop: Header=BB105_221 Depth=1
	v_mov_b32_e32 v2, s6
	s_add_co_i32 s9, s9, 1
	s_add_co_i32 s10, s10, 1
	s_cmp_lg_u32 s9, s24
	s_add_nc_u64 s[4:5], s[4:5], 4
	global_store_b32 v2, v1, s[36:37] scale_offset
	s_cbranch_scc0 .LBB105_230
.LBB105_221:                            ; =>This Loop Header: Depth=1
                                        ;     Child Loop BB105_222 Depth 2
	s_wait_xcnt 0x0
	v_mov_b32_e32 v1, s9
	s_mov_b64 s[6:7], s[4:5]
	s_mov_b32 s11, s10
	global_load_b32 v1, v1, s[36:37] scale_offset
.LBB105_222:                            ;   Parent Loop BB105_221 Depth=1
                                        ; =>  This Inner Loop Header: Depth=2
	global_load_b32 v2, v0, s[6:7] offset:-92
	s_mov_b32 s13, -1
	s_mov_b32 s14, -1
                                        ; implicit-def: $sgpr12
	s_wait_loadcnt 0x0
	v_cmp_nlt_f32_e32 vcc_lo, v2, v1
	s_cbranch_vccnz .LBB105_224
; %bb.223:                              ;   in Loop: Header=BB105_222 Depth=2
	s_sub_co_i32 s12, s11, 23
	s_mov_b32 s13, 0
	s_cmp_lt_i32 s12, 46
	global_store_b32 v0, v2, s[6:7]
	s_cselect_b32 s14, -1, 0
.LBB105_224:                            ;   in Loop: Header=BB105_222 Depth=2
	s_delay_alu instid0(SALU_CYCLE_1)
	s_and_not1_b32 vcc_lo, exec_lo, s14
	s_wait_xcnt 0x0
	s_add_nc_u64 s[6:7], s[6:7], s[2:3]
	s_cbranch_vccz .LBB105_226
; %bb.225:                              ;   in Loop: Header=BB105_222 Depth=2
	s_mov_b32 s11, s12
	s_branch .LBB105_222
.LBB105_226:                            ;   in Loop: Header=BB105_221 Depth=1
	s_and_not1_b32 vcc_lo, exec_lo, s13
	s_mov_b32 s7, -1
                                        ; implicit-def: $sgpr6
	s_cbranch_vccz .LBB105_228
; %bb.227:                              ;   in Loop: Header=BB105_221 Depth=1
	s_sub_co_i32 s6, s12, 23
	s_mov_b32 s7, 0
.LBB105_228:                            ;   in Loop: Header=BB105_221 Depth=1
	s_delay_alu instid0(SALU_CYCLE_1)
	s_and_not1_b32 vcc_lo, exec_lo, s7
	s_cbranch_vccnz .LBB105_220
; %bb.229:                              ;   in Loop: Header=BB105_221 Depth=1
	s_sub_co_i32 s6, s11, 23
	s_branch .LBB105_220
.LBB105_230:
	s_cmp_lt_i32 s24, 11
	s_cbranch_scc1 .LBB105_242
; %bb.231:
	v_mov_b32_e32 v0, 0
	s_add_nc_u64 s[4:5], s[52:53], s[50:51]
	s_mov_b64 s[2:3], 0xffffffffffffffd8
	s_add_nc_u64 s[4:5], s[4:5], 40
	s_mov_b32 s9, 10
	s_mov_b32 s10, 20
	s_branch .LBB105_233
.LBB105_232:                            ;   in Loop: Header=BB105_233 Depth=1
	v_mov_b32_e32 v2, s6
	s_add_co_i32 s9, s9, 1
	s_add_co_i32 s10, s10, 1
	s_cmp_lg_u32 s9, s24
	s_add_nc_u64 s[4:5], s[4:5], 4
	global_store_b32 v2, v1, s[36:37] scale_offset
	s_cbranch_scc0 .LBB105_242
.LBB105_233:                            ; =>This Loop Header: Depth=1
                                        ;     Child Loop BB105_234 Depth 2
	s_wait_xcnt 0x0
	v_mov_b32_e32 v1, s9
	s_mov_b64 s[6:7], s[4:5]
	s_mov_b32 s11, s10
	global_load_b32 v1, v1, s[36:37] scale_offset
.LBB105_234:                            ;   Parent Loop BB105_233 Depth=1
                                        ; =>  This Inner Loop Header: Depth=2
	global_load_b32 v2, v0, s[6:7] offset:-40
	s_mov_b32 s13, -1
	s_mov_b32 s14, -1
                                        ; implicit-def: $sgpr12
	s_wait_loadcnt 0x0
	v_cmp_nlt_f32_e32 vcc_lo, v2, v1
	s_cbranch_vccnz .LBB105_236
; %bb.235:                              ;   in Loop: Header=BB105_234 Depth=2
	s_add_co_i32 s12, s11, -10
	s_mov_b32 s13, 0
	s_cmp_lt_i32 s12, 20
	global_store_b32 v0, v2, s[6:7]
	s_cselect_b32 s14, -1, 0
.LBB105_236:                            ;   in Loop: Header=BB105_234 Depth=2
	s_delay_alu instid0(SALU_CYCLE_1)
	s_and_not1_b32 vcc_lo, exec_lo, s14
	s_wait_xcnt 0x0
	s_add_nc_u64 s[6:7], s[6:7], s[2:3]
	s_cbranch_vccz .LBB105_238
; %bb.237:                              ;   in Loop: Header=BB105_234 Depth=2
	s_mov_b32 s11, s12
	s_branch .LBB105_234
.LBB105_238:                            ;   in Loop: Header=BB105_233 Depth=1
	s_and_not1_b32 vcc_lo, exec_lo, s13
	s_mov_b32 s7, -1
                                        ; implicit-def: $sgpr6
	s_cbranch_vccz .LBB105_240
; %bb.239:                              ;   in Loop: Header=BB105_233 Depth=1
	s_add_co_i32 s6, s12, -10
	s_mov_b32 s7, 0
.LBB105_240:                            ;   in Loop: Header=BB105_233 Depth=1
	s_delay_alu instid0(SALU_CYCLE_1)
	s_and_not1_b32 vcc_lo, exec_lo, s7
	s_cbranch_vccnz .LBB105_232
; %bb.241:                              ;   in Loop: Header=BB105_233 Depth=1
	s_add_co_i32 s6, s11, -10
	s_branch .LBB105_232
.LBB105_242:
	s_cmp_lt_i32 s24, 5
	s_cbranch_scc1 .LBB105_254
; %bb.243:
	v_mov_b32_e32 v0, 0
	s_add_nc_u64 s[2:3], s[52:53], s[50:51]
	s_mov_b32 s6, 4
	s_add_nc_u64 s[2:3], s[2:3], 16
	s_mov_b32 s7, 8
	s_branch .LBB105_245
.LBB105_244:                            ;   in Loop: Header=BB105_245 Depth=1
	v_mov_b32_e32 v2, s4
	s_add_co_i32 s6, s6, 1
	s_add_co_i32 s7, s7, 1
	s_cmp_lg_u32 s6, s24
	s_add_nc_u64 s[2:3], s[2:3], 4
	global_store_b32 v2, v1, s[36:37] scale_offset
	s_cbranch_scc0 .LBB105_254
.LBB105_245:                            ; =>This Loop Header: Depth=1
                                        ;     Child Loop BB105_246 Depth 2
	s_wait_xcnt 0x0
	v_mov_b32_e32 v1, s6
	s_mov_b64 s[4:5], s[2:3]
	s_mov_b32 s9, s7
	global_load_b32 v1, v1, s[36:37] scale_offset
.LBB105_246:                            ;   Parent Loop BB105_245 Depth=1
                                        ; =>  This Inner Loop Header: Depth=2
	global_load_b32 v2, v0, s[4:5] offset:-16
	s_mov_b32 s11, -1
	s_mov_b32 s12, -1
                                        ; implicit-def: $sgpr10
	s_wait_loadcnt 0x0
	v_cmp_nlt_f32_e32 vcc_lo, v2, v1
	s_cbranch_vccnz .LBB105_248
; %bb.247:                              ;   in Loop: Header=BB105_246 Depth=2
	s_add_co_i32 s10, s9, -4
	s_mov_b32 s11, 0
	s_cmp_lt_i32 s10, 8
	global_store_b32 v0, v2, s[4:5]
	s_cselect_b32 s12, -1, 0
.LBB105_248:                            ;   in Loop: Header=BB105_246 Depth=2
	s_delay_alu instid0(SALU_CYCLE_1)
	s_and_not1_b32 vcc_lo, exec_lo, s12
	s_wait_xcnt 0x0
	s_add_nc_u64 s[4:5], s[4:5], -16
	s_cbranch_vccz .LBB105_250
; %bb.249:                              ;   in Loop: Header=BB105_246 Depth=2
	s_mov_b32 s9, s10
	s_branch .LBB105_246
.LBB105_250:                            ;   in Loop: Header=BB105_245 Depth=1
	s_and_not1_b32 vcc_lo, exec_lo, s11
	s_mov_b32 s5, -1
                                        ; implicit-def: $sgpr4
	s_cbranch_vccz .LBB105_252
; %bb.251:                              ;   in Loop: Header=BB105_245 Depth=1
	s_add_co_i32 s4, s10, -4
	s_mov_b32 s5, 0
.LBB105_252:                            ;   in Loop: Header=BB105_245 Depth=1
	s_delay_alu instid0(SALU_CYCLE_1)
	s_and_not1_b32 vcc_lo, exec_lo, s5
	s_cbranch_vccnz .LBB105_244
; %bb.253:                              ;   in Loop: Header=BB105_245 Depth=1
	s_add_co_i32 s4, s9, -4
	s_branch .LBB105_244
.LBB105_254:
	s_cmp_lt_i32 s24, 2
	s_mov_b32 s6, 2
	s_cbranch_scc1 .LBB105_263
; %bb.255:
	v_mov_b32_e32 v0, 0
	s_add_nc_u64 s[2:3], s[52:53], s[50:51]
	s_mov_b32 s7, 1
	s_add_nc_u64 s[2:3], s[2:3], 4
	s_branch .LBB105_257
.LBB105_256:                            ;   in Loop: Header=BB105_257 Depth=1
	v_mov_b32_e32 v2, s4
	s_add_co_i32 s7, s7, 1
	s_add_co_i32 s6, s6, 1
	s_cmp_eq_u32 s7, s24
	s_add_nc_u64 s[2:3], s[2:3], 4
	global_store_b32 v2, v1, s[36:37] scale_offset
	s_cbranch_scc1 .LBB105_263
.LBB105_257:                            ; =>This Loop Header: Depth=1
                                        ;     Child Loop BB105_259 Depth 2
	s_wait_xcnt 0x0
	v_mov_b32_e32 v1, s7
	s_mov_b64 s[4:5], s[2:3]
	s_mov_b32 s10, s6
	global_load_b32 v1, v1, s[36:37] scale_offset
	s_branch .LBB105_259
.LBB105_258:                            ;   in Loop: Header=BB105_259 Depth=2
	s_and_not1_b32 vcc_lo, exec_lo, s12
	s_wait_xcnt 0x0
	s_add_nc_u64 s[4:5], s[4:5], -4
	s_cbranch_vccz .LBB105_261
.LBB105_259:                            ;   Parent Loop BB105_257 Depth=1
                                        ; =>  This Inner Loop Header: Depth=2
	global_load_b32 v2, v0, s[4:5] offset:-4
	s_mov_b32 s9, s10
	s_mov_b32 s11, -1
	s_mov_b32 s12, -1
                                        ; implicit-def: $sgpr10
	s_wait_loadcnt 0x0
	v_cmp_nlt_f32_e32 vcc_lo, v2, v1
	s_cbranch_vccnz .LBB105_258
; %bb.260:                              ;   in Loop: Header=BB105_259 Depth=2
	s_add_co_i32 s10, s9, -1
	s_mov_b32 s11, 0
	s_cmp_lt_i32 s10, 2
	global_store_b32 v0, v2, s[4:5]
	s_cselect_b32 s12, -1, 0
	s_branch .LBB105_258
.LBB105_261:                            ;   in Loop: Header=BB105_257 Depth=1
	s_and_b32 vcc_lo, exec_lo, s11
	s_mov_b32 s4, 0
	s_cbranch_vccz .LBB105_256
; %bb.262:                              ;   in Loop: Header=BB105_257 Depth=1
	s_add_co_i32 s4, s9, -1
	s_branch .LBB105_256
.LBB105_263:
	s_wait_xcnt 0x0
	s_or_b32 exec_lo, exec_lo, s8
	s_cmp_lt_i32 s24, 2
	s_mov_b32 s56, 0
	s_cselect_b32 s5, -1, 0
	s_wait_storecnt 0x0
	s_and_b32 vcc_lo, exec_lo, s5
	s_barrier_signal -1
	s_barrier_wait -1
	s_cbranch_vccnz .LBB105_271
; %bb.264:
	s_add_co_i32 s4, s24, -1
	s_mov_b32 s5, -1
	s_mov_b32 s2, 0
	s_mov_b32 s3, exec_lo
	v_cmpx_gt_u32_e64 s4, v41
	s_cbranch_execz .LBB105_273
; %bb.265:
	v_dual_mov_b32 v1, 0 :: v_dual_mov_b32 v0, v41
	s_mov_b32 s5, 0
                                        ; implicit-def: $sgpr6
	s_branch .LBB105_267
.LBB105_266:                            ;   in Loop: Header=BB105_267 Depth=1
	s_or_b32 exec_lo, exec_lo, s9
	s_xor_b32 s7, s8, -1
	s_and_b32 s2, exec_lo, s2
	s_delay_alu instid0(SALU_CYCLE_1) | instskip(SKIP_2) | instid1(SALU_CYCLE_1)
	s_or_b32 s5, s2, s5
	s_and_not1_b32 s2, s6, exec_lo
	s_and_b32 s6, s7, exec_lo
	s_or_b32 s6, s2, s6
	s_and_not1_b32 exec_lo, exec_lo, s5
	s_cbranch_execz .LBB105_272
.LBB105_267:                            ; =>This Inner Loop Header: Depth=1
	global_load_b32 v2, v0, s[36:37] scale_offset
	s_mov_b32 s8, exec_lo
	s_wait_loadcnt 0x0
	v_cmp_u_f32_e64 s7, v2, v2
	v_cmpx_o_f32_e32 v2, v2
	s_cbranch_execz .LBB105_269
; %bb.268:                              ;   in Loop: Header=BB105_267 Depth=1
	v_lshl_add_u64 v[4:5], v[0:1], 2, s[36:37]
	s_and_not1_b32 s7, s7, exec_lo
	global_load_b32 v3, v[4:5], off offset:4
	s_wait_loadcnt 0x0
	v_cmp_u_f32_e32 vcc_lo, v3, v3
	v_cmp_ge_f32_e64 s2, v2, v3
	s_or_b32 s2, vcc_lo, s2
	s_delay_alu instid0(SALU_CYCLE_1) | instskip(NEXT) | instid1(SALU_CYCLE_1)
	s_and_b32 s2, s2, exec_lo
	s_or_b32 s7, s7, s2
.LBB105_269:                            ;   in Loop: Header=BB105_267 Depth=1
	s_or_b32 exec_lo, exec_lo, s8
	s_mov_b32 s2, -1
	s_mov_b32 s8, -1
	s_and_saveexec_b32 s9, s7
	s_cbranch_execz .LBB105_266
; %bb.270:                              ;   in Loop: Header=BB105_267 Depth=1
	v_add_nc_u32_e32 v0, s46, v0
	s_xor_b32 s8, exec_lo, -1
	s_delay_alu instid0(VALU_DEP_1)
	v_cmp_le_u32_e32 vcc_lo, s4, v0
	s_or_not1_b32 s2, vcc_lo, exec_lo
	s_branch .LBB105_266
.LBB105_271:
	s_mov_b32 s2, 0
	s_branch .LBB105_274
.LBB105_272:
	s_or_b32 exec_lo, exec_lo, s5
	s_delay_alu instid0(SALU_CYCLE_1)
	s_mov_b32 s2, exec_lo
	s_or_not1_b32 s5, s6, exec_lo
.LBB105_273:
	s_or_b32 exec_lo, exec_lo, s3
.LBB105_274:
	s_and_saveexec_b32 s3, s5
	s_cbranch_execz .LBB105_276
; %bb.275:
	s_mov_b32 s56, exec_lo
	s_barrier_signal -1
	s_barrier_wait -1
	s_and_not1_b32 s2, s2, exec_lo
.LBB105_276:
	s_or_b32 exec_lo, exec_lo, s3
	s_and_saveexec_b32 s40, s2
	s_cbranch_execz .LBB105_278
; %bb.277:
	s_get_pc_i64 s[2:3]
	s_add_nc_u64 s[2:3], s[2:3], __PRETTY_FUNCTION__._ZN9rocsolver6v33100L21shell_sort_descendingIfiEEvT0_PT_PS2_@rel64+4
	s_add_nc_u64 s[8:9], s[0:1], 0x90
	v_dual_mov_b32 v0, s2 :: v_dual_mov_b32 v1, s3
	s_get_pc_i64 s[0:1]
	s_add_nc_u64 s[0:1], s[0:1], __assert_fail@rel64+4
	s_delay_alu instid0(SALU_CYCLE_1)
	s_swap_pc_i64 s[30:31], s[0:1]
	s_or_b32 s54, s54, exec_lo
.LBB105_278:
	s_or_b32 exec_lo, exec_lo, s40
.LBB105_279:
	s_wait_xcnt 0x0
	s_and_saveexec_b32 s0, s54
; %bb.280:
	; divergent unreachable
; %bb.281:
	s_delay_alu instid0(SALU_CYCLE_1)
	s_or_b32 exec_lo, exec_lo, s0
	s_and_saveexec_b32 s0, s56
	s_cbranch_execz .LBB105_283
; %bb.282:
	s_wait_storecnt 0x0
	s_barrier_signal -1
	s_barrier_wait -1
.LBB105_283:
	s_or_b32 exec_lo, exec_lo, s0
	s_cbranch_execnz .LBB105_307
.LBB105_284:
	s_cmp_lt_i32 s24, 2
	s_cbranch_scc1 .LBB105_307
; %bb.285:
	v_mul_lo_u32 v0, s47, v41
	s_wait_xcnt 0x0
	v_mul_lo_u32 v1, s49, v41
	s_cmp_lg_u32 s25, 0
	v_cmp_eq_u32_e64 s0, 0, v41
	s_cselect_b32 s12, -1, 0
	s_cmp_lg_u32 s26, 0
	v_cmp_gt_i32_e64 s1, s25, v41
	v_cmp_gt_i32_e64 s2, s26, v41
	;; [unrolled: 1-line block ×3, first 2 shown]
	v_mov_b32_e32 v2, 0
	s_cselect_b32 s13, -1, 0
	s_cmp_lg_u32 s27, 0
	s_add_nc_u64 s[6:7], s[52:53], s[50:51]
	s_mov_b32 s5, 0
	s_cselect_b32 s14, -1, 0
	s_add_co_i32 s15, s24, -2
	s_add_nc_u64 s[6:7], s[6:7], 4
	s_mul_i32 s16, s47, s21
	s_mul_i32 s17, s49, s21
	s_mov_b32 s18, 0
	s_mov_b32 s19, 0
	s_branch .LBB105_288
.LBB105_286:                            ;   in Loop: Header=BB105_288 Depth=1
	s_or_b32 exec_lo, exec_lo, s8
	s_wait_storecnt 0x0
	s_barrier_signal -1
	s_barrier_wait -1
.LBB105_287:                            ;   in Loop: Header=BB105_288 Depth=1
	s_add_co_i32 s18, s18, s43
	s_cmp_eq_u32 s4, s15
	s_add_nc_u64 s[6:7], s[6:7], 4
	s_cbranch_scc1 .LBB105_307
.LBB105_288:                            ; =>This Loop Header: Depth=1
                                        ;     Child Loop BB105_289 Depth 2
                                        ;     Child Loop BB105_296 Depth 2
	;; [unrolled: 1-line block ×4, first 2 shown]
	v_mov_b32_e32 v3, s19
	s_mov_b32 s4, s19
	s_add_co_i32 s19, s19, 1
	s_lshl_b64 s[8:9], s[4:5], 2
	s_mov_b64 s[10:11], s[6:7]
	global_load_b32 v4, v3, s[36:37] scale_offset
	s_add_nc_u64 s[8:9], s[36:37], s[8:9]
	s_mov_b32 s20, s19
.LBB105_289:                            ;   Parent Loop BB105_288 Depth=1
                                        ; =>  This Inner Loop Header: Depth=2
	global_load_b32 v5, v2, s[10:11]
	s_wait_xcnt 0x0
	s_add_nc_u64 s[10:11], s[10:11], 4
	s_wait_loadcnt 0x0
	v_cmp_gt_f32_e32 vcc_lo, v5, v4
	v_cndmask_b32_e64 v3, v3, s20, vcc_lo
	v_cndmask_b32_e32 v4, v4, v5, vcc_lo
	s_add_co_i32 s20, s20, 1
	s_delay_alu instid0(SALU_CYCLE_1)
	s_cmp_lg_u32 s24, s20
	s_cbranch_scc1 .LBB105_289
; %bb.290:                              ;   in Loop: Header=BB105_288 Depth=1
	v_cmp_eq_u32_e32 vcc_lo, s4, v3
	s_wait_storecnt 0x0
	s_barrier_signal -1
	s_barrier_wait -1
	s_cbranch_vccnz .LBB105_287
; %bb.291:                              ;   in Loop: Header=BB105_288 Depth=1
	s_and_saveexec_b32 s10, s0
	s_cbranch_execz .LBB105_293
; %bb.292:                              ;   in Loop: Header=BB105_288 Depth=1
	global_load_b32 v5, v2, s[8:9]
	s_wait_loadcnt 0x0
	s_clause 0x1
	global_store_b32 v3, v5, s[36:37] scale_offset
	global_store_b32 v2, v4, s[8:9]
.LBB105_293:                            ;   in Loop: Header=BB105_288 Depth=1
	s_wait_xcnt 0x0
	s_or_b32 exec_lo, exec_lo, s10
	s_delay_alu instid0(SALU_CYCLE_1)
	s_and_not1_b32 vcc_lo, exec_lo, s12
	s_cbranch_vccnz .LBB105_298
; %bb.294:                              ;   in Loop: Header=BB105_288 Depth=1
	s_and_saveexec_b32 s8, s1
	s_cbranch_execz .LBB105_297
; %bb.295:                              ;   in Loop: Header=BB105_288 Depth=1
	v_dual_mov_b32 v4, v0 :: v_dual_mov_b32 v5, v41
	s_mov_b32 s9, 0
.LBB105_296:                            ;   Parent Loop BB105_288 Depth=1
                                        ; =>  This Inner Loop Header: Depth=2
	s_delay_alu instid0(VALU_DEP_1) | instskip(NEXT) | instid1(VALU_DEP_2)
	v_dual_add_nc_u32 v10, s4, v4 :: v_dual_add_nc_u32 v11, v3, v4
	v_dual_add_nc_u32 v5, s21, v5 :: v_dual_add_nc_u32 v4, s16, v4
	s_clause 0x1
	global_load_b64 v[6:7], v10, s[34:35] scale_offset
	global_load_b64 v[8:9], v11, s[34:35] scale_offset
	s_wait_loadcnt 0x1
	global_store_b64 v11, v[6:7], s[34:35] scale_offset
	s_wait_loadcnt 0x0
	global_store_b64 v10, v[8:9], s[34:35] scale_offset
	v_cmp_le_i32_e32 vcc_lo, s25, v5
	s_or_b32 s9, vcc_lo, s9
	s_wait_xcnt 0x0
	s_and_not1_b32 exec_lo, exec_lo, s9
	s_cbranch_execnz .LBB105_296
.LBB105_297:                            ;   in Loop: Header=BB105_288 Depth=1
	s_or_b32 exec_lo, exec_lo, s8
	s_wait_storecnt 0x0
	s_barrier_signal -1
	s_barrier_wait -1
.LBB105_298:                            ;   in Loop: Header=BB105_288 Depth=1
	s_and_not1_b32 vcc_lo, exec_lo, s13
	s_cbranch_vccnz .LBB105_303
; %bb.299:                              ;   in Loop: Header=BB105_288 Depth=1
	s_and_saveexec_b32 s8, s2
	s_cbranch_execz .LBB105_302
; %bb.300:                              ;   in Loop: Header=BB105_288 Depth=1
	v_mul_lo_u32 v4, v3, s43
	v_mov_b32_e32 v5, v41
	s_mov_b32 s9, 0
.LBB105_301:                            ;   Parent Loop BB105_288 Depth=1
                                        ; =>  This Inner Loop Header: Depth=2
	s_delay_alu instid0(VALU_DEP_1)
	v_dual_add_nc_u32 v10, s18, v5 :: v_dual_add_nc_u32 v11, v4, v5
	v_add_nc_u32_e32 v5, s21, v5
	s_clause 0x1
	global_load_b64 v[6:7], v10, s[28:29] scale_offset
	global_load_b64 v[8:9], v11, s[28:29] scale_offset
	s_wait_loadcnt 0x1
	global_store_b64 v11, v[6:7], s[28:29] scale_offset
	s_wait_loadcnt 0x0
	global_store_b64 v10, v[8:9], s[28:29] scale_offset
	v_cmp_le_i32_e32 vcc_lo, s26, v5
	s_or_b32 s9, vcc_lo, s9
	s_wait_xcnt 0x0
	s_and_not1_b32 exec_lo, exec_lo, s9
	s_cbranch_execnz .LBB105_301
.LBB105_302:                            ;   in Loop: Header=BB105_288 Depth=1
	s_or_b32 exec_lo, exec_lo, s8
	s_wait_storecnt 0x0
	s_barrier_signal -1
	s_barrier_wait -1
.LBB105_303:                            ;   in Loop: Header=BB105_288 Depth=1
	s_and_not1_b32 vcc_lo, exec_lo, s14
	s_cbranch_vccnz .LBB105_287
; %bb.304:                              ;   in Loop: Header=BB105_288 Depth=1
	s_and_saveexec_b32 s8, s3
	s_cbranch_execz .LBB105_286
; %bb.305:                              ;   in Loop: Header=BB105_288 Depth=1
	v_dual_mov_b32 v4, v1 :: v_dual_mov_b32 v5, v41
	s_mov_b32 s9, 0
.LBB105_306:                            ;   Parent Loop BB105_288 Depth=1
                                        ; =>  This Inner Loop Header: Depth=2
	s_delay_alu instid0(VALU_DEP_1) | instskip(NEXT) | instid1(VALU_DEP_2)
	v_dual_add_nc_u32 v10, s4, v4 :: v_dual_add_nc_u32 v11, v3, v4
	v_dual_add_nc_u32 v5, s21, v5 :: v_dual_add_nc_u32 v4, s17, v4
	s_clause 0x1
	global_load_b64 v[6:7], v10, s[44:45] scale_offset
	global_load_b64 v[8:9], v11, s[44:45] scale_offset
	s_wait_loadcnt 0x1
	global_store_b64 v11, v[6:7], s[44:45] scale_offset
	s_wait_loadcnt 0x0
	global_store_b64 v10, v[8:9], s[44:45] scale_offset
	v_cmp_le_i32_e32 vcc_lo, s27, v5
	s_or_b32 s9, vcc_lo, s9
	s_wait_xcnt 0x0
	s_and_not1_b32 exec_lo, exec_lo, s9
	s_cbranch_execnz .LBB105_306
	s_branch .LBB105_286
.LBB105_307:
	s_mov_b32 s2, 0
.LBB105_308:
	s_delay_alu instid0(SALU_CYCLE_1)
	s_and_not1_b32 vcc_lo, exec_lo, s2
	s_cbranch_vccnz .LBB105_311
; %bb.309:
	s_mov_b32 s0, exec_lo
	s_wait_xcnt 0x0
	v_cmpx_eq_u32_e32 0, v41
	s_cbranch_execz .LBB105_311
; %bb.310:
	v_dual_mov_b32 v0, 0 :: v_dual_mov_b32 v1, s42
	s_add_nc_u64 s[0:1], s[38:39], s[22:23]
	global_store_b32 v0, v1, s[0:1]
.LBB105_311:
	s_endpgm
	.section	.rodata,"a",@progbits
	.p2align	6, 0x0
	.amdhsa_kernel _ZN9rocsolver6v33100L14bdsqr_finalizeI19rocblas_complex_numIfEfPS3_S4_S4_EEviiiiPT0_lS6_lT1_iilT2_iilT3_iilPiSA_SA_
		.amdhsa_group_segment_fixed_size 0
		.amdhsa_private_segment_fixed_size 64
		.amdhsa_kernarg_size 400
		.amdhsa_user_sgpr_count 2
		.amdhsa_user_sgpr_dispatch_ptr 0
		.amdhsa_user_sgpr_queue_ptr 0
		.amdhsa_user_sgpr_kernarg_segment_ptr 1
		.amdhsa_user_sgpr_dispatch_id 0
		.amdhsa_user_sgpr_kernarg_preload_length 0
		.amdhsa_user_sgpr_kernarg_preload_offset 0
		.amdhsa_user_sgpr_private_segment_size 0
		.amdhsa_wavefront_size32 1
		.amdhsa_uses_dynamic_stack 0
		.amdhsa_enable_private_segment 1
		.amdhsa_system_sgpr_workgroup_id_x 1
		.amdhsa_system_sgpr_workgroup_id_y 1
		.amdhsa_system_sgpr_workgroup_id_z 0
		.amdhsa_system_sgpr_workgroup_info 0
		.amdhsa_system_vgpr_workitem_id 2
		.amdhsa_next_free_vgpr 49
		.amdhsa_next_free_sgpr 60
		.amdhsa_named_barrier_count 0
		.amdhsa_reserve_vcc 1
		.amdhsa_float_round_mode_32 0
		.amdhsa_float_round_mode_16_64 0
		.amdhsa_float_denorm_mode_32 3
		.amdhsa_float_denorm_mode_16_64 3
		.amdhsa_fp16_overflow 0
		.amdhsa_memory_ordered 1
		.amdhsa_forward_progress 1
		.amdhsa_inst_pref_size 63
		.amdhsa_round_robin_scheduling 0
		.amdhsa_exception_fp_ieee_invalid_op 0
		.amdhsa_exception_fp_denorm_src 0
		.amdhsa_exception_fp_ieee_div_zero 0
		.amdhsa_exception_fp_ieee_overflow 0
		.amdhsa_exception_fp_ieee_underflow 0
		.amdhsa_exception_fp_ieee_inexact 0
		.amdhsa_exception_int_div_zero 0
	.end_amdhsa_kernel
	.section	.text._ZN9rocsolver6v33100L14bdsqr_finalizeI19rocblas_complex_numIfEfPS3_S4_S4_EEviiiiPT0_lS6_lT1_iilT2_iilT3_iilPiSA_SA_,"axG",@progbits,_ZN9rocsolver6v33100L14bdsqr_finalizeI19rocblas_complex_numIfEfPS3_S4_S4_EEviiiiPT0_lS6_lT1_iilT2_iilT3_iilPiSA_SA_,comdat
.Lfunc_end105:
	.size	_ZN9rocsolver6v33100L14bdsqr_finalizeI19rocblas_complex_numIfEfPS3_S4_S4_EEviiiiPT0_lS6_lT1_iilT2_iilT3_iilPiSA_SA_, .Lfunc_end105-_ZN9rocsolver6v33100L14bdsqr_finalizeI19rocblas_complex_numIfEfPS3_S4_S4_EEviiiiPT0_lS6_lT1_iilT2_iilT3_iilPiSA_SA_
                                        ; -- End function
	.set _ZN9rocsolver6v33100L14bdsqr_finalizeI19rocblas_complex_numIfEfPS3_S4_S4_EEviiiiPT0_lS6_lT1_iilT2_iilT3_iilPiSA_SA_.num_vgpr, max(45, .L__assert_fail.num_vgpr)
	.set _ZN9rocsolver6v33100L14bdsqr_finalizeI19rocblas_complex_numIfEfPS3_S4_S4_EEviiiiPT0_lS6_lT1_iilT2_iilT3_iilPiSA_SA_.num_agpr, max(0, .L__assert_fail.num_agpr)
	.set _ZN9rocsolver6v33100L14bdsqr_finalizeI19rocblas_complex_numIfEfPS3_S4_S4_EEviiiiPT0_lS6_lT1_iilT2_iilT3_iilPiSA_SA_.numbered_sgpr, max(60, .L__assert_fail.numbered_sgpr)
	.set _ZN9rocsolver6v33100L14bdsqr_finalizeI19rocblas_complex_numIfEfPS3_S4_S4_EEviiiiPT0_lS6_lT1_iilT2_iilT3_iilPiSA_SA_.num_named_barrier, max(0, .L__assert_fail.num_named_barrier)
	.set _ZN9rocsolver6v33100L14bdsqr_finalizeI19rocblas_complex_numIfEfPS3_S4_S4_EEviiiiPT0_lS6_lT1_iilT2_iilT3_iilPiSA_SA_.private_seg_size, 0+max(.L__assert_fail.private_seg_size)
	.set _ZN9rocsolver6v33100L14bdsqr_finalizeI19rocblas_complex_numIfEfPS3_S4_S4_EEviiiiPT0_lS6_lT1_iilT2_iilT3_iilPiSA_SA_.uses_vcc, or(1, .L__assert_fail.uses_vcc)
	.set _ZN9rocsolver6v33100L14bdsqr_finalizeI19rocblas_complex_numIfEfPS3_S4_S4_EEviiiiPT0_lS6_lT1_iilT2_iilT3_iilPiSA_SA_.uses_flat_scratch, or(0, .L__assert_fail.uses_flat_scratch)
	.set _ZN9rocsolver6v33100L14bdsqr_finalizeI19rocblas_complex_numIfEfPS3_S4_S4_EEviiiiPT0_lS6_lT1_iilT2_iilT3_iilPiSA_SA_.has_dyn_sized_stack, or(0, .L__assert_fail.has_dyn_sized_stack)
	.set _ZN9rocsolver6v33100L14bdsqr_finalizeI19rocblas_complex_numIfEfPS3_S4_S4_EEviiiiPT0_lS6_lT1_iilT2_iilT3_iilPiSA_SA_.has_recursion, or(0, .L__assert_fail.has_recursion)
	.set _ZN9rocsolver6v33100L14bdsqr_finalizeI19rocblas_complex_numIfEfPS3_S4_S4_EEviiiiPT0_lS6_lT1_iilT2_iilT3_iilPiSA_SA_.has_indirect_call, or(0, .L__assert_fail.has_indirect_call)
	.section	.AMDGPU.csdata,"",@progbits
; Kernel info:
; codeLenInByte = 8052
; TotalNumSgprs: 62
; NumVgprs: 49
; ScratchSize: 64
; MemoryBound: 0
; FloatMode: 240
; IeeeMode: 1
; LDSByteSize: 0 bytes/workgroup (compile time only)
; SGPRBlocks: 0
; VGPRBlocks: 3
; NumSGPRsForWavesPerEU: 62
; NumVGPRsForWavesPerEU: 49
; NamedBarCnt: 0
; Occupancy: 16
; WaveLimiterHint : 1
; COMPUTE_PGM_RSRC2:SCRATCH_EN: 1
; COMPUTE_PGM_RSRC2:USER_SGPR: 2
; COMPUTE_PGM_RSRC2:TRAP_HANDLER: 0
; COMPUTE_PGM_RSRC2:TGID_X_EN: 1
; COMPUTE_PGM_RSRC2:TGID_Y_EN: 1
; COMPUTE_PGM_RSRC2:TGID_Z_EN: 0
; COMPUTE_PGM_RSRC2:TIDIG_COMP_CNT: 2
	.section	.text._ZN9rocsolver6v33100L8copy_matI19rocblas_complex_numIfEPS3_S4_NS0_7no_maskEEEviiT0_iilT1_iilT2_13rocblas_fill_17rocblas_diagonal_,"axG",@progbits,_ZN9rocsolver6v33100L8copy_matI19rocblas_complex_numIfEPS3_S4_NS0_7no_maskEEEviiT0_iilT1_iilT2_13rocblas_fill_17rocblas_diagonal_,comdat
	.globl	_ZN9rocsolver6v33100L8copy_matI19rocblas_complex_numIfEPS3_S4_NS0_7no_maskEEEviiT0_iilT1_iilT2_13rocblas_fill_17rocblas_diagonal_ ; -- Begin function _ZN9rocsolver6v33100L8copy_matI19rocblas_complex_numIfEPS3_S4_NS0_7no_maskEEEviiT0_iilT1_iilT2_13rocblas_fill_17rocblas_diagonal_
	.p2align	8
	.type	_ZN9rocsolver6v33100L8copy_matI19rocblas_complex_numIfEPS3_S4_NS0_7no_maskEEEviiT0_iilT1_iilT2_13rocblas_fill_17rocblas_diagonal_,@function
_ZN9rocsolver6v33100L8copy_matI19rocblas_complex_numIfEPS3_S4_NS0_7no_maskEEEviiT0_iilT1_iilT2_13rocblas_fill_17rocblas_diagonal_: ; @_ZN9rocsolver6v33100L8copy_matI19rocblas_complex_numIfEPS3_S4_NS0_7no_maskEEEviiT0_iilT1_iilT2_13rocblas_fill_17rocblas_diagonal_
; %bb.0:
	s_clause 0x1
	s_load_b32 s2, s[0:1], 0x54
	s_load_b64 s[4:5], s[0:1], 0x0
	s_bfe_u32 s7, ttmp6, 0x4000c
	s_bfe_u32 s9, ttmp6, 0x40010
	s_and_b32 s8, ttmp7, 0xffff
	s_add_co_i32 s7, s7, 1
	s_add_co_i32 s9, s9, 1
	s_and_b32 s6, ttmp6, 15
	s_bfe_u32 s10, ttmp6, 0x40004
	s_mul_i32 s7, ttmp9, s7
	s_mul_i32 s9, s8, s9
	s_getreg_b32 s3, hwreg(HW_REG_IB_STS2, 6, 4)
	v_bfe_u32 v1, v0, 10, 10
	v_and_b32_e32 v0, 0x3ff, v0
	s_add_co_i32 s6, s6, s7
	s_add_co_i32 s10, s10, s9
	s_wait_kmcnt 0x0
	s_lshr_b32 s7, s2, 16
	s_and_b32 s2, s2, 0xffff
	s_cmp_eq_u32 s3, 0
	s_cselect_b32 s6, ttmp9, s6
	s_cselect_b32 s8, s8, s10
	v_mad_u32 v0, s6, s2, v0
	v_mad_u32 v1, s8, s7, v1
	s_delay_alu instid0(VALU_DEP_2) | instskip(NEXT) | instid1(VALU_DEP_2)
	v_cmp_gt_u32_e32 vcc_lo, s4, v0
	v_cmp_gt_u32_e64 s2, s5, v1
	s_and_b32 s2, s2, vcc_lo
	s_delay_alu instid0(SALU_CYCLE_1)
	s_and_saveexec_b32 s4, s2
	s_cbranch_execz .LBB106_14
; %bb.1:
	s_load_b64 s[4:5], s[0:1], 0x3c
	s_wait_kmcnt 0x0
	s_cmp_lt_i32 s4, 0x7a
	s_cbranch_scc1 .LBB106_4
; %bb.2:
	s_cmp_gt_i32 s4, 0x7a
	s_cbranch_scc0 .LBB106_5
; %bb.3:
	s_cmp_lg_u32 s4, 0x7b
	s_mov_b32 s6, -1
	s_cselect_b32 s7, -1, 0
	s_cbranch_execz .LBB106_6
	s_branch .LBB106_7
.LBB106_4:
	s_mov_b32 s7, 0
	s_mov_b32 s6, 0
	s_cbranch_execnz .LBB106_8
	s_branch .LBB106_10
.LBB106_5:
	s_mov_b32 s6, 0
	s_mov_b32 s7, 0
.LBB106_6:
	v_cmp_gt_u32_e32 vcc_lo, v0, v1
	v_cmp_le_u32_e64 s2, v0, v1
	s_and_not1_b32 s6, s6, exec_lo
	s_and_not1_b32 s7, s7, exec_lo
	s_and_b32 s8, vcc_lo, exec_lo
	s_and_b32 s2, s2, exec_lo
	s_or_b32 s6, s6, s8
	s_or_b32 s7, s7, s2
.LBB106_7:
	s_branch .LBB106_10
.LBB106_8:
	s_cmp_eq_u32 s4, 0x79
	s_mov_b32 s7, -1
	s_cbranch_scc0 .LBB106_10
; %bb.9:
	v_cmp_gt_u32_e32 vcc_lo, v1, v0
	v_cmp_le_u32_e64 s2, v1, v0
	s_and_not1_b32 s4, s6, exec_lo
	s_and_b32 s6, vcc_lo, exec_lo
	s_or_not1_b32 s7, s2, exec_lo
	s_or_b32 s6, s4, s6
.LBB106_10:
	s_and_saveexec_b32 s2, s7
; %bb.11:
	v_cmp_eq_u32_e32 vcc_lo, v0, v1
	s_cmp_eq_u32 s5, 0x83
	s_cselect_b32 s4, -1, 0
	s_and_not1_b32 s5, s6, exec_lo
	s_and_b32 s4, s4, vcc_lo
	s_delay_alu instid0(SALU_CYCLE_1) | instskip(NEXT) | instid1(SALU_CYCLE_1)
	s_and_b32 s4, s4, exec_lo
	s_or_b32 s6, s5, s4
; %bb.12:
	s_or_b32 exec_lo, exec_lo, s2
	s_delay_alu instid0(SALU_CYCLE_1)
	s_and_b32 exec_lo, exec_lo, s6
	s_cbranch_execz .LBB106_14
; %bb.13:
	s_load_b256 s[4:11], s[0:1], 0x8
	s_bfe_u32 s2, ttmp6, 0x40014
	s_lshr_b32 s12, ttmp7, 16
	s_add_co_i32 s2, s2, 1
	s_bfe_u32 s14, ttmp6, 0x40008
	s_mul_i32 s2, s12, s2
	s_mov_b32 s13, 0
	s_add_co_i32 s14, s14, s2
	s_wait_kmcnt 0x0
	s_ashr_i32 s15, s6, 31
	s_cmp_eq_u32 s3, 0
	v_mad_u32 v2, v1, s7, v0
	s_cselect_b32 s12, s12, s14
	s_mov_b32 s14, s6
	s_mul_u64 s[2:3], s[8:9], s[12:13]
	s_delay_alu instid0(SALU_CYCLE_1) | instskip(NEXT) | instid1(SALU_CYCLE_1)
	s_lshl_b64 s[2:3], s[2:3], 3
	s_add_nc_u64 s[2:3], s[4:5], s[2:3]
	s_lshl_b64 s[4:5], s[14:15], 3
	s_delay_alu instid0(SALU_CYCLE_1)
	s_add_nc_u64 s[2:3], s[2:3], s[4:5]
	s_load_b128 s[4:7], s[0:1], 0x28
	global_load_b64 v[2:3], v2, s[2:3] scale_offset
	s_wait_kmcnt 0x0
	v_mad_u32 v0, v1, s5, v0
	s_mul_u64 s[0:1], s[6:7], s[12:13]
	s_wait_xcnt 0x0
	s_ashr_i32 s3, s4, 31
	s_lshl_b64 s[0:1], s[0:1], 3
	s_mov_b32 s2, s4
	s_add_nc_u64 s[0:1], s[10:11], s[0:1]
	s_lshl_b64 s[2:3], s[2:3], 3
	s_delay_alu instid0(SALU_CYCLE_1)
	s_add_nc_u64 s[0:1], s[0:1], s[2:3]
	s_wait_loadcnt 0x0
	global_store_b64 v0, v[2:3], s[0:1] scale_offset
.LBB106_14:
	s_endpgm
	.section	.rodata,"a",@progbits
	.p2align	6, 0x0
	.amdhsa_kernel _ZN9rocsolver6v33100L8copy_matI19rocblas_complex_numIfEPS3_S4_NS0_7no_maskEEEviiT0_iilT1_iilT2_13rocblas_fill_17rocblas_diagonal_
		.amdhsa_group_segment_fixed_size 0
		.amdhsa_private_segment_fixed_size 0
		.amdhsa_kernarg_size 328
		.amdhsa_user_sgpr_count 2
		.amdhsa_user_sgpr_dispatch_ptr 0
		.amdhsa_user_sgpr_queue_ptr 0
		.amdhsa_user_sgpr_kernarg_segment_ptr 1
		.amdhsa_user_sgpr_dispatch_id 0
		.amdhsa_user_sgpr_kernarg_preload_length 0
		.amdhsa_user_sgpr_kernarg_preload_offset 0
		.amdhsa_user_sgpr_private_segment_size 0
		.amdhsa_wavefront_size32 1
		.amdhsa_uses_dynamic_stack 0
		.amdhsa_enable_private_segment 0
		.amdhsa_system_sgpr_workgroup_id_x 1
		.amdhsa_system_sgpr_workgroup_id_y 1
		.amdhsa_system_sgpr_workgroup_id_z 1
		.amdhsa_system_sgpr_workgroup_info 0
		.amdhsa_system_vgpr_workitem_id 1
		.amdhsa_next_free_vgpr 4
		.amdhsa_next_free_sgpr 16
		.amdhsa_named_barrier_count 0
		.amdhsa_reserve_vcc 1
		.amdhsa_float_round_mode_32 0
		.amdhsa_float_round_mode_16_64 0
		.amdhsa_float_denorm_mode_32 3
		.amdhsa_float_denorm_mode_16_64 3
		.amdhsa_fp16_overflow 0
		.amdhsa_memory_ordered 1
		.amdhsa_forward_progress 1
		.amdhsa_inst_pref_size 5
		.amdhsa_round_robin_scheduling 0
		.amdhsa_exception_fp_ieee_invalid_op 0
		.amdhsa_exception_fp_denorm_src 0
		.amdhsa_exception_fp_ieee_div_zero 0
		.amdhsa_exception_fp_ieee_overflow 0
		.amdhsa_exception_fp_ieee_underflow 0
		.amdhsa_exception_fp_ieee_inexact 0
		.amdhsa_exception_int_div_zero 0
	.end_amdhsa_kernel
	.section	.text._ZN9rocsolver6v33100L8copy_matI19rocblas_complex_numIfEPS3_S4_NS0_7no_maskEEEviiT0_iilT1_iilT2_13rocblas_fill_17rocblas_diagonal_,"axG",@progbits,_ZN9rocsolver6v33100L8copy_matI19rocblas_complex_numIfEPS3_S4_NS0_7no_maskEEEviiT0_iilT1_iilT2_13rocblas_fill_17rocblas_diagonal_,comdat
.Lfunc_end106:
	.size	_ZN9rocsolver6v33100L8copy_matI19rocblas_complex_numIfEPS3_S4_NS0_7no_maskEEEviiT0_iilT1_iilT2_13rocblas_fill_17rocblas_diagonal_, .Lfunc_end106-_ZN9rocsolver6v33100L8copy_matI19rocblas_complex_numIfEPS3_S4_NS0_7no_maskEEEviiT0_iilT1_iilT2_13rocblas_fill_17rocblas_diagonal_
                                        ; -- End function
	.set _ZN9rocsolver6v33100L8copy_matI19rocblas_complex_numIfEPS3_S4_NS0_7no_maskEEEviiT0_iilT1_iilT2_13rocblas_fill_17rocblas_diagonal_.num_vgpr, 4
	.set _ZN9rocsolver6v33100L8copy_matI19rocblas_complex_numIfEPS3_S4_NS0_7no_maskEEEviiT0_iilT1_iilT2_13rocblas_fill_17rocblas_diagonal_.num_agpr, 0
	.set _ZN9rocsolver6v33100L8copy_matI19rocblas_complex_numIfEPS3_S4_NS0_7no_maskEEEviiT0_iilT1_iilT2_13rocblas_fill_17rocblas_diagonal_.numbered_sgpr, 16
	.set _ZN9rocsolver6v33100L8copy_matI19rocblas_complex_numIfEPS3_S4_NS0_7no_maskEEEviiT0_iilT1_iilT2_13rocblas_fill_17rocblas_diagonal_.num_named_barrier, 0
	.set _ZN9rocsolver6v33100L8copy_matI19rocblas_complex_numIfEPS3_S4_NS0_7no_maskEEEviiT0_iilT1_iilT2_13rocblas_fill_17rocblas_diagonal_.private_seg_size, 0
	.set _ZN9rocsolver6v33100L8copy_matI19rocblas_complex_numIfEPS3_S4_NS0_7no_maskEEEviiT0_iilT1_iilT2_13rocblas_fill_17rocblas_diagonal_.uses_vcc, 1
	.set _ZN9rocsolver6v33100L8copy_matI19rocblas_complex_numIfEPS3_S4_NS0_7no_maskEEEviiT0_iilT1_iilT2_13rocblas_fill_17rocblas_diagonal_.uses_flat_scratch, 0
	.set _ZN9rocsolver6v33100L8copy_matI19rocblas_complex_numIfEPS3_S4_NS0_7no_maskEEEviiT0_iilT1_iilT2_13rocblas_fill_17rocblas_diagonal_.has_dyn_sized_stack, 0
	.set _ZN9rocsolver6v33100L8copy_matI19rocblas_complex_numIfEPS3_S4_NS0_7no_maskEEEviiT0_iilT1_iilT2_13rocblas_fill_17rocblas_diagonal_.has_recursion, 0
	.set _ZN9rocsolver6v33100L8copy_matI19rocblas_complex_numIfEPS3_S4_NS0_7no_maskEEEviiT0_iilT1_iilT2_13rocblas_fill_17rocblas_diagonal_.has_indirect_call, 0
	.section	.AMDGPU.csdata,"",@progbits
; Kernel info:
; codeLenInByte = 588
; TotalNumSgprs: 18
; NumVgprs: 4
; ScratchSize: 0
; MemoryBound: 0
; FloatMode: 240
; IeeeMode: 1
; LDSByteSize: 0 bytes/workgroup (compile time only)
; SGPRBlocks: 0
; VGPRBlocks: 0
; NumSGPRsForWavesPerEU: 18
; NumVGPRsForWavesPerEU: 4
; NamedBarCnt: 0
; Occupancy: 16
; WaveLimiterHint : 0
; COMPUTE_PGM_RSRC2:SCRATCH_EN: 0
; COMPUTE_PGM_RSRC2:USER_SGPR: 2
; COMPUTE_PGM_RSRC2:TRAP_HANDLER: 0
; COMPUTE_PGM_RSRC2:TGID_X_EN: 1
; COMPUTE_PGM_RSRC2:TGID_Y_EN: 1
; COMPUTE_PGM_RSRC2:TGID_Z_EN: 1
; COMPUTE_PGM_RSRC2:TIDIG_COMP_CNT: 1
	.section	.text._ZN9rocsolver6v33100L6iota_nI19rocblas_complex_numIdEEEvPT_jS4_,"axG",@progbits,_ZN9rocsolver6v33100L6iota_nI19rocblas_complex_numIdEEEvPT_jS4_,comdat
	.globl	_ZN9rocsolver6v33100L6iota_nI19rocblas_complex_numIdEEEvPT_jS4_ ; -- Begin function _ZN9rocsolver6v33100L6iota_nI19rocblas_complex_numIdEEEvPT_jS4_
	.p2align	8
	.type	_ZN9rocsolver6v33100L6iota_nI19rocblas_complex_numIdEEEvPT_jS4_,@function
_ZN9rocsolver6v33100L6iota_nI19rocblas_complex_numIdEEEvPT_jS4_: ; @_ZN9rocsolver6v33100L6iota_nI19rocblas_complex_numIdEEEvPT_jS4_
; %bb.0:
	s_load_b32 s2, s[0:1], 0x8
	s_wait_kmcnt 0x0
	v_cmp_gt_u32_e32 vcc_lo, s2, v0
	s_and_saveexec_b32 s2, vcc_lo
	s_cbranch_execz .LBB107_2
; %bb.1:
	v_cvt_f64_u32_e32 v[2:3], v0
	s_load_b128 s[4:7], s[0:1], 0x10
	s_wait_kmcnt 0x0
	v_add_f64_e64 v[4:5], s[6:7], 0
	s_load_b64 s[0:1], s[0:1], 0x0
	s_delay_alu instid0(VALU_DEP_2)
	v_add_f64_e32 v[2:3], s[4:5], v[2:3]
	s_wait_kmcnt 0x0
	global_store_b128 v0, v[2:5], s[0:1] scale_offset
.LBB107_2:
	s_endpgm
	.section	.rodata,"a",@progbits
	.p2align	6, 0x0
	.amdhsa_kernel _ZN9rocsolver6v33100L6iota_nI19rocblas_complex_numIdEEEvPT_jS4_
		.amdhsa_group_segment_fixed_size 0
		.amdhsa_private_segment_fixed_size 0
		.amdhsa_kernarg_size 32
		.amdhsa_user_sgpr_count 2
		.amdhsa_user_sgpr_dispatch_ptr 0
		.amdhsa_user_sgpr_queue_ptr 0
		.amdhsa_user_sgpr_kernarg_segment_ptr 1
		.amdhsa_user_sgpr_dispatch_id 0
		.amdhsa_user_sgpr_kernarg_preload_length 0
		.amdhsa_user_sgpr_kernarg_preload_offset 0
		.amdhsa_user_sgpr_private_segment_size 0
		.amdhsa_wavefront_size32 1
		.amdhsa_uses_dynamic_stack 0
		.amdhsa_enable_private_segment 0
		.amdhsa_system_sgpr_workgroup_id_x 1
		.amdhsa_system_sgpr_workgroup_id_y 0
		.amdhsa_system_sgpr_workgroup_id_z 0
		.amdhsa_system_sgpr_workgroup_info 0
		.amdhsa_system_vgpr_workitem_id 0
		.amdhsa_next_free_vgpr 6
		.amdhsa_next_free_sgpr 8
		.amdhsa_named_barrier_count 0
		.amdhsa_reserve_vcc 1
		.amdhsa_float_round_mode_32 0
		.amdhsa_float_round_mode_16_64 0
		.amdhsa_float_denorm_mode_32 3
		.amdhsa_float_denorm_mode_16_64 3
		.amdhsa_fp16_overflow 0
		.amdhsa_memory_ordered 1
		.amdhsa_forward_progress 1
		.amdhsa_inst_pref_size 1
		.amdhsa_round_robin_scheduling 0
		.amdhsa_exception_fp_ieee_invalid_op 0
		.amdhsa_exception_fp_denorm_src 0
		.amdhsa_exception_fp_ieee_div_zero 0
		.amdhsa_exception_fp_ieee_overflow 0
		.amdhsa_exception_fp_ieee_underflow 0
		.amdhsa_exception_fp_ieee_inexact 0
		.amdhsa_exception_int_div_zero 0
	.end_amdhsa_kernel
	.section	.text._ZN9rocsolver6v33100L6iota_nI19rocblas_complex_numIdEEEvPT_jS4_,"axG",@progbits,_ZN9rocsolver6v33100L6iota_nI19rocblas_complex_numIdEEEvPT_jS4_,comdat
.Lfunc_end107:
	.size	_ZN9rocsolver6v33100L6iota_nI19rocblas_complex_numIdEEEvPT_jS4_, .Lfunc_end107-_ZN9rocsolver6v33100L6iota_nI19rocblas_complex_numIdEEEvPT_jS4_
                                        ; -- End function
	.set _ZN9rocsolver6v33100L6iota_nI19rocblas_complex_numIdEEEvPT_jS4_.num_vgpr, 6
	.set _ZN9rocsolver6v33100L6iota_nI19rocblas_complex_numIdEEEvPT_jS4_.num_agpr, 0
	.set _ZN9rocsolver6v33100L6iota_nI19rocblas_complex_numIdEEEvPT_jS4_.numbered_sgpr, 8
	.set _ZN9rocsolver6v33100L6iota_nI19rocblas_complex_numIdEEEvPT_jS4_.num_named_barrier, 0
	.set _ZN9rocsolver6v33100L6iota_nI19rocblas_complex_numIdEEEvPT_jS4_.private_seg_size, 0
	.set _ZN9rocsolver6v33100L6iota_nI19rocblas_complex_numIdEEEvPT_jS4_.uses_vcc, 1
	.set _ZN9rocsolver6v33100L6iota_nI19rocblas_complex_numIdEEEvPT_jS4_.uses_flat_scratch, 0
	.set _ZN9rocsolver6v33100L6iota_nI19rocblas_complex_numIdEEEvPT_jS4_.has_dyn_sized_stack, 0
	.set _ZN9rocsolver6v33100L6iota_nI19rocblas_complex_numIdEEEvPT_jS4_.has_recursion, 0
	.set _ZN9rocsolver6v33100L6iota_nI19rocblas_complex_numIdEEEvPT_jS4_.has_indirect_call, 0
	.section	.AMDGPU.csdata,"",@progbits
; Kernel info:
; codeLenInByte = 84
; TotalNumSgprs: 10
; NumVgprs: 6
; ScratchSize: 0
; MemoryBound: 0
; FloatMode: 240
; IeeeMode: 1
; LDSByteSize: 0 bytes/workgroup (compile time only)
; SGPRBlocks: 0
; VGPRBlocks: 0
; NumSGPRsForWavesPerEU: 10
; NumVGPRsForWavesPerEU: 6
; NamedBarCnt: 0
; Occupancy: 16
; WaveLimiterHint : 0
; COMPUTE_PGM_RSRC2:SCRATCH_EN: 0
; COMPUTE_PGM_RSRC2:USER_SGPR: 2
; COMPUTE_PGM_RSRC2:TRAP_HANDLER: 0
; COMPUTE_PGM_RSRC2:TGID_X_EN: 1
; COMPUTE_PGM_RSRC2:TGID_Y_EN: 0
; COMPUTE_PGM_RSRC2:TGID_Z_EN: 0
; COMPUTE_PGM_RSRC2:TIDIG_COMP_CNT: 0
	.section	.text._ZN9rocsolver6v33100L18geqr2_kernel_smallILi256E19rocblas_complex_numIdEidPS3_EEvT1_S5_T3_lS5_lPT2_lPT0_l,"axG",@progbits,_ZN9rocsolver6v33100L18geqr2_kernel_smallILi256E19rocblas_complex_numIdEidPS3_EEvT1_S5_T3_lS5_lPT2_lPT0_l,comdat
	.globl	_ZN9rocsolver6v33100L18geqr2_kernel_smallILi256E19rocblas_complex_numIdEidPS3_EEvT1_S5_T3_lS5_lPT2_lPT0_l ; -- Begin function _ZN9rocsolver6v33100L18geqr2_kernel_smallILi256E19rocblas_complex_numIdEidPS3_EEvT1_S5_T3_lS5_lPT2_lPT0_l
	.p2align	8
	.type	_ZN9rocsolver6v33100L18geqr2_kernel_smallILi256E19rocblas_complex_numIdEidPS3_EEvT1_S5_T3_lS5_lPT2_lPT0_l,@function
_ZN9rocsolver6v33100L18geqr2_kernel_smallILi256E19rocblas_complex_numIdEidPS3_EEvT1_S5_T3_lS5_lPT2_lPT0_l: ; @_ZN9rocsolver6v33100L18geqr2_kernel_smallILi256E19rocblas_complex_numIdEidPS3_EEvT1_S5_T3_lS5_lPT2_lPT0_l
; %bb.0:
	s_clause 0x4
	s_load_b256 s[4:11], s[0:1], 0x20
	s_load_b64 s[16:17], s[0:1], 0x0
	s_load_b128 s[12:15], s[0:1], 0x8
	s_load_b32 s20, s[0:1], 0x18
	s_load_b64 s[2:3], s[0:1], 0x40
	s_bfe_u32 s19, ttmp6, 0x40014
	s_lshr_b32 s18, ttmp7, 16
	s_add_co_i32 s19, s19, 1
	s_wait_xcnt 0x0
	s_bfe_u32 s0, ttmp6, 0x40008
	s_mul_i32 s19, s18, s19
	s_getreg_b32 s1, hwreg(HW_REG_IB_STS2, 6, 4)
	s_add_co_i32 s0, s0, s19
	s_cmp_eq_u32 s1, 0
	v_and_b32_e32 v1, 0x7f, v0
	s_mov_b32 s19, 0
	s_cselect_b32 s18, s18, s0
	s_delay_alu instid0(VALU_DEP_1) | instskip(SKIP_2) | instid1(SALU_CYCLE_1)
	v_dual_lshrrev_b32 v16, 7, v0 :: v_dual_lshlrev_b32 v17, 4, v1
	s_wait_kmcnt 0x0
	s_mul_u64 s[0:1], s[4:5], s[18:19]
	s_lshl_b64 s[4:5], s[0:1], 4
	v_cmp_gt_i32_e64 s0, s16, v1
	s_add_nc_u64 s[4:5], s[12:13], s[4:5]
	s_lshl_b64 s[12:13], s[14:15], 4
	s_delay_alu instid0(SALU_CYCLE_1)
	s_add_nc_u64 s[12:13], s[4:5], s[12:13]
	s_and_saveexec_b32 s4, s0
	s_cbranch_execz .LBB108_6
; %bb.1:
	v_dual_mov_b32 v5, v1 :: v_dual_lshrrev_b32 v2, 7, v0
	s_lshl_b32 s5, s16, 5
	s_lshl_b32 s14, s20, 1
	s_mov_b32 s15, s19
	s_delay_alu instid0(VALU_DEP_1) | instskip(SKIP_2) | instid1(VALU_DEP_3)
	v_mul_lo_u32 v4, s16, v2
	v_mad_u32 v3, s20, v2, v1
	v_cmp_gt_i32_e32 vcc_lo, s17, v2
	v_lshlrev_b32_e32 v4, 4, v4
	s_delay_alu instid0(VALU_DEP_1)
	v_add3_u32 v4, v4, v17, 0
	s_branch .LBB108_3
.LBB108_2:                              ;   in Loop: Header=BB108_3 Depth=1
	s_or_b32 exec_lo, exec_lo, s21
	v_add_nc_u32_e32 v5, 0x80, v5
	v_add_nc_u32_e32 v4, 0x800, v4
	v_add_nc_u32_e32 v3, 0x80, v3
	s_delay_alu instid0(VALU_DEP_3) | instskip(SKIP_1) | instid1(SALU_CYCLE_1)
	v_cmp_le_i32_e64 s1, s16, v5
	s_or_b32 s15, s1, s15
	s_and_not1_b32 exec_lo, exec_lo, s15
	s_cbranch_execz .LBB108_6
.LBB108_3:                              ; =>This Loop Header: Depth=1
                                        ;     Child Loop BB108_5 Depth 2
	s_and_saveexec_b32 s21, vcc_lo
	s_cbranch_execz .LBB108_2
; %bb.4:                                ;   in Loop: Header=BB108_3 Depth=1
	s_delay_alu instid0(VALU_DEP_1)
	v_dual_mov_b32 v6, v3 :: v_dual_mov_b32 v7, v4
	v_mov_b32_e32 v8, v2
	s_mov_b32 s22, 0
.LBB108_5:                              ;   Parent Loop BB108_3 Depth=1
                                        ; =>  This Inner Loop Header: Depth=2
	global_load_b128 v[10:13], v6, s[12:13] scale_offset
	s_wait_xcnt 0x0
	v_dual_add_nc_u32 v8, 2, v8 :: v_dual_add_nc_u32 v6, s14, v6
	s_delay_alu instid0(VALU_DEP_1)
	v_cmp_le_i32_e64 s1, s17, v8
	s_or_b32 s22, s1, s22
	s_wait_loadcnt 0x0
	ds_store_2addr_b64 v7, v[10:11], v[12:13] offset1:1
	v_add_nc_u32_e32 v7, s5, v7
	s_and_not1_b32 exec_lo, exec_lo, s22
	s_cbranch_execnz .LBB108_5
	s_branch .LBB108_2
.LBB108_6:
	s_or_b32 exec_lo, exec_lo, s4
	s_min_i32 s21, s17, s16
	s_wait_dscnt 0x0
	s_cmp_lt_i32 s21, 1
	s_barrier_signal -1
	s_barrier_wait -1
	s_cbranch_scc1 .LBB108_43
; %bb.7:
	v_mbcnt_lo_u32_b32 v2, -1, 0
	s_mul_i32 s1, s17, s16
	s_mul_u64 s[4:5], s[8:9], s[18:19]
	s_lshl_b32 s1, s1, 4
	s_mul_u64 s[2:3], s[2:3], s[18:19]
	v_cmp_ne_u32_e32 vcc_lo, 31, v2
	v_lshl_or_b32 v22, v2, 2, 64
	s_add_co_i32 s18, s1, 0
	s_lshl_b32 s1, s17, 4
	s_lshl_b64 s[4:5], s[4:5], 3
	v_add_co_ci_u32_e64 v3, null, 0, v2, vcc_lo
	v_cmp_gt_u32_e32 vcc_lo, 30, v2
	s_lshl_b64 s[2:3], s[2:3], 4
	s_add_co_i32 s19, s18, s1
	s_delay_alu instid0(VALU_DEP_2)
	v_dual_lshlrev_b32 v18, 2, v3 :: v_dual_bitop2_b32 v3, 31, v0 bitop3:0x40
	v_cndmask_b32_e64 v4, 0, 2, vcc_lo
	v_cmp_gt_u32_e32 vcc_lo, 28, v2
	s_cmp_eq_u64 s[6:7], 0
	s_add_nc_u64 s[8:9], s[6:7], s[4:5]
	v_cmp_eq_u32_e64 s1, 0, v3
	v_add_lshl_u32 v19, v4, v2, 2
	v_cndmask_b32_e64 v5, 0, 4, vcc_lo
	v_cmp_gt_u32_e32 vcc_lo, 24, v2
	v_dual_lshrrev_b32 v3, 1, v0 :: v_dual_lshlrev_b32 v4, 4, v0
	s_cselect_b32 s22, -1, 0
	s_delay_alu instid0(VALU_DEP_3)
	v_add_lshl_u32 v20, v5, v2, 2
	v_cndmask_b32_e64 v6, 0, 8, vcc_lo
	s_cmp_lg_u64 s[6:7], 0
	s_add_nc_u64 s[10:11], s[10:11], s[2:3]
	s_cselect_b32 s7, -1, 0
	s_lshl_b32 s23, s16, 4
	v_add_lshl_u32 v21, v6, v2, 2
	v_mad_u32 v2, s16, v0, s16
	v_cmp_eq_u32_e64 s2, 0, v0
	v_add3_u32 v23, v4, 0, 16
	v_add3_u32 v25, 0, s23, v4
	v_add_nc_u32_e32 v26, s19, v3
	s_mov_b32 s15, 0
	s_add_co_i32 s24, s23, 16
	s_lshl_b32 s25, s16, 12
	s_mov_b32 s26, 0
	s_mov_b32 s27, s17
	;; [unrolled: 1-line block ×3, first 2 shown]
	v_lshl_add_u32 v24, v2, 4, 0
	v_mov_b32_e32 v2, 0
	s_mov_b32 s14, s15
	s_branch .LBB108_9
.LBB108_8:                              ;   in Loop: Header=BB108_9 Depth=1
	s_or_b32 exec_lo, exec_lo, s4
	v_dual_add_nc_u32 v23, s24, v23 :: v_dual_add_nc_u32 v24, s24, v24
	v_add_nc_u32_e32 v25, s24, v25
	s_add_co_i32 s14, s14, 1
	s_add_co_i32 s27, s27, -1
	s_add_co_i32 s28, s28, -1
	s_add_co_i32 s26, s26, s24
	s_cmp_eq_u32 s14, s21
	s_wait_dscnt 0x0
	s_barrier_signal -1
	s_barrier_wait -1
	s_cbranch_scc1 .LBB108_43
.LBB108_9:                              ; =>This Loop Header: Depth=1
                                        ;     Child Loop BB108_11 Depth 2
                                        ;     Child Loop BB108_28 Depth 2
	;; [unrolled: 1-line block ×3, first 2 shown]
                                        ;       Child Loop BB108_34 Depth 3
                                        ;     Child Loop BB108_38 Depth 2
                                        ;       Child Loop BB108_40 Depth 3
	s_sub_co_i32 s29, s16, s14
	v_mov_b64_e32 v[4:5], 0
	s_add_co_i32 s31, s29, -1
	v_mov_b64_e32 v[6:7], 0
	v_cmp_gt_i32_e64 s3, s31, v0
	s_and_saveexec_b32 s4, s3
	s_cbranch_execz .LBB108_13
; %bb.10:                               ;   in Loop: Header=BB108_9 Depth=1
	v_mov_b64_e32 v[4:5], 0
	v_mov_b64_e32 v[6:7], 0
	v_dual_mov_b32 v3, v23 :: v_dual_mov_b32 v8, v0
	s_mov_b32 s5, 0
.LBB108_11:                             ;   Parent Loop BB108_9 Depth=1
                                        ; =>  This Inner Loop Header: Depth=2
	ds_load_2addr_b64 v[10:13], v3 offset1:1
	v_add_nc_u32_e32 v8, 0x100, v8
	v_add_nc_u32_e32 v3, 0x1000, v3
	s_delay_alu instid0(VALU_DEP_2) | instskip(SKIP_4) | instid1(VALU_DEP_2)
	v_cmp_le_i32_e32 vcc_lo, s31, v8
	s_or_b32 s5, vcc_lo, s5
	s_wait_dscnt 0x0
	v_mul_f64_e32 v[14:15], v[12:13], v[12:13]
	v_mul_f64_e32 v[28:29], v[10:11], v[12:13]
	v_fmac_f64_e32 v[14:15], v[10:11], v[10:11]
	s_delay_alu instid0(VALU_DEP_2) | instskip(NEXT) | instid1(VALU_DEP_2)
	v_fma_f64 v[10:11], v[10:11], v[12:13], -v[28:29]
	v_add_f64_e32 v[6:7], v[6:7], v[14:15]
	s_delay_alu instid0(VALU_DEP_2)
	v_add_f64_e32 v[4:5], v[4:5], v[10:11]
	s_and_not1_b32 exec_lo, exec_lo, s5
	s_cbranch_execnz .LBB108_11
; %bb.12:                               ;   in Loop: Header=BB108_9 Depth=1
	s_or_b32 exec_lo, exec_lo, s5
.LBB108_13:                             ;   in Loop: Header=BB108_9 Depth=1
	s_delay_alu instid0(SALU_CYCLE_1)
	s_or_b32 exec_lo, exec_lo, s4
	ds_bpermute_b32 v8, v18, v6
	ds_bpermute_b32 v9, v18, v7
	s_wait_dscnt 0x0
	v_add_f64_e32 v[6:7], v[6:7], v[8:9]
	ds_bpermute_b32 v8, v18, v4
	ds_bpermute_b32 v9, v18, v5
	s_wait_dscnt 0x0
	v_add_f64_e32 v[4:5], v[4:5], v[8:9]
	;; [unrolled: 4-line block ×9, first 2 shown]
	ds_bpermute_b32 v8, v22, v6
	ds_bpermute_b32 v9, v22, v7
	s_and_saveexec_b32 s4, s1
	s_cbranch_execz .LBB108_15
; %bb.14:                               ;   in Loop: Header=BB108_9 Depth=1
	s_wait_dscnt 0x0
	v_add_f64_e32 v[6:7], v[6:7], v[8:9]
	ds_store_2addr_b64 v26, v[4:5], v[6:7] offset0:2 offset1:3
.LBB108_15:                             ;   in Loop: Header=BB108_9 Depth=1
	s_or_b32 exec_lo, exec_lo, s4
	s_lshl_b32 s4, s14, 4
	s_mul_i32 s5, s14, s16
	s_add_co_i32 s30, s4, 0
	s_lshl_b32 s4, s5, 4
	s_wait_dscnt 0x0
	s_add_co_i32 s30, s30, s4
	s_barrier_signal -1
	s_barrier_wait -1
	s_and_saveexec_b32 s33, s2
	s_cbranch_execz .LBB108_26
; %bb.16:                               ;   in Loop: Header=BB108_9 Depth=1
	v_mov_b32_e32 v3, s19
	s_mov_b32 s4, 0
	s_mov_b32 s34, 0
	s_mov_b32 s5, exec_lo
	ds_load_2addr_b64 v[6:9], v3 offset0:4 offset1:6
	s_wait_dscnt 0x0
	v_add_f64_e32 v[4:5], v[4:5], v[6:7]
	s_delay_alu instid0(VALU_DEP_1) | instskip(SKIP_3) | instid1(VALU_DEP_1)
	v_add_f64_e32 v[8:9], v[4:5], v[8:9]
	ds_load_2addr_b64 v[4:7], v3 offset0:8 offset1:10
	s_wait_dscnt 0x0
	v_add_f64_e32 v[4:5], v[8:9], v[4:5]
	v_add_f64_e32 v[8:9], v[4:5], v[6:7]
	ds_load_2addr_b64 v[4:7], v3 offset0:12 offset1:14
	s_wait_dscnt 0x0
	v_dual_add_f64 v[4:5], v[8:9], v[4:5] :: v_dual_mov_b32 v8, s30
	s_delay_alu instid0(VALU_DEP_1)
	v_add_f64_e32 v[4:5], v[4:5], v[6:7]
	ds_load_b64 v[6:7], v3 offset:128
	ds_load_b64 v[8:9], v8 offset:8
	s_wait_dscnt 0x1
	v_add_f64_e32 v[14:15], v[4:5], v[6:7]
	s_wait_dscnt 0x0
	v_mul_f64_e32 v[6:7], v[8:9], v[8:9]
	s_delay_alu instid0(VALU_DEP_1) | instskip(NEXT) | instid1(VALU_DEP_1)
	v_max_num_f64_e32 v[4:5], v[14:15], v[6:7]
	v_cmpx_nlt_f64_e32 0, v[4:5]
	s_xor_b32 s5, exec_lo, s5
                                        ; implicit-def: $vgpr4_vgpr5
	s_cbranch_execz .LBB108_21
; %bb.17:                               ;   in Loop: Header=BB108_9 Depth=1
	s_mov_b32 s34, s15
	s_mov_b32 s35, s15
	;; [unrolled: 1-line block ×4, first 2 shown]
	v_mov_b64_e32 v[4:5], s[34:35]
	v_mov_b64_e32 v[6:7], s[36:37]
	v_mov_b32_e32 v3, s19
	s_and_b32 vcc_lo, exec_lo, s7
	ds_store_2addr_b64 v3, v[4:5], v[6:7] offset1:1
	s_cbranch_vccz .LBB108_19
; %bb.18:                               ;   in Loop: Header=BB108_9 Depth=1
	v_mov_b32_e32 v3, s30
	s_mov_b32 s6, -1
	ds_load_b64 v[4:5], v3
	s_branch .LBB108_20
.LBB108_19:                             ;   in Loop: Header=BB108_9 Depth=1
	s_mov_b32 s6, 0
                                        ; implicit-def: $vgpr4_vgpr5
.LBB108_20:                             ;   in Loop: Header=BB108_9 Depth=1
	s_delay_alu instid0(SALU_CYCLE_1)
	s_and_b32 s34, s6, exec_lo
                                        ; implicit-def: $vgpr6_vgpr7
                                        ; implicit-def: $vgpr14_vgpr15
                                        ; implicit-def: $vgpr8_vgpr9
.LBB108_21:                             ;   in Loop: Header=BB108_9 Depth=1
	s_or_saveexec_b32 s35, s5
	v_mov_b64_e32 v[10:11], 1.0
	v_mov_b64_e32 v[12:13], 0
	s_xor_b32 exec_lo, exec_lo, s35
	s_cbranch_execnz .LBB108_41
; %bb.22:                               ;   in Loop: Header=BB108_9 Depth=1
	s_or_b32 exec_lo, exec_lo, s35
	s_and_saveexec_b32 s5, s34
	s_cbranch_execnz .LBB108_42
.LBB108_23:                             ;   in Loop: Header=BB108_9 Depth=1
	s_or_b32 exec_lo, exec_lo, s5
	v_mov_b64_e32 v[6:7], 0
	s_and_saveexec_b32 s5, s4
	s_cbranch_execz .LBB108_25
.LBB108_24:                             ;   in Loop: Header=BB108_9 Depth=1
	v_dual_mov_b32 v3, v2 :: v_dual_mov_b32 v6, s30
	v_mov_b32_e32 v7, s19
	s_wait_dscnt 0x0
	ds_store_2addr_b64 v6, v[4:5], v[2:3] offset1:1
	ds_load_b64 v[6:7], v7 offset:8
.LBB108_25:                             ;   in Loop: Header=BB108_9 Depth=1
	s_or_b32 exec_lo, exec_lo, s5
	v_mov_b32_e32 v3, s19
	s_lshl_b64 s[4:5], s[14:15], 4
	s_wait_dscnt 0x0
	v_xor_b32_e32 v7, 0x80000000, v7
	s_add_nc_u64 s[4:5], s[10:11], s[4:5]
	ds_load_2addr_b64 v[28:31], v3 offset1:1
	s_wait_dscnt 0x0
	global_store_b128 v2, v[28:31], s[4:5]
	ds_store_b64 v3, v[12:13] offset:24
	ds_store_2addr_b64 v3, v[6:7], v[10:11] offset0:1 offset1:2
.LBB108_26:                             ;   in Loop: Header=BB108_9 Depth=1
	s_wait_xcnt 0x0
	s_or_b32 exec_lo, exec_lo, s33
	s_wait_storecnt_dscnt 0x0
	s_barrier_signal -1
	s_barrier_wait -1
	s_and_saveexec_b32 s4, s3
	s_cbranch_execz .LBB108_29
; %bb.27:                               ;   in Loop: Header=BB108_9 Depth=1
	v_mov_b32_e32 v3, v0
	s_mov_b32 s3, 0
	s_mov_b32 s5, 0
.LBB108_28:                             ;   Parent Loop BB108_9 Depth=1
                                        ; =>  This Inner Loop Header: Depth=2
	s_delay_alu instid0(SALU_CYCLE_1) | instskip(NEXT) | instid1(VALU_DEP_2)
	v_dual_mov_b32 v4, s19 :: v_dual_add_nc_u32 v14, s5, v23
	v_add_nc_u32_e32 v3, 0x100, v3
	s_addk_co_i32 s5, 0x1000
	ds_load_2addr_b64 v[4:7], v4 offset0:2 offset1:3
	ds_load_2addr_b64 v[8:11], v14 offset1:1
	v_cmp_le_i32_e32 vcc_lo, s31, v3
	s_or_b32 s3, vcc_lo, s3
	s_wait_dscnt 0x0
	v_mul_f64_e32 v[12:13], v[6:7], v[10:11]
	v_mul_f64_e32 v[10:11], v[4:5], v[10:11]
	s_delay_alu instid0(VALU_DEP_2) | instskip(NEXT) | instid1(VALU_DEP_2)
	v_fma_f64 v[4:5], v[4:5], v[8:9], -v[12:13]
	v_fmac_f64_e32 v[10:11], v[6:7], v[8:9]
	ds_store_2addr_b64 v14, v[4:5], v[10:11] offset1:1
	s_and_not1_b32 exec_lo, exec_lo, s3
	s_cbranch_execnz .LBB108_28
.LBB108_29:                             ;   in Loop: Header=BB108_9 Depth=1
	s_or_b32 exec_lo, exec_lo, s4
	s_not_b32 s3, s14
	s_mov_b32 s4, exec_lo
	s_add_co_i32 s3, s17, s3
	s_wait_dscnt 0x0
	s_barrier_signal -1
	s_barrier_wait -1
	v_cmpx_gt_i32_e64 s3, v0
	s_cbranch_execz .LBB108_35
; %bb.30:                               ;   in Loop: Header=BB108_9 Depth=1
	v_dual_mov_b32 v3, v24 :: v_dual_mov_b32 v8, v0
	s_cmp_gt_i32 s29, 0
	s_mov_b32 s5, 0
	s_cselect_b32 s6, -1, 0
	s_branch .LBB108_32
.LBB108_31:                             ;   in Loop: Header=BB108_32 Depth=2
	v_dual_mov_b32 v9, s19 :: v_dual_add_nc_u32 v3, s25, v3
	ds_load_2addr_b64 v[10:13], v9 offset1:1
	s_wait_dscnt 0x0
	v_mul_f64_e32 v[14:15], v[4:5], v[12:13]
	v_mul_f64_e32 v[12:13], v[6:7], v[12:13]
	s_delay_alu instid0(VALU_DEP_2) | instskip(NEXT) | instid1(VALU_DEP_2)
	v_fma_f64 v[6:7], v[6:7], v[10:11], -v[14:15]
	v_fmac_f64_e32 v[12:13], v[4:5], v[10:11]
	v_lshl_add_u32 v4, v8, 4, s18
	v_add_nc_u32_e32 v8, 0x100, v8
	s_delay_alu instid0(VALU_DEP_1)
	v_cmp_le_i32_e32 vcc_lo, s3, v8
	s_or_b32 s5, vcc_lo, s5
	ds_store_2addr_b64 v4, v[6:7], v[12:13] offset1:1
	s_and_not1_b32 exec_lo, exec_lo, s5
	s_cbranch_execz .LBB108_35
.LBB108_32:                             ;   Parent Loop BB108_9 Depth=1
                                        ; =>  This Loop Header: Depth=2
                                        ;       Child Loop BB108_34 Depth 3
	v_mov_b64_e32 v[4:5], 0
	v_mov_b64_e32 v[6:7], 0
	s_and_not1_b32 vcc_lo, exec_lo, s6
	s_cbranch_vccnz .LBB108_31
; %bb.33:                               ;   in Loop: Header=BB108_32 Depth=2
	v_mov_b32_e32 v9, v3
	s_mov_b32 s31, s26
	s_mov_b32 s33, s28
.LBB108_34:                             ;   Parent Loop BB108_9 Depth=1
                                        ;     Parent Loop BB108_32 Depth=2
                                        ; =>    This Inner Loop Header: Depth=3
	v_mov_b32_e32 v14, s31
	s_add_co_i32 s33, s33, -1
	s_add_co_i32 s31, s31, 16
	s_cmp_eq_u32 s33, 0
	ds_load_2addr_b64 v[10:13], v9 offset1:1
	ds_load_2addr_b64 v[28:31], v14 offset1:1
	v_add_nc_u32_e32 v9, 16, v9
	s_wait_dscnt 0x0
	v_mul_f64_e32 v[14:15], v[30:31], v[12:13]
	v_mul_f64_e32 v[30:31], v[30:31], v[10:11]
	s_delay_alu instid0(VALU_DEP_2) | instskip(NEXT) | instid1(VALU_DEP_2)
	v_fmac_f64_e32 v[14:15], v[28:29], v[10:11]
	v_fma_f64 v[10:11], v[28:29], v[12:13], -v[30:31]
	s_delay_alu instid0(VALU_DEP_2) | instskip(NEXT) | instid1(VALU_DEP_2)
	v_add_f64_e32 v[6:7], v[6:7], v[14:15]
	v_add_f64_e32 v[4:5], v[4:5], v[10:11]
	s_cbranch_scc0 .LBB108_34
	s_branch .LBB108_31
.LBB108_35:                             ;   in Loop: Header=BB108_9 Depth=1
	s_or_b32 exec_lo, exec_lo, s4
	s_delay_alu instid0(SALU_CYCLE_1)
	s_mov_b32 s4, exec_lo
	s_wait_dscnt 0x0
	s_barrier_signal -1
	s_barrier_wait -1
	v_cmpx_gt_i32_e64 s29, v0
	s_cbranch_execz .LBB108_8
; %bb.36:                               ;   in Loop: Header=BB108_9 Depth=1
	v_dual_mov_b32 v3, v25 :: v_dual_mov_b32 v4, v0
	s_cmp_gt_i32 s3, 0
	s_mov_b32 s3, 0
	s_cselect_b32 s5, -1, 0
	s_branch .LBB108_38
.LBB108_37:                             ;   in Loop: Header=BB108_38 Depth=2
	v_add_nc_u32_e32 v4, 0x100, v4
	v_add_nc_u32_e32 v3, 0x1000, v3
	s_delay_alu instid0(VALU_DEP_2) | instskip(SKIP_1) | instid1(SALU_CYCLE_1)
	v_cmp_le_i32_e32 vcc_lo, s29, v4
	s_or_b32 s3, vcc_lo, s3
	s_and_not1_b32 exec_lo, exec_lo, s3
	s_cbranch_execz .LBB108_8
.LBB108_38:                             ;   Parent Loop BB108_9 Depth=1
                                        ; =>  This Loop Header: Depth=2
                                        ;       Child Loop BB108_40 Depth 3
	s_and_not1_b32 vcc_lo, exec_lo, s5
	s_cbranch_vccnz .LBB108_37
; %bb.39:                               ;   in Loop: Header=BB108_38 Depth=2
	v_lshl_add_u32 v5, v4, 4, s30
	v_mov_b32_e32 v6, v3
	s_mov_b32 s6, 1
	s_mov_b32 s31, s18
.LBB108_40:                             ;   Parent Loop BB108_9 Depth=1
                                        ;     Parent Loop BB108_38 Depth=2
                                        ; =>    This Inner Loop Header: Depth=3
	s_delay_alu instid0(SALU_CYCLE_1)
	v_mov_b32_e32 v7, s31
	s_add_co_i32 s6, s6, 1
	s_add_co_i32 s31, s31, 16
	s_cmp_eq_u32 s27, s6
	ds_load_2addr_b64 v[8:11], v5 offset1:1
	ds_load_2addr_b64 v[12:15], v7 offset1:1
	s_wait_dscnt 0x0
	v_mul_f64_e32 v[28:29], v[14:15], v[10:11]
	v_mul_f64_e32 v[30:31], v[12:13], v[10:11]
	s_delay_alu instid0(VALU_DEP_2) | instskip(NEXT) | instid1(VALU_DEP_2)
	v_fma_f64 v[12:13], v[12:13], v[8:9], -v[28:29]
	v_fmac_f64_e32 v[30:31], v[14:15], v[8:9]
	ds_load_2addr_b64 v[8:11], v6 offset1:1
	s_wait_dscnt 0x0
	v_add_f64_e64 v[8:9], v[8:9], -v[12:13]
	v_add_f64_e64 v[10:11], v[10:11], -v[30:31]
	ds_store_2addr_b64 v6, v[8:9], v[10:11] offset1:1
	v_add_nc_u32_e32 v6, s23, v6
	s_cbranch_scc0 .LBB108_40
	s_branch .LBB108_37
.LBB108_41:                             ;   in Loop: Header=BB108_9 Depth=1
	v_mov_b32_e32 v3, s30
	ds_load_b64 v[10:11], v3
	s_wait_dscnt 0x0
	v_fma_f64 v[4:5], v[10:11], v[10:11], v[6:7]
	s_delay_alu instid0(VALU_DEP_1) | instskip(NEXT) | instid1(VALU_DEP_1)
	v_add_f64_e32 v[4:5], v[14:15], v[4:5]
	v_cmp_gt_f64_e32 vcc_lo, 0x10000000, v[4:5]
	v_cndmask_b32_e64 v3, 0, 0x100, vcc_lo
	s_delay_alu instid0(VALU_DEP_1) | instskip(SKIP_1) | instid1(VALU_DEP_2)
	v_ldexp_f64 v[4:5], v[4:5], v3
	v_cndmask_b32_e64 v3, 0, 0xffffff80, vcc_lo
	v_rsq_f64_e32 v[12:13], v[4:5]
	v_cmp_class_f64_e64 vcc_lo, v[4:5], 0x260
	s_delay_alu instid0(TRANS32_DEP_1) | instskip(SKIP_1) | instid1(VALU_DEP_1)
	v_mul_f64_e32 v[14:15], v[4:5], v[12:13]
	v_mul_f64_e32 v[12:13], 0.5, v[12:13]
	v_fma_f64 v[28:29], -v[12:13], v[14:15], 0.5
	s_delay_alu instid0(VALU_DEP_1) | instskip(SKIP_1) | instid1(VALU_DEP_2)
	v_fmac_f64_e32 v[14:15], v[14:15], v[28:29]
	v_fmac_f64_e32 v[12:13], v[12:13], v[28:29]
	v_fma_f64 v[28:29], -v[14:15], v[14:15], v[4:5]
	s_delay_alu instid0(VALU_DEP_1) | instskip(NEXT) | instid1(VALU_DEP_1)
	v_fmac_f64_e32 v[14:15], v[28:29], v[12:13]
	v_fma_f64 v[28:29], -v[14:15], v[14:15], v[4:5]
	s_delay_alu instid0(VALU_DEP_1) | instskip(NEXT) | instid1(VALU_DEP_1)
	v_fmac_f64_e32 v[14:15], v[28:29], v[12:13]
	v_ldexp_f64 v[12:13], v[14:15], v3
	s_delay_alu instid0(VALU_DEP_1) | instskip(SKIP_1) | instid1(VALU_DEP_2)
	v_dual_cndmask_b32 v4, v12, v4 :: v_dual_cndmask_b32 v3, v13, v5
	v_cmp_le_f64_e32 vcc_lo, 0, v[10:11]
	v_xor_b32_e32 v5, 0x80000000, v3
	s_delay_alu instid0(VALU_DEP_1) | instskip(NEXT) | instid1(VALU_DEP_1)
	v_dual_cndmask_b32 v5, v3, v5, vcc_lo :: v_dual_mov_b32 v3, s19
	v_add_f64_e64 v[12:13], v[10:11], -v[4:5]
	v_add_f64_e64 v[14:15], v[4:5], -v[10:11]
	s_delay_alu instid0(VALU_DEP_2) | instskip(NEXT) | instid1(VALU_DEP_2)
	v_fmac_f64_e32 v[6:7], v[12:13], v[12:13]
	v_div_scale_f64 v[30:31], null, v[4:5], v[4:5], v[14:15]
	s_delay_alu instid0(VALU_DEP_2) | instskip(NEXT) | instid1(VALU_DEP_2)
	v_div_scale_f64 v[28:29], null, v[6:7], v[6:7], -v[8:9]
	v_rcp_f64_e32 v[38:39], v[30:31]
	v_div_scale_f64 v[10:11], null, v[6:7], v[6:7], v[12:13]
	v_div_scale_f64 v[50:51], vcc_lo, v[12:13], v[6:7], v[12:13]
	s_delay_alu instid0(VALU_DEP_3) | instskip(NEXT) | instid1(VALU_DEP_2)
	v_rcp_f64_e32 v[36:37], v[28:29]
	v_rcp_f64_e32 v[34:35], v[10:11]
	s_delay_alu instid0(TRANS32_DEP_3) | instskip(NEXT) | instid1(TRANS32_DEP_2)
	v_fma_f64 v[46:47], -v[30:31], v[38:39], 1.0
	v_fma_f64 v[44:45], -v[28:29], v[36:37], 1.0
	s_delay_alu instid0(VALU_DEP_2) | instskip(NEXT) | instid1(TRANS32_DEP_1)
	v_fmac_f64_e32 v[38:39], v[38:39], v[46:47]
	v_fma_f64 v[42:43], -v[10:11], v[34:35], 1.0
	s_delay_alu instid0(VALU_DEP_3) | instskip(NEXT) | instid1(VALU_DEP_3)
	v_fmac_f64_e32 v[36:37], v[36:37], v[44:45]
	v_fma_f64 v[46:47], -v[30:31], v[38:39], 1.0
	s_delay_alu instid0(VALU_DEP_3) | instskip(NEXT) | instid1(VALU_DEP_3)
	;; [unrolled: 3-line block ×3, first 2 shown]
	v_fmac_f64_e32 v[38:39], v[38:39], v[46:47]
	v_fma_f64 v[42:43], -v[10:11], v[34:35], 1.0
	s_delay_alu instid0(VALU_DEP_3) | instskip(SKIP_1) | instid1(VALU_DEP_3)
	v_fmac_f64_e32 v[36:37], v[36:37], v[44:45]
	v_div_scale_f64 v[44:45], s5, v[14:15], v[4:5], v[14:15]
	v_fmac_f64_e32 v[34:35], v[34:35], v[42:43]
	v_div_scale_f64 v[42:43], s4, -v[8:9], v[6:7], -v[8:9]
	s_delay_alu instid0(VALU_DEP_3) | instskip(SKIP_2) | instid1(VALU_DEP_4)
	v_mul_f64_e32 v[54:55], v[44:45], v[38:39]
	v_div_scale_f64 v[32:33], null, v[4:5], v[4:5], -v[8:9]
	v_div_scale_f64 v[46:47], s6, -v[8:9], v[4:5], -v[8:9]
	v_mul_f64_e32 v[52:53], v[42:43], v[36:37]
	s_delay_alu instid0(VALU_DEP_4) | instskip(NEXT) | instid1(VALU_DEP_4)
	v_fma_f64 v[30:31], -v[30:31], v[54:55], v[44:45]
	v_rcp_f64_e32 v[40:41], v[32:33]
	s_delay_alu instid0(VALU_DEP_2) | instskip(NEXT) | instid1(TRANS32_DEP_1)
	v_fma_f64 v[28:29], -v[28:29], v[52:53], v[42:43]
	v_fma_f64 v[48:49], -v[32:33], v[40:41], 1.0
	s_delay_alu instid0(VALU_DEP_1) | instskip(NEXT) | instid1(VALU_DEP_1)
	v_fmac_f64_e32 v[40:41], v[40:41], v[48:49]
	v_fma_f64 v[48:49], -v[32:33], v[40:41], 1.0
	s_delay_alu instid0(VALU_DEP_1) | instskip(SKIP_1) | instid1(VALU_DEP_2)
	v_fmac_f64_e32 v[40:41], v[40:41], v[48:49]
	v_mul_f64_e32 v[48:49], v[50:51], v[34:35]
	v_mul_f64_e32 v[56:57], v[46:47], v[40:41]
	s_delay_alu instid0(VALU_DEP_2) | instskip(NEXT) | instid1(VALU_DEP_2)
	v_fma_f64 v[10:11], -v[10:11], v[48:49], v[50:51]
	v_fma_f64 v[32:33], -v[32:33], v[56:57], v[46:47]
	s_delay_alu instid0(VALU_DEP_2)
	v_div_fmas_f64 v[10:11], v[10:11], v[34:35], v[48:49]
	s_mov_b32 vcc_lo, s4
	s_and_b32 s4, s22, exec_lo
	v_div_fmas_f64 v[28:29], v[28:29], v[36:37], v[52:53]
	s_mov_b32 vcc_lo, s5
	s_and_not1_b32 s5, s34, exec_lo
	v_div_fmas_f64 v[30:31], v[30:31], v[38:39], v[54:55]
	s_mov_b32 vcc_lo, s6
	s_and_b32 s6, s7, exec_lo
	s_delay_alu instid0(SALU_CYCLE_1) | instskip(NEXT) | instid1(VALU_DEP_4)
	s_or_b32 s34, s5, s6
	v_div_fmas_f64 v[32:33], v[32:33], v[40:41], v[56:57]
	s_delay_alu instid0(VALU_DEP_4) | instskip(NEXT) | instid1(VALU_DEP_4)
	v_div_fixup_f64 v[10:11], v[10:11], v[6:7], v[12:13]
	v_div_fixup_f64 v[12:13], v[28:29], v[6:7], -v[8:9]
	s_delay_alu instid0(VALU_DEP_4) | instskip(NEXT) | instid1(VALU_DEP_4)
	v_div_fixup_f64 v[14:15], v[30:31], v[4:5], v[14:15]
	v_div_fixup_f64 v[30:31], v[32:33], v[4:5], -v[8:9]
	ds_store_2addr_b64 v3, v[14:15], v[30:31] offset1:1
	s_or_b32 exec_lo, exec_lo, s35
	s_and_saveexec_b32 s5, s34
	s_cbranch_execz .LBB108_23
.LBB108_42:                             ;   in Loop: Header=BB108_9 Depth=1
	s_lshl_b64 s[34:35], s[14:15], 3
	s_or_b32 s4, s4, exec_lo
	s_add_nc_u64 s[34:35], s[8:9], s[34:35]
	s_wait_dscnt 0x0
	global_store_b64 v2, v[4:5], s[34:35]
	s_wait_xcnt 0x0
	v_mov_b64_e32 v[4:5], 1.0
	s_or_b32 exec_lo, exec_lo, s5
	v_mov_b64_e32 v[6:7], 0
	s_and_saveexec_b32 s5, s4
	s_cbranch_execnz .LBB108_24
	s_branch .LBB108_25
.LBB108_43:
	s_and_saveexec_b32 s1, s0
	s_cbranch_execz .LBB108_49
; %bb.44:
	v_mul_lo_u32 v2, s16, v16
	v_mad_u32 v0, s20, v16, v1
	s_lshl_b32 s1, s20, 1
	s_mov_b32 s2, 0
	s_lshl_b32 s3, s16, 5
	v_cmp_gt_i32_e32 vcc_lo, s17, v16
	s_delay_alu instid0(VALU_DEP_3) | instskip(NEXT) | instid1(VALU_DEP_1)
	v_lshlrev_b32_e32 v2, 4, v2
	v_add3_u32 v2, v2, v17, 0
	s_branch .LBB108_46
.LBB108_45:                             ;   in Loop: Header=BB108_46 Depth=1
	s_or_b32 exec_lo, exec_lo, s4
	v_add_nc_u32_e32 v1, 0x80, v1
	v_add_nc_u32_e32 v0, 0x80, v0
	;; [unrolled: 1-line block ×3, first 2 shown]
	s_delay_alu instid0(VALU_DEP_3) | instskip(SKIP_1) | instid1(SALU_CYCLE_1)
	v_cmp_le_i32_e64 s0, s16, v1
	s_or_b32 s2, s0, s2
	s_and_not1_b32 exec_lo, exec_lo, s2
	s_cbranch_execz .LBB108_49
.LBB108_46:                             ; =>This Loop Header: Depth=1
                                        ;     Child Loop BB108_48 Depth 2
	s_and_saveexec_b32 s4, vcc_lo
	s_cbranch_execz .LBB108_45
; %bb.47:                               ;   in Loop: Header=BB108_46 Depth=1
	s_delay_alu instid0(VALU_DEP_1)
	v_dual_mov_b32 v3, v2 :: v_dual_mov_b32 v4, v0
	v_mov_b32_e32 v5, v16
	s_mov_b32 s5, 0
.LBB108_48:                             ;   Parent Loop BB108_46 Depth=1
                                        ; =>  This Inner Loop Header: Depth=2
	ds_load_2addr_b64 v[6:9], v3 offset1:1
	v_dual_add_nc_u32 v5, 2, v5 :: v_dual_add_nc_u32 v3, s3, v3
	s_delay_alu instid0(VALU_DEP_1)
	v_cmp_le_i32_e64 s0, s17, v5
	s_or_b32 s5, s0, s5
	s_wait_dscnt 0x0
	global_store_b128 v4, v[6:9], s[12:13] scale_offset
	s_wait_xcnt 0x0
	v_add_nc_u32_e32 v4, s1, v4
	s_and_not1_b32 exec_lo, exec_lo, s5
	s_cbranch_execnz .LBB108_48
	s_branch .LBB108_45
.LBB108_49:
	s_endpgm
	.section	.rodata,"a",@progbits
	.p2align	6, 0x0
	.amdhsa_kernel _ZN9rocsolver6v33100L18geqr2_kernel_smallILi256E19rocblas_complex_numIdEidPS3_EEvT1_S5_T3_lS5_lPT2_lPT0_l
		.amdhsa_group_segment_fixed_size 0
		.amdhsa_private_segment_fixed_size 0
		.amdhsa_kernarg_size 72
		.amdhsa_user_sgpr_count 2
		.amdhsa_user_sgpr_dispatch_ptr 0
		.amdhsa_user_sgpr_queue_ptr 0
		.amdhsa_user_sgpr_kernarg_segment_ptr 1
		.amdhsa_user_sgpr_dispatch_id 0
		.amdhsa_user_sgpr_kernarg_preload_length 0
		.amdhsa_user_sgpr_kernarg_preload_offset 0
		.amdhsa_user_sgpr_private_segment_size 0
		.amdhsa_wavefront_size32 1
		.amdhsa_uses_dynamic_stack 0
		.amdhsa_enable_private_segment 0
		.amdhsa_system_sgpr_workgroup_id_x 1
		.amdhsa_system_sgpr_workgroup_id_y 0
		.amdhsa_system_sgpr_workgroup_id_z 1
		.amdhsa_system_sgpr_workgroup_info 0
		.amdhsa_system_vgpr_workitem_id 0
		.amdhsa_next_free_vgpr 58
		.amdhsa_next_free_sgpr 38
		.amdhsa_named_barrier_count 0
		.amdhsa_reserve_vcc 1
		.amdhsa_float_round_mode_32 0
		.amdhsa_float_round_mode_16_64 0
		.amdhsa_float_denorm_mode_32 3
		.amdhsa_float_denorm_mode_16_64 3
		.amdhsa_fp16_overflow 0
		.amdhsa_memory_ordered 1
		.amdhsa_forward_progress 1
		.amdhsa_inst_pref_size 25
		.amdhsa_round_robin_scheduling 0
		.amdhsa_exception_fp_ieee_invalid_op 0
		.amdhsa_exception_fp_denorm_src 0
		.amdhsa_exception_fp_ieee_div_zero 0
		.amdhsa_exception_fp_ieee_overflow 0
		.amdhsa_exception_fp_ieee_underflow 0
		.amdhsa_exception_fp_ieee_inexact 0
		.amdhsa_exception_int_div_zero 0
	.end_amdhsa_kernel
	.section	.text._ZN9rocsolver6v33100L18geqr2_kernel_smallILi256E19rocblas_complex_numIdEidPS3_EEvT1_S5_T3_lS5_lPT2_lPT0_l,"axG",@progbits,_ZN9rocsolver6v33100L18geqr2_kernel_smallILi256E19rocblas_complex_numIdEidPS3_EEvT1_S5_T3_lS5_lPT2_lPT0_l,comdat
.Lfunc_end108:
	.size	_ZN9rocsolver6v33100L18geqr2_kernel_smallILi256E19rocblas_complex_numIdEidPS3_EEvT1_S5_T3_lS5_lPT2_lPT0_l, .Lfunc_end108-_ZN9rocsolver6v33100L18geqr2_kernel_smallILi256E19rocblas_complex_numIdEidPS3_EEvT1_S5_T3_lS5_lPT2_lPT0_l
                                        ; -- End function
	.set _ZN9rocsolver6v33100L18geqr2_kernel_smallILi256E19rocblas_complex_numIdEidPS3_EEvT1_S5_T3_lS5_lPT2_lPT0_l.num_vgpr, 58
	.set _ZN9rocsolver6v33100L18geqr2_kernel_smallILi256E19rocblas_complex_numIdEidPS3_EEvT1_S5_T3_lS5_lPT2_lPT0_l.num_agpr, 0
	.set _ZN9rocsolver6v33100L18geqr2_kernel_smallILi256E19rocblas_complex_numIdEidPS3_EEvT1_S5_T3_lS5_lPT2_lPT0_l.numbered_sgpr, 38
	.set _ZN9rocsolver6v33100L18geqr2_kernel_smallILi256E19rocblas_complex_numIdEidPS3_EEvT1_S5_T3_lS5_lPT2_lPT0_l.num_named_barrier, 0
	.set _ZN9rocsolver6v33100L18geqr2_kernel_smallILi256E19rocblas_complex_numIdEidPS3_EEvT1_S5_T3_lS5_lPT2_lPT0_l.private_seg_size, 0
	.set _ZN9rocsolver6v33100L18geqr2_kernel_smallILi256E19rocblas_complex_numIdEidPS3_EEvT1_S5_T3_lS5_lPT2_lPT0_l.uses_vcc, 1
	.set _ZN9rocsolver6v33100L18geqr2_kernel_smallILi256E19rocblas_complex_numIdEidPS3_EEvT1_S5_T3_lS5_lPT2_lPT0_l.uses_flat_scratch, 0
	.set _ZN9rocsolver6v33100L18geqr2_kernel_smallILi256E19rocblas_complex_numIdEidPS3_EEvT1_S5_T3_lS5_lPT2_lPT0_l.has_dyn_sized_stack, 0
	.set _ZN9rocsolver6v33100L18geqr2_kernel_smallILi256E19rocblas_complex_numIdEidPS3_EEvT1_S5_T3_lS5_lPT2_lPT0_l.has_recursion, 0
	.set _ZN9rocsolver6v33100L18geqr2_kernel_smallILi256E19rocblas_complex_numIdEidPS3_EEvT1_S5_T3_lS5_lPT2_lPT0_l.has_indirect_call, 0
	.section	.AMDGPU.csdata,"",@progbits
; Kernel info:
; codeLenInByte = 3100
; TotalNumSgprs: 40
; NumVgprs: 58
; ScratchSize: 0
; MemoryBound: 0
; FloatMode: 240
; IeeeMode: 1
; LDSByteSize: 0 bytes/workgroup (compile time only)
; SGPRBlocks: 0
; VGPRBlocks: 3
; NumSGPRsForWavesPerEU: 40
; NumVGPRsForWavesPerEU: 58
; NamedBarCnt: 0
; Occupancy: 16
; WaveLimiterHint : 0
; COMPUTE_PGM_RSRC2:SCRATCH_EN: 0
; COMPUTE_PGM_RSRC2:USER_SGPR: 2
; COMPUTE_PGM_RSRC2:TRAP_HANDLER: 0
; COMPUTE_PGM_RSRC2:TGID_X_EN: 1
; COMPUTE_PGM_RSRC2:TGID_Y_EN: 0
; COMPUTE_PGM_RSRC2:TGID_Z_EN: 1
; COMPUTE_PGM_RSRC2:TIDIG_COMP_CNT: 0
	.section	.text._ZN9rocsolver6v33100L16reset_batch_infoI19rocblas_complex_numIdEiiPS3_EEvT2_lT0_T1_,"axG",@progbits,_ZN9rocsolver6v33100L16reset_batch_infoI19rocblas_complex_numIdEiiPS3_EEvT2_lT0_T1_,comdat
	.globl	_ZN9rocsolver6v33100L16reset_batch_infoI19rocblas_complex_numIdEiiPS3_EEvT2_lT0_T1_ ; -- Begin function _ZN9rocsolver6v33100L16reset_batch_infoI19rocblas_complex_numIdEiiPS3_EEvT2_lT0_T1_
	.p2align	8
	.type	_ZN9rocsolver6v33100L16reset_batch_infoI19rocblas_complex_numIdEiiPS3_EEvT2_lT0_T1_,@function
_ZN9rocsolver6v33100L16reset_batch_infoI19rocblas_complex_numIdEiiPS3_EEvT2_lT0_T1_: ; @_ZN9rocsolver6v33100L16reset_batch_infoI19rocblas_complex_numIdEiiPS3_EEvT2_lT0_T1_
; %bb.0:
	s_clause 0x1
	s_load_b32 s5, s[0:1], 0x24
	s_load_b64 s[2:3], s[0:1], 0x10
	s_bfe_u32 s4, ttmp6, 0x4000c
	s_and_b32 s6, ttmp6, 15
	s_add_co_i32 s7, s4, 1
	s_getreg_b32 s4, hwreg(HW_REG_IB_STS2, 6, 4)
	s_mul_i32 s7, ttmp9, s7
	s_delay_alu instid0(SALU_CYCLE_1) | instskip(SKIP_4) | instid1(SALU_CYCLE_1)
	s_add_co_i32 s6, s6, s7
	s_wait_kmcnt 0x0
	s_and_b32 s5, s5, 0xffff
	s_cmp_eq_u32 s4, 0
	s_cselect_b32 s6, ttmp9, s6
	v_mad_u32 v0, s6, s5, v0
	s_delay_alu instid0(VALU_DEP_1)
	v_cmp_gt_i32_e32 vcc_lo, s2, v0
	s_and_saveexec_b32 s2, vcc_lo
	s_cbranch_execz .LBB109_2
; %bb.1:
	v_cvt_f64_i32_e32 v[2:3], s3
	s_load_b128 s[0:3], s[0:1], 0x0
	s_bfe_u32 s5, ttmp6, 0x40010
	s_bfe_u32 s6, ttmp6, 0x40004
	s_add_co_i32 s5, s5, 1
	v_mov_b32_e32 v4, 0
	s_mul_i32 s5, ttmp7, s5
	s_delay_alu instid0(SALU_CYCLE_1) | instskip(SKIP_1) | instid1(VALU_DEP_1)
	s_add_co_i32 s6, s6, s5
	s_cmp_eq_u32 s4, 0
	v_mov_b32_e32 v5, v4
	s_cselect_b32 s4, ttmp7, s6
	s_delay_alu instid0(SALU_CYCLE_1) | instskip(SKIP_2) | instid1(SALU_CYCLE_1)
	s_ashr_i32 s5, s4, 31
	s_wait_kmcnt 0x0
	s_mul_u64 s[2:3], s[2:3], s[4:5]
	s_lshl_b64 s[2:3], s[2:3], 4
	s_delay_alu instid0(SALU_CYCLE_1)
	s_add_nc_u64 s[0:1], s[0:1], s[2:3]
	global_store_b128 v0, v[2:5], s[0:1] scale_offset
.LBB109_2:
	s_endpgm
	.section	.rodata,"a",@progbits
	.p2align	6, 0x0
	.amdhsa_kernel _ZN9rocsolver6v33100L16reset_batch_infoI19rocblas_complex_numIdEiiPS3_EEvT2_lT0_T1_
		.amdhsa_group_segment_fixed_size 0
		.amdhsa_private_segment_fixed_size 0
		.amdhsa_kernarg_size 280
		.amdhsa_user_sgpr_count 2
		.amdhsa_user_sgpr_dispatch_ptr 0
		.amdhsa_user_sgpr_queue_ptr 0
		.amdhsa_user_sgpr_kernarg_segment_ptr 1
		.amdhsa_user_sgpr_dispatch_id 0
		.amdhsa_user_sgpr_kernarg_preload_length 0
		.amdhsa_user_sgpr_kernarg_preload_offset 0
		.amdhsa_user_sgpr_private_segment_size 0
		.amdhsa_wavefront_size32 1
		.amdhsa_uses_dynamic_stack 0
		.amdhsa_enable_private_segment 0
		.amdhsa_system_sgpr_workgroup_id_x 1
		.amdhsa_system_sgpr_workgroup_id_y 1
		.amdhsa_system_sgpr_workgroup_id_z 0
		.amdhsa_system_sgpr_workgroup_info 0
		.amdhsa_system_vgpr_workitem_id 0
		.amdhsa_next_free_vgpr 6
		.amdhsa_next_free_sgpr 8
		.amdhsa_named_barrier_count 0
		.amdhsa_reserve_vcc 1
		.amdhsa_float_round_mode_32 0
		.amdhsa_float_round_mode_16_64 0
		.amdhsa_float_denorm_mode_32 3
		.amdhsa_float_denorm_mode_16_64 3
		.amdhsa_fp16_overflow 0
		.amdhsa_memory_ordered 1
		.amdhsa_forward_progress 1
		.amdhsa_inst_pref_size 2
		.amdhsa_round_robin_scheduling 0
		.amdhsa_exception_fp_ieee_invalid_op 0
		.amdhsa_exception_fp_denorm_src 0
		.amdhsa_exception_fp_ieee_div_zero 0
		.amdhsa_exception_fp_ieee_overflow 0
		.amdhsa_exception_fp_ieee_underflow 0
		.amdhsa_exception_fp_ieee_inexact 0
		.amdhsa_exception_int_div_zero 0
	.end_amdhsa_kernel
	.section	.text._ZN9rocsolver6v33100L16reset_batch_infoI19rocblas_complex_numIdEiiPS3_EEvT2_lT0_T1_,"axG",@progbits,_ZN9rocsolver6v33100L16reset_batch_infoI19rocblas_complex_numIdEiiPS3_EEvT2_lT0_T1_,comdat
.Lfunc_end109:
	.size	_ZN9rocsolver6v33100L16reset_batch_infoI19rocblas_complex_numIdEiiPS3_EEvT2_lT0_T1_, .Lfunc_end109-_ZN9rocsolver6v33100L16reset_batch_infoI19rocblas_complex_numIdEiiPS3_EEvT2_lT0_T1_
                                        ; -- End function
	.set _ZN9rocsolver6v33100L16reset_batch_infoI19rocblas_complex_numIdEiiPS3_EEvT2_lT0_T1_.num_vgpr, 6
	.set _ZN9rocsolver6v33100L16reset_batch_infoI19rocblas_complex_numIdEiiPS3_EEvT2_lT0_T1_.num_agpr, 0
	.set _ZN9rocsolver6v33100L16reset_batch_infoI19rocblas_complex_numIdEiiPS3_EEvT2_lT0_T1_.numbered_sgpr, 8
	.set _ZN9rocsolver6v33100L16reset_batch_infoI19rocblas_complex_numIdEiiPS3_EEvT2_lT0_T1_.num_named_barrier, 0
	.set _ZN9rocsolver6v33100L16reset_batch_infoI19rocblas_complex_numIdEiiPS3_EEvT2_lT0_T1_.private_seg_size, 0
	.set _ZN9rocsolver6v33100L16reset_batch_infoI19rocblas_complex_numIdEiiPS3_EEvT2_lT0_T1_.uses_vcc, 1
	.set _ZN9rocsolver6v33100L16reset_batch_infoI19rocblas_complex_numIdEiiPS3_EEvT2_lT0_T1_.uses_flat_scratch, 0
	.set _ZN9rocsolver6v33100L16reset_batch_infoI19rocblas_complex_numIdEiiPS3_EEvT2_lT0_T1_.has_dyn_sized_stack, 0
	.set _ZN9rocsolver6v33100L16reset_batch_infoI19rocblas_complex_numIdEiiPS3_EEvT2_lT0_T1_.has_recursion, 0
	.set _ZN9rocsolver6v33100L16reset_batch_infoI19rocblas_complex_numIdEiiPS3_EEvT2_lT0_T1_.has_indirect_call, 0
	.section	.AMDGPU.csdata,"",@progbits
; Kernel info:
; codeLenInByte = 200
; TotalNumSgprs: 10
; NumVgprs: 6
; ScratchSize: 0
; MemoryBound: 0
; FloatMode: 240
; IeeeMode: 1
; LDSByteSize: 0 bytes/workgroup (compile time only)
; SGPRBlocks: 0
; VGPRBlocks: 0
; NumSGPRsForWavesPerEU: 10
; NumVGPRsForWavesPerEU: 6
; NamedBarCnt: 0
; Occupancy: 16
; WaveLimiterHint : 0
; COMPUTE_PGM_RSRC2:SCRATCH_EN: 0
; COMPUTE_PGM_RSRC2:USER_SGPR: 2
; COMPUTE_PGM_RSRC2:TRAP_HANDLER: 0
; COMPUTE_PGM_RSRC2:TGID_X_EN: 1
; COMPUTE_PGM_RSRC2:TGID_Y_EN: 1
; COMPUTE_PGM_RSRC2:TGID_Z_EN: 0
; COMPUTE_PGM_RSRC2:TIDIG_COMP_CNT: 0
	.section	.text._ZN9rocsolver6v33100L8set_diagI19rocblas_complex_numIdEidPS3_TnNSt9enable_ifIXaa18rocblas_is_complexIT_Ent18rocblas_is_complexIT1_EEiE4typeELi0EEEvPS7_llT2_lT0_lSC_b,"axG",@progbits,_ZN9rocsolver6v33100L8set_diagI19rocblas_complex_numIdEidPS3_TnNSt9enable_ifIXaa18rocblas_is_complexIT_Ent18rocblas_is_complexIT1_EEiE4typeELi0EEEvPS7_llT2_lT0_lSC_b,comdat
	.globl	_ZN9rocsolver6v33100L8set_diagI19rocblas_complex_numIdEidPS3_TnNSt9enable_ifIXaa18rocblas_is_complexIT_Ent18rocblas_is_complexIT1_EEiE4typeELi0EEEvPS7_llT2_lT0_lSC_b ; -- Begin function _ZN9rocsolver6v33100L8set_diagI19rocblas_complex_numIdEidPS3_TnNSt9enable_ifIXaa18rocblas_is_complexIT_Ent18rocblas_is_complexIT1_EEiE4typeELi0EEEvPS7_llT2_lT0_lSC_b
	.p2align	8
	.type	_ZN9rocsolver6v33100L8set_diagI19rocblas_complex_numIdEidPS3_TnNSt9enable_ifIXaa18rocblas_is_complexIT_Ent18rocblas_is_complexIT1_EEiE4typeELi0EEEvPS7_llT2_lT0_lSC_b,@function
_ZN9rocsolver6v33100L8set_diagI19rocblas_complex_numIdEidPS3_TnNSt9enable_ifIXaa18rocblas_is_complexIT_Ent18rocblas_is_complexIT1_EEiE4typeELi0EEEvPS7_llT2_lT0_lSC_b: ; @_ZN9rocsolver6v33100L8set_diagI19rocblas_complex_numIdEidPS3_TnNSt9enable_ifIXaa18rocblas_is_complexIT_Ent18rocblas_is_complexIT1_EEiE4typeELi0EEEvPS7_llT2_lT0_lSC_b
; %bb.0:
	s_load_u16 s4, s[0:1], 0x4e
	s_bfe_u32 s2, ttmp6, 0x40010
	s_bfe_u32 s6, ttmp6, 0x40004
	s_add_co_i32 s5, s2, 1
	s_load_b64 s[2:3], s[0:1], 0x38
	s_mul_i32 s5, ttmp7, s5
	s_getreg_b32 s12, hwreg(HW_REG_IB_STS2, 6, 4)
	s_add_co_i32 s6, s6, s5
	v_bfe_u32 v0, v0, 10, 10
	s_cmp_eq_u32 s12, 0
	s_cselect_b32 s5, ttmp7, s6
	s_wait_kmcnt 0x0
	s_delay_alu instid0(VALU_DEP_1) | instskip(NEXT) | instid1(VALU_DEP_1)
	v_mad_u32 v2, s5, s4, v0
	v_cmp_gt_i32_e32 vcc_lo, s2, v2
	s_and_saveexec_b32 s2, vcc_lo
	s_cbranch_execz .LBB110_5
; %bb.1:
	s_clause 0x2
	s_load_b96 s[16:18], s[0:1], 0x20
	s_load_b64 s[14:15], s[0:1], 0x30
	s_load_b256 s[4:11], s[0:1], 0x0
	s_bitcmp1_b32 s3, 0
	s_cselect_b32 s19, -1, 0
	s_wait_xcnt 0x0
	s_bfe_u32 s0, ttmp6, 0x4000c
	s_and_b32 s1, ttmp6, 15
	s_add_co_i32 s0, s0, 1
	s_delay_alu instid0(SALU_CYCLE_1) | instskip(NEXT) | instid1(SALU_CYCLE_1)
	s_mul_i32 s0, ttmp9, s0
	s_add_co_i32 s1, s1, s0
	s_cmp_eq_u32 s12, 0
	s_cselect_b32 s0, ttmp9, s1
	s_and_b32 vcc_lo, exec_lo, s19
	s_ashr_i32 s1, s0, 31
	s_wait_kmcnt 0x0
	v_mad_u32 v0, v2, s18, v2
	s_mul_u64 s[2:3], s[14:15], s[0:1]
	s_lshl_b64 s[12:13], s[16:17], 4
	s_lshl_b64 s[2:3], s[2:3], 4
	s_mul_u64 s[0:1], s[8:9], s[0:1]
	s_add_nc_u64 s[2:3], s[10:11], s[2:3]
	s_lshl_b64 s[0:1], s[0:1], 3
	s_add_nc_u64 s[2:3], s[2:3], s[12:13]
	s_add_nc_u64 s[0:1], s[4:5], s[0:1]
	s_delay_alu instid0(VALU_DEP_1) | instskip(NEXT) | instid1(VALU_DEP_1)
	v_ashrrev_i32_e32 v1, 31, v0
	v_lshl_add_u64 v[4:5], v[0:1], 4, s[2:3]
	s_lshl_b64 s[2:3], s[6:7], 3
	s_delay_alu instid0(SALU_CYCLE_1)
	s_add_nc_u64 s[0:1], s[0:1], s[2:3]
	global_load_b64 v[0:1], v[4:5], off
	s_wait_loadcnt 0x0
	global_store_b64 v2, v[0:1], s[0:1] scale_offset
	s_cbranch_vccnz .LBB110_3
; %bb.2:
	global_load_b64 v[2:3], v[4:5], off offset:8
	s_branch .LBB110_4
.LBB110_3:
	s_wait_xcnt 0x0
	v_mov_b64_e32 v[0:1], 1.0
	v_mov_b64_e32 v[2:3], 0
.LBB110_4:
	s_wait_loadcnt 0x0
	global_store_b128 v[4:5], v[0:3], off
.LBB110_5:
	s_endpgm
	.section	.rodata,"a",@progbits
	.p2align	6, 0x0
	.amdhsa_kernel _ZN9rocsolver6v33100L8set_diagI19rocblas_complex_numIdEidPS3_TnNSt9enable_ifIXaa18rocblas_is_complexIT_Ent18rocblas_is_complexIT1_EEiE4typeELi0EEEvPS7_llT2_lT0_lSC_b
		.amdhsa_group_segment_fixed_size 0
		.amdhsa_private_segment_fixed_size 0
		.amdhsa_kernarg_size 320
		.amdhsa_user_sgpr_count 2
		.amdhsa_user_sgpr_dispatch_ptr 0
		.amdhsa_user_sgpr_queue_ptr 0
		.amdhsa_user_sgpr_kernarg_segment_ptr 1
		.amdhsa_user_sgpr_dispatch_id 0
		.amdhsa_user_sgpr_kernarg_preload_length 0
		.amdhsa_user_sgpr_kernarg_preload_offset 0
		.amdhsa_user_sgpr_private_segment_size 0
		.amdhsa_wavefront_size32 1
		.amdhsa_uses_dynamic_stack 0
		.amdhsa_enable_private_segment 0
		.amdhsa_system_sgpr_workgroup_id_x 1
		.amdhsa_system_sgpr_workgroup_id_y 1
		.amdhsa_system_sgpr_workgroup_id_z 0
		.amdhsa_system_sgpr_workgroup_info 0
		.amdhsa_system_vgpr_workitem_id 1
		.amdhsa_next_free_vgpr 6
		.amdhsa_next_free_sgpr 20
		.amdhsa_named_barrier_count 0
		.amdhsa_reserve_vcc 1
		.amdhsa_float_round_mode_32 0
		.amdhsa_float_round_mode_16_64 0
		.amdhsa_float_denorm_mode_32 3
		.amdhsa_float_denorm_mode_16_64 3
		.amdhsa_fp16_overflow 0
		.amdhsa_memory_ordered 1
		.amdhsa_forward_progress 1
		.amdhsa_inst_pref_size 3
		.amdhsa_round_robin_scheduling 0
		.amdhsa_exception_fp_ieee_invalid_op 0
		.amdhsa_exception_fp_denorm_src 0
		.amdhsa_exception_fp_ieee_div_zero 0
		.amdhsa_exception_fp_ieee_overflow 0
		.amdhsa_exception_fp_ieee_underflow 0
		.amdhsa_exception_fp_ieee_inexact 0
		.amdhsa_exception_int_div_zero 0
	.end_amdhsa_kernel
	.section	.text._ZN9rocsolver6v33100L8set_diagI19rocblas_complex_numIdEidPS3_TnNSt9enable_ifIXaa18rocblas_is_complexIT_Ent18rocblas_is_complexIT1_EEiE4typeELi0EEEvPS7_llT2_lT0_lSC_b,"axG",@progbits,_ZN9rocsolver6v33100L8set_diagI19rocblas_complex_numIdEidPS3_TnNSt9enable_ifIXaa18rocblas_is_complexIT_Ent18rocblas_is_complexIT1_EEiE4typeELi0EEEvPS7_llT2_lT0_lSC_b,comdat
.Lfunc_end110:
	.size	_ZN9rocsolver6v33100L8set_diagI19rocblas_complex_numIdEidPS3_TnNSt9enable_ifIXaa18rocblas_is_complexIT_Ent18rocblas_is_complexIT1_EEiE4typeELi0EEEvPS7_llT2_lT0_lSC_b, .Lfunc_end110-_ZN9rocsolver6v33100L8set_diagI19rocblas_complex_numIdEidPS3_TnNSt9enable_ifIXaa18rocblas_is_complexIT_Ent18rocblas_is_complexIT1_EEiE4typeELi0EEEvPS7_llT2_lT0_lSC_b
                                        ; -- End function
	.set _ZN9rocsolver6v33100L8set_diagI19rocblas_complex_numIdEidPS3_TnNSt9enable_ifIXaa18rocblas_is_complexIT_Ent18rocblas_is_complexIT1_EEiE4typeELi0EEEvPS7_llT2_lT0_lSC_b.num_vgpr, 6
	.set _ZN9rocsolver6v33100L8set_diagI19rocblas_complex_numIdEidPS3_TnNSt9enable_ifIXaa18rocblas_is_complexIT_Ent18rocblas_is_complexIT1_EEiE4typeELi0EEEvPS7_llT2_lT0_lSC_b.num_agpr, 0
	.set _ZN9rocsolver6v33100L8set_diagI19rocblas_complex_numIdEidPS3_TnNSt9enable_ifIXaa18rocblas_is_complexIT_Ent18rocblas_is_complexIT1_EEiE4typeELi0EEEvPS7_llT2_lT0_lSC_b.numbered_sgpr, 20
	.set _ZN9rocsolver6v33100L8set_diagI19rocblas_complex_numIdEidPS3_TnNSt9enable_ifIXaa18rocblas_is_complexIT_Ent18rocblas_is_complexIT1_EEiE4typeELi0EEEvPS7_llT2_lT0_lSC_b.num_named_barrier, 0
	.set _ZN9rocsolver6v33100L8set_diagI19rocblas_complex_numIdEidPS3_TnNSt9enable_ifIXaa18rocblas_is_complexIT_Ent18rocblas_is_complexIT1_EEiE4typeELi0EEEvPS7_llT2_lT0_lSC_b.private_seg_size, 0
	.set _ZN9rocsolver6v33100L8set_diagI19rocblas_complex_numIdEidPS3_TnNSt9enable_ifIXaa18rocblas_is_complexIT_Ent18rocblas_is_complexIT1_EEiE4typeELi0EEEvPS7_llT2_lT0_lSC_b.uses_vcc, 1
	.set _ZN9rocsolver6v33100L8set_diagI19rocblas_complex_numIdEidPS3_TnNSt9enable_ifIXaa18rocblas_is_complexIT_Ent18rocblas_is_complexIT1_EEiE4typeELi0EEEvPS7_llT2_lT0_lSC_b.uses_flat_scratch, 0
	.set _ZN9rocsolver6v33100L8set_diagI19rocblas_complex_numIdEidPS3_TnNSt9enable_ifIXaa18rocblas_is_complexIT_Ent18rocblas_is_complexIT1_EEiE4typeELi0EEEvPS7_llT2_lT0_lSC_b.has_dyn_sized_stack, 0
	.set _ZN9rocsolver6v33100L8set_diagI19rocblas_complex_numIdEidPS3_TnNSt9enable_ifIXaa18rocblas_is_complexIT_Ent18rocblas_is_complexIT1_EEiE4typeELi0EEEvPS7_llT2_lT0_lSC_b.has_recursion, 0
	.set _ZN9rocsolver6v33100L8set_diagI19rocblas_complex_numIdEidPS3_TnNSt9enable_ifIXaa18rocblas_is_complexIT_Ent18rocblas_is_complexIT1_EEiE4typeELi0EEEvPS7_llT2_lT0_lSC_b.has_indirect_call, 0
	.section	.AMDGPU.csdata,"",@progbits
; Kernel info:
; codeLenInByte = 328
; TotalNumSgprs: 22
; NumVgprs: 6
; ScratchSize: 0
; MemoryBound: 0
; FloatMode: 240
; IeeeMode: 1
; LDSByteSize: 0 bytes/workgroup (compile time only)
; SGPRBlocks: 0
; VGPRBlocks: 0
; NumSGPRsForWavesPerEU: 22
; NumVGPRsForWavesPerEU: 6
; NamedBarCnt: 0
; Occupancy: 16
; WaveLimiterHint : 0
; COMPUTE_PGM_RSRC2:SCRATCH_EN: 0
; COMPUTE_PGM_RSRC2:USER_SGPR: 2
; COMPUTE_PGM_RSRC2:TRAP_HANDLER: 0
; COMPUTE_PGM_RSRC2:TGID_X_EN: 1
; COMPUTE_PGM_RSRC2:TGID_Y_EN: 1
; COMPUTE_PGM_RSRC2:TGID_Z_EN: 0
; COMPUTE_PGM_RSRC2:TIDIG_COMP_CNT: 1
	.section	.text._ZN9rocsolver6v33100L11set_taubetaI19rocblas_complex_numIdEidPS3_EEvPT_lS6_T2_llPT1_ll,"axG",@progbits,_ZN9rocsolver6v33100L11set_taubetaI19rocblas_complex_numIdEidPS3_EEvPT_lS6_T2_llPT1_ll,comdat
	.globl	_ZN9rocsolver6v33100L11set_taubetaI19rocblas_complex_numIdEidPS3_EEvPT_lS6_T2_llPT1_ll ; -- Begin function _ZN9rocsolver6v33100L11set_taubetaI19rocblas_complex_numIdEidPS3_EEvPT_lS6_T2_llPT1_ll
	.p2align	8
	.type	_ZN9rocsolver6v33100L11set_taubetaI19rocblas_complex_numIdEidPS3_EEvPT_lS6_T2_llPT1_ll,@function
_ZN9rocsolver6v33100L11set_taubetaI19rocblas_complex_numIdEidPS3_EEvPT_lS6_T2_llPT1_ll: ; @_ZN9rocsolver6v33100L11set_taubetaI19rocblas_complex_numIdEidPS3_EEvPT_lS6_T2_llPT1_ll
; %bb.0:
	s_load_b512 s[4:19], s[0:1], 0x0
	s_bfe_u32 s2, ttmp6, 0x4000c
	s_and_b32 s3, ttmp6, 15
	s_add_co_i32 s2, s2, 1
	s_getreg_b32 s20, hwreg(HW_REG_IB_STS2, 6, 4)
	s_mul_i32 s2, ttmp9, s2
	s_mov_b32 s22, 0
	s_add_co_i32 s3, s3, s2
	s_cmp_eq_u32 s20, 0
	s_mov_b64 s[20:21], 0
	s_cselect_b32 s2, ttmp9, s3
	s_delay_alu instid0(SALU_CYCLE_1)
	s_ashr_i32 s3, s2, 31
	s_wait_kmcnt 0x0
	s_cmp_eq_u64 s[16:17], 0
	s_cbranch_scc1 .LBB111_2
; %bb.1:
	s_load_b64 s[0:1], s[0:1], 0x40
	s_wait_kmcnt 0x0
	s_mul_u64 s[0:1], s[0:1], s[2:3]
	s_delay_alu instid0(SALU_CYCLE_1) | instskip(NEXT) | instid1(SALU_CYCLE_1)
	s_lshl_b64 s[0:1], s[0:1], 3
	s_add_nc_u64 s[0:1], s[16:17], s[0:1]
	s_lshl_b64 s[16:17], s[18:19], 3
	s_delay_alu instid0(SALU_CYCLE_1)
	s_add_nc_u64 s[20:21], s[0:1], s[16:17]
.LBB111_2:
	s_mul_u64 s[0:1], s[14:15], s[2:3]
	s_lshl_b64 s[12:13], s[12:13], 4
	s_lshl_b64 s[0:1], s[0:1], 4
	;; [unrolled: 1-line block ×3, first 2 shown]
	s_add_nc_u64 s[0:1], s[10:11], s[0:1]
	s_add_nc_u64 s[8:9], s[8:9], s[14:15]
	;; [unrolled: 1-line block ×3, first 2 shown]
	s_mul_u64 s[2:3], s[6:7], s[2:3]
	s_load_b64 s[12:13], s[10:11], 0x8
	s_load_b64 s[0:1], s[8:9], 0x0
	s_lshl_b64 s[14:15], s[2:3], 4
	s_cmp_eq_u64 s[20:21], 0
	s_add_nc_u64 s[4:5], s[4:5], s[14:15]
	s_cselect_b32 s3, -1, 0
	s_cmp_lg_u64 s[20:21], 0
	s_cselect_b32 s6, -1, 0
	s_wait_kmcnt 0x0
	v_mul_f64_e64 v[4:5], s[12:13], s[12:13]
	v_max_num_f64_e64 v[0:1], s[0:1], s[0:1]
	s_delay_alu instid0(VALU_DEP_1) | instskip(NEXT) | instid1(VALU_DEP_1)
	v_max_num_f64_e32 v[0:1], v[0:1], v[4:5]
	v_cmp_nlt_f64_e32 vcc_lo, 0, v[0:1]
	s_cbranch_vccz .LBB111_6
; %bb.3:
	v_dual_mov_b32 v0, 0 :: v_dual_mov_b32 v1, 0x3ff00000
	s_mov_b32 s2, 0
	s_and_b32 vcc_lo, exec_lo, s6
	s_delay_alu instid0(VALU_DEP_1)
	v_dual_mov_b32 v2, v0 :: v_dual_mov_b32 v3, v0
	global_store_b128 v0, v[0:3], s[8:9]
	s_wait_xcnt 0x0
	v_mov_b32_e32 v1, v0
	global_store_b128 v0, v[0:3], s[4:5]
	s_cbranch_vccz .LBB111_7
; %bb.4:
	global_load_b64 v[0:1], v0, s[10:11]
	s_mov_b32 s22, -1
	s_and_b32 vcc_lo, exec_lo, s2
	s_cbranch_vccnz .LBB111_8
.LBB111_5:
	s_mov_b32 s3, 0
	s_and_not1_b32 vcc_lo, exec_lo, s22
	s_cbranch_vccz .LBB111_9
	s_branch .LBB111_10
.LBB111_6:
	s_mov_b32 s2, -1
.LBB111_7:
                                        ; implicit-def: $vgpr0_vgpr1
	s_delay_alu instid0(SALU_CYCLE_1)
	s_and_b32 vcc_lo, exec_lo, s2
	s_cbranch_vccz .LBB111_5
.LBB111_8:
	v_mov_b32_e32 v40, 0
	s_mov_b32 s22, s6
	global_load_b64 v[2:3], v40, s[10:11]
	s_wait_loadcnt 0x0
	v_fma_f64 v[0:1], v[2:3], v[2:3], v[4:5]
	s_delay_alu instid0(VALU_DEP_1) | instskip(NEXT) | instid1(VALU_DEP_1)
	v_add_f64_e32 v[0:1], s[0:1], v[0:1]
	v_cmp_gt_f64_e32 vcc_lo, 0x10000000, v[0:1]
	s_and_b32 s0, vcc_lo, exec_lo
	s_cselect_b32 s0, 0x100, 0
	s_delay_alu instid0(SALU_CYCLE_1) | instskip(SKIP_1) | instid1(VALU_DEP_1)
	v_ldexp_f64 v[0:1], v[0:1], s0
	s_cselect_b32 s0, 0xffffff80, 0
	v_rsq_f64_e32 v[6:7], v[0:1]
	v_cmp_class_f64_e64 vcc_lo, v[0:1], 0x260
	s_delay_alu instid0(TRANS32_DEP_1) | instskip(SKIP_1) | instid1(VALU_DEP_1)
	v_mul_f64_e32 v[8:9], v[0:1], v[6:7]
	v_mul_f64_e32 v[6:7], 0.5, v[6:7]
	v_fma_f64 v[10:11], -v[6:7], v[8:9], 0.5
	s_delay_alu instid0(VALU_DEP_1) | instskip(SKIP_1) | instid1(VALU_DEP_2)
	v_fmac_f64_e32 v[8:9], v[8:9], v[10:11]
	v_fmac_f64_e32 v[6:7], v[6:7], v[10:11]
	v_fma_f64 v[10:11], -v[8:9], v[8:9], v[0:1]
	s_delay_alu instid0(VALU_DEP_1) | instskip(NEXT) | instid1(VALU_DEP_1)
	v_fmac_f64_e32 v[8:9], v[10:11], v[6:7]
	v_fma_f64 v[10:11], -v[8:9], v[8:9], v[0:1]
	s_delay_alu instid0(VALU_DEP_1) | instskip(NEXT) | instid1(VALU_DEP_1)
	v_fmac_f64_e32 v[8:9], v[10:11], v[6:7]
	v_ldexp_f64 v[6:7], v[8:9], s0
	s_delay_alu instid0(VALU_DEP_1) | instskip(SKIP_1) | instid1(VALU_DEP_2)
	v_dual_cndmask_b32 v0, v6, v0 :: v_dual_cndmask_b32 v1, v7, v1
	v_cmp_le_f64_e32 vcc_lo, 0, v[2:3]
	v_xor_b32_e32 v6, 0x80000000, v1
	s_delay_alu instid0(VALU_DEP_1) | instskip(NEXT) | instid1(VALU_DEP_1)
	v_cndmask_b32_e32 v1, v1, v6, vcc_lo
	v_add_f64_e64 v[6:7], v[2:3], -v[0:1]
	v_add_f64_e64 v[8:9], v[0:1], -v[2:3]
	s_delay_alu instid0(VALU_DEP_2) | instskip(NEXT) | instid1(VALU_DEP_2)
	v_fmac_f64_e32 v[4:5], v[6:7], v[6:7]
	v_div_scale_f64 v[12:13], null, v[0:1], v[0:1], v[8:9]
	s_delay_alu instid0(VALU_DEP_2) | instskip(NEXT) | instid1(VALU_DEP_2)
	v_div_scale_f64 v[10:11], null, v[4:5], v[4:5], -s[12:13]
	v_rcp_f64_e32 v[20:21], v[12:13]
	v_div_scale_f64 v[2:3], null, v[4:5], v[4:5], v[6:7]
	v_div_scale_f64 v[32:33], vcc_lo, v[6:7], v[4:5], v[6:7]
	s_delay_alu instid0(VALU_DEP_3) | instskip(NEXT) | instid1(VALU_DEP_2)
	v_rcp_f64_e32 v[18:19], v[10:11]
	v_rcp_f64_e32 v[16:17], v[2:3]
	s_delay_alu instid0(TRANS32_DEP_3) | instskip(NEXT) | instid1(TRANS32_DEP_2)
	v_fma_f64 v[28:29], -v[12:13], v[20:21], 1.0
	v_fma_f64 v[26:27], -v[10:11], v[18:19], 1.0
	s_delay_alu instid0(VALU_DEP_2) | instskip(NEXT) | instid1(TRANS32_DEP_1)
	v_fmac_f64_e32 v[20:21], v[20:21], v[28:29]
	v_fma_f64 v[24:25], -v[2:3], v[16:17], 1.0
	s_delay_alu instid0(VALU_DEP_3) | instskip(NEXT) | instid1(VALU_DEP_3)
	v_fmac_f64_e32 v[18:19], v[18:19], v[26:27]
	v_fma_f64 v[28:29], -v[12:13], v[20:21], 1.0
	s_delay_alu instid0(VALU_DEP_3) | instskip(NEXT) | instid1(VALU_DEP_3)
	;; [unrolled: 3-line block ×3, first 2 shown]
	v_fmac_f64_e32 v[20:21], v[20:21], v[28:29]
	v_fma_f64 v[24:25], -v[2:3], v[16:17], 1.0
	s_delay_alu instid0(VALU_DEP_3) | instskip(SKIP_1) | instid1(VALU_DEP_3)
	v_fmac_f64_e32 v[18:19], v[18:19], v[26:27]
	v_div_scale_f64 v[26:27], s1, v[8:9], v[0:1], v[8:9]
	v_fmac_f64_e32 v[16:17], v[16:17], v[24:25]
	v_div_scale_f64 v[24:25], s0, -s[12:13], v[4:5], -s[12:13]
	s_delay_alu instid0(VALU_DEP_3) | instskip(SKIP_2) | instid1(VALU_DEP_4)
	v_mul_f64_e32 v[36:37], v[26:27], v[20:21]
	v_div_scale_f64 v[14:15], null, v[0:1], v[0:1], -s[12:13]
	v_div_scale_f64 v[28:29], s2, -s[12:13], v[0:1], -s[12:13]
	v_mul_f64_e32 v[34:35], v[24:25], v[18:19]
	s_delay_alu instid0(VALU_DEP_4) | instskip(NEXT) | instid1(VALU_DEP_4)
	v_fma_f64 v[12:13], -v[12:13], v[36:37], v[26:27]
	v_rcp_f64_e32 v[22:23], v[14:15]
	s_delay_alu instid0(VALU_DEP_2) | instskip(NEXT) | instid1(TRANS32_DEP_1)
	v_fma_f64 v[10:11], -v[10:11], v[34:35], v[24:25]
	v_fma_f64 v[30:31], -v[14:15], v[22:23], 1.0
	s_delay_alu instid0(VALU_DEP_1) | instskip(NEXT) | instid1(VALU_DEP_1)
	v_fmac_f64_e32 v[22:23], v[22:23], v[30:31]
	v_fma_f64 v[30:31], -v[14:15], v[22:23], 1.0
	s_delay_alu instid0(VALU_DEP_1) | instskip(SKIP_1) | instid1(VALU_DEP_2)
	v_fmac_f64_e32 v[22:23], v[22:23], v[30:31]
	v_mul_f64_e32 v[30:31], v[32:33], v[16:17]
	v_mul_f64_e32 v[38:39], v[28:29], v[22:23]
	s_delay_alu instid0(VALU_DEP_2) | instskip(NEXT) | instid1(VALU_DEP_2)
	v_fma_f64 v[2:3], -v[2:3], v[30:31], v[32:33]
	v_fma_f64 v[14:15], -v[14:15], v[38:39], v[28:29]
	s_delay_alu instid0(VALU_DEP_2)
	v_div_fmas_f64 v[2:3], v[2:3], v[16:17], v[30:31]
	s_mov_b32 vcc_lo, s0
	v_div_fmas_f64 v[10:11], v[10:11], v[18:19], v[34:35]
	s_mov_b32 vcc_lo, s1
	;; [unrolled: 2-line block ×3, first 2 shown]
	s_delay_alu instid0(VALU_DEP_4) | instskip(NEXT) | instid1(VALU_DEP_4)
	v_div_fmas_f64 v[14:15], v[14:15], v[22:23], v[38:39]
	v_div_fixup_f64 v[2:3], v[2:3], v[4:5], v[6:7]
	s_delay_alu instid0(VALU_DEP_4) | instskip(NEXT) | instid1(VALU_DEP_4)
	v_div_fixup_f64 v[4:5], v[10:11], v[4:5], -s[12:13]
	v_div_fixup_f64 v[6:7], v[12:13], v[0:1], v[8:9]
	s_delay_alu instid0(VALU_DEP_4)
	v_div_fixup_f64 v[8:9], v[14:15], v[0:1], -s[12:13]
	s_clause 0x1
	global_store_b128 v40, v[2:5], s[8:9]
	global_store_b128 v40, v[6:9], s[4:5]
	s_and_not1_b32 vcc_lo, exec_lo, s22
	s_cbranch_vccnz .LBB111_10
.LBB111_9:
	s_wait_xcnt 0x0
	v_mov_b32_e32 v2, 0
	s_mov_b32 s3, -1
	s_wait_loadcnt 0x0
	global_store_b64 v2, v[0:1], s[20:21]
	s_wait_xcnt 0x0
	v_mov_b64_e32 v[0:1], 1.0
.LBB111_10:
	s_and_not1_b32 vcc_lo, exec_lo, s3
	s_cbranch_vccz .LBB111_12
; %bb.11:
	s_endpgm
.LBB111_12:
	s_wait_xcnt 0x0
	v_mov_b32_e32 v2, 0
	s_delay_alu instid0(VALU_DEP_1)
	v_mov_b32_e32 v3, v2
	s_wait_loadcnt 0x0
	global_store_b128 v2, v[0:3], s[10:11]
	s_endpgm
	.section	.rodata,"a",@progbits
	.p2align	6, 0x0
	.amdhsa_kernel _ZN9rocsolver6v33100L11set_taubetaI19rocblas_complex_numIdEidPS3_EEvPT_lS6_T2_llPT1_ll
		.amdhsa_group_segment_fixed_size 0
		.amdhsa_private_segment_fixed_size 0
		.amdhsa_kernarg_size 72
		.amdhsa_user_sgpr_count 2
		.amdhsa_user_sgpr_dispatch_ptr 0
		.amdhsa_user_sgpr_queue_ptr 0
		.amdhsa_user_sgpr_kernarg_segment_ptr 1
		.amdhsa_user_sgpr_dispatch_id 0
		.amdhsa_user_sgpr_kernarg_preload_length 0
		.amdhsa_user_sgpr_kernarg_preload_offset 0
		.amdhsa_user_sgpr_private_segment_size 0
		.amdhsa_wavefront_size32 1
		.amdhsa_uses_dynamic_stack 0
		.amdhsa_enable_private_segment 0
		.amdhsa_system_sgpr_workgroup_id_x 1
		.amdhsa_system_sgpr_workgroup_id_y 0
		.amdhsa_system_sgpr_workgroup_id_z 0
		.amdhsa_system_sgpr_workgroup_info 0
		.amdhsa_system_vgpr_workitem_id 0
		.amdhsa_next_free_vgpr 41
		.amdhsa_next_free_sgpr 23
		.amdhsa_named_barrier_count 0
		.amdhsa_reserve_vcc 1
		.amdhsa_float_round_mode_32 0
		.amdhsa_float_round_mode_16_64 0
		.amdhsa_float_denorm_mode_32 3
		.amdhsa_float_denorm_mode_16_64 3
		.amdhsa_fp16_overflow 0
		.amdhsa_memory_ordered 1
		.amdhsa_forward_progress 1
		.amdhsa_inst_pref_size 9
		.amdhsa_round_robin_scheduling 0
		.amdhsa_exception_fp_ieee_invalid_op 0
		.amdhsa_exception_fp_denorm_src 0
		.amdhsa_exception_fp_ieee_div_zero 0
		.amdhsa_exception_fp_ieee_overflow 0
		.amdhsa_exception_fp_ieee_underflow 0
		.amdhsa_exception_fp_ieee_inexact 0
		.amdhsa_exception_int_div_zero 0
	.end_amdhsa_kernel
	.section	.text._ZN9rocsolver6v33100L11set_taubetaI19rocblas_complex_numIdEidPS3_EEvPT_lS6_T2_llPT1_ll,"axG",@progbits,_ZN9rocsolver6v33100L11set_taubetaI19rocblas_complex_numIdEidPS3_EEvPT_lS6_T2_llPT1_ll,comdat
.Lfunc_end111:
	.size	_ZN9rocsolver6v33100L11set_taubetaI19rocblas_complex_numIdEidPS3_EEvPT_lS6_T2_llPT1_ll, .Lfunc_end111-_ZN9rocsolver6v33100L11set_taubetaI19rocblas_complex_numIdEidPS3_EEvPT_lS6_T2_llPT1_ll
                                        ; -- End function
	.set _ZN9rocsolver6v33100L11set_taubetaI19rocblas_complex_numIdEidPS3_EEvPT_lS6_T2_llPT1_ll.num_vgpr, 41
	.set _ZN9rocsolver6v33100L11set_taubetaI19rocblas_complex_numIdEidPS3_EEvPT_lS6_T2_llPT1_ll.num_agpr, 0
	.set _ZN9rocsolver6v33100L11set_taubetaI19rocblas_complex_numIdEidPS3_EEvPT_lS6_T2_llPT1_ll.numbered_sgpr, 23
	.set _ZN9rocsolver6v33100L11set_taubetaI19rocblas_complex_numIdEidPS3_EEvPT_lS6_T2_llPT1_ll.num_named_barrier, 0
	.set _ZN9rocsolver6v33100L11set_taubetaI19rocblas_complex_numIdEidPS3_EEvPT_lS6_T2_llPT1_ll.private_seg_size, 0
	.set _ZN9rocsolver6v33100L11set_taubetaI19rocblas_complex_numIdEidPS3_EEvPT_lS6_T2_llPT1_ll.uses_vcc, 1
	.set _ZN9rocsolver6v33100L11set_taubetaI19rocblas_complex_numIdEidPS3_EEvPT_lS6_T2_llPT1_ll.uses_flat_scratch, 0
	.set _ZN9rocsolver6v33100L11set_taubetaI19rocblas_complex_numIdEidPS3_EEvPT_lS6_T2_llPT1_ll.has_dyn_sized_stack, 0
	.set _ZN9rocsolver6v33100L11set_taubetaI19rocblas_complex_numIdEidPS3_EEvPT_lS6_T2_llPT1_ll.has_recursion, 0
	.set _ZN9rocsolver6v33100L11set_taubetaI19rocblas_complex_numIdEidPS3_EEvPT_lS6_T2_llPT1_ll.has_indirect_call, 0
	.section	.AMDGPU.csdata,"",@progbits
; Kernel info:
; codeLenInByte = 1060
; TotalNumSgprs: 25
; NumVgprs: 41
; ScratchSize: 0
; MemoryBound: 0
; FloatMode: 240
; IeeeMode: 1
; LDSByteSize: 0 bytes/workgroup (compile time only)
; SGPRBlocks: 0
; VGPRBlocks: 2
; NumSGPRsForWavesPerEU: 25
; NumVGPRsForWavesPerEU: 41
; NamedBarCnt: 0
; Occupancy: 16
; WaveLimiterHint : 0
; COMPUTE_PGM_RSRC2:SCRATCH_EN: 0
; COMPUTE_PGM_RSRC2:USER_SGPR: 2
; COMPUTE_PGM_RSRC2:TRAP_HANDLER: 0
; COMPUTE_PGM_RSRC2:TGID_X_EN: 1
; COMPUTE_PGM_RSRC2:TGID_Y_EN: 0
; COMPUTE_PGM_RSRC2:TGID_Z_EN: 0
; COMPUTE_PGM_RSRC2:TIDIG_COMP_CNT: 0
	.section	.text._ZN9rocsolver6v33100L13conj_in_placeI19rocblas_complex_numIdEiPS3_TnNSt9enable_ifIX18rocblas_is_complexIT_EEiE4typeELi0EEEvT0_S9_T1_lS9_l,"axG",@progbits,_ZN9rocsolver6v33100L13conj_in_placeI19rocblas_complex_numIdEiPS3_TnNSt9enable_ifIX18rocblas_is_complexIT_EEiE4typeELi0EEEvT0_S9_T1_lS9_l,comdat
	.globl	_ZN9rocsolver6v33100L13conj_in_placeI19rocblas_complex_numIdEiPS3_TnNSt9enable_ifIX18rocblas_is_complexIT_EEiE4typeELi0EEEvT0_S9_T1_lS9_l ; -- Begin function _ZN9rocsolver6v33100L13conj_in_placeI19rocblas_complex_numIdEiPS3_TnNSt9enable_ifIX18rocblas_is_complexIT_EEiE4typeELi0EEEvT0_S9_T1_lS9_l
	.p2align	8
	.type	_ZN9rocsolver6v33100L13conj_in_placeI19rocblas_complex_numIdEiPS3_TnNSt9enable_ifIX18rocblas_is_complexIT_EEiE4typeELi0EEEvT0_S9_T1_lS9_l,@function
_ZN9rocsolver6v33100L13conj_in_placeI19rocblas_complex_numIdEiPS3_TnNSt9enable_ifIX18rocblas_is_complexIT_EEiE4typeELi0EEEvT0_S9_T1_lS9_l: ; @_ZN9rocsolver6v33100L13conj_in_placeI19rocblas_complex_numIdEiPS3_TnNSt9enable_ifIX18rocblas_is_complexIT_EEiE4typeELi0EEEvT0_S9_T1_lS9_l
; %bb.0:
	s_clause 0x1
	s_load_b32 s5, s[0:1], 0x34
	s_load_b64 s[2:3], s[0:1], 0x0
	s_bfe_u32 s7, ttmp6, 0x40010
	s_bfe_u32 s10, ttmp6, 0x4000c
	s_and_b32 s6, ttmp7, 0xffff
	s_add_co_i32 s7, s7, 1
	s_add_co_i32 s10, s10, 1
	s_bfe_u32 s8, ttmp6, 0x40004
	s_and_b32 s9, ttmp6, 15
	s_mul_i32 s7, s6, s7
	s_mul_i32 s10, ttmp9, s10
	s_getreg_b32 s4, hwreg(HW_REG_IB_STS2, 6, 4)
	v_and_b32_e32 v1, 0x3ff, v0
	v_bfe_u32 v2, v0, 10, 10
	s_add_co_i32 s8, s8, s7
	s_add_co_i32 s9, s9, s10
	s_wait_kmcnt 0x0
	s_lshr_b32 s7, s5, 16
	s_and_b32 s5, s5, 0xffff
	s_cmp_eq_u32 s4, 0
	s_cselect_b32 s9, ttmp9, s9
	s_cselect_b32 s6, s6, s8
	v_mad_u32 v0, s9, s5, v1
	v_mad_u32 v2, s6, s7, v2
	s_delay_alu instid0(VALU_DEP_2) | instskip(NEXT) | instid1(VALU_DEP_2)
	v_cmp_gt_i32_e32 vcc_lo, s2, v0
	v_cmp_gt_i32_e64 s2, s3, v2
	s_mov_b32 s3, 0
	s_and_b32 s2, vcc_lo, s2
	s_delay_alu instid0(SALU_CYCLE_1)
	s_and_saveexec_b32 s5, s2
	s_cbranch_execz .LBB112_2
; %bb.1:
	s_load_b32 s6, s[0:1], 0x18
	v_dual_ashrrev_i32 v3, 31, v2 :: v_dual_ashrrev_i32 v1, 31, v0
	s_clause 0x1
	s_load_b64 s[12:13], s[0:1], 0x20
	s_load_b128 s[8:11], s[0:1], 0x8
	s_wait_xcnt 0x0
	s_bfe_u32 s0, ttmp6, 0x40014
	s_lshr_b32 s1, ttmp7, 16
	s_add_co_i32 s0, s0, 1
	s_bfe_u32 s2, ttmp6, 0x40008
	s_mul_i32 s0, s1, s0
	s_delay_alu instid0(SALU_CYCLE_1)
	s_add_co_i32 s2, s2, s0
	s_wait_kmcnt 0x0
	s_ashr_i32 s7, s6, 31
	s_cmp_eq_u32 s4, 0
	v_mul_u64_e32 v[4:5], s[6:7], v[2:3]
	s_cselect_b32 s2, s1, s2
	s_delay_alu instid0(SALU_CYCLE_1) | instskip(SKIP_2) | instid1(SALU_CYCLE_1)
	s_mul_u64 s[0:1], s[12:13], s[2:3]
	s_lshl_b64 s[2:3], s[10:11], 4
	s_lshl_b64 s[0:1], s[0:1], 4
	s_add_nc_u64 s[0:1], s[8:9], s[0:1]
	s_delay_alu instid0(SALU_CYCLE_1)
	s_add_nc_u64 s[0:1], s[0:1], s[2:3]
	s_delay_alu instid0(VALU_DEP_1) | instid1(SALU_CYCLE_1)
	v_lshl_add_u64 v[4:5], v[4:5], 4, s[0:1]
	s_delay_alu instid0(VALU_DEP_1)
	v_lshl_add_u64 v[4:5], v[0:1], 4, v[4:5]
	v_mad_u32 v0, v2, s6, v0
	global_load_b128 v[4:7], v[4:5], off
	s_wait_loadcnt 0x0
	v_xor_b32_e32 v7, 0x80000000, v7
	global_store_b128 v0, v[4:7], s[0:1] scale_offset
.LBB112_2:
	s_endpgm
	.section	.rodata,"a",@progbits
	.p2align	6, 0x0
	.amdhsa_kernel _ZN9rocsolver6v33100L13conj_in_placeI19rocblas_complex_numIdEiPS3_TnNSt9enable_ifIX18rocblas_is_complexIT_EEiE4typeELi0EEEvT0_S9_T1_lS9_l
		.amdhsa_group_segment_fixed_size 0
		.amdhsa_private_segment_fixed_size 0
		.amdhsa_kernarg_size 296
		.amdhsa_user_sgpr_count 2
		.amdhsa_user_sgpr_dispatch_ptr 0
		.amdhsa_user_sgpr_queue_ptr 0
		.amdhsa_user_sgpr_kernarg_segment_ptr 1
		.amdhsa_user_sgpr_dispatch_id 0
		.amdhsa_user_sgpr_kernarg_preload_length 0
		.amdhsa_user_sgpr_kernarg_preload_offset 0
		.amdhsa_user_sgpr_private_segment_size 0
		.amdhsa_wavefront_size32 1
		.amdhsa_uses_dynamic_stack 0
		.amdhsa_enable_private_segment 0
		.amdhsa_system_sgpr_workgroup_id_x 1
		.amdhsa_system_sgpr_workgroup_id_y 1
		.amdhsa_system_sgpr_workgroup_id_z 1
		.amdhsa_system_sgpr_workgroup_info 0
		.amdhsa_system_vgpr_workitem_id 1
		.amdhsa_next_free_vgpr 8
		.amdhsa_next_free_sgpr 14
		.amdhsa_named_barrier_count 0
		.amdhsa_reserve_vcc 1
		.amdhsa_float_round_mode_32 0
		.amdhsa_float_round_mode_16_64 0
		.amdhsa_float_denorm_mode_32 3
		.amdhsa_float_denorm_mode_16_64 3
		.amdhsa_fp16_overflow 0
		.amdhsa_memory_ordered 1
		.amdhsa_forward_progress 1
		.amdhsa_inst_pref_size 3
		.amdhsa_round_robin_scheduling 0
		.amdhsa_exception_fp_ieee_invalid_op 0
		.amdhsa_exception_fp_denorm_src 0
		.amdhsa_exception_fp_ieee_div_zero 0
		.amdhsa_exception_fp_ieee_overflow 0
		.amdhsa_exception_fp_ieee_underflow 0
		.amdhsa_exception_fp_ieee_inexact 0
		.amdhsa_exception_int_div_zero 0
	.end_amdhsa_kernel
	.section	.text._ZN9rocsolver6v33100L13conj_in_placeI19rocblas_complex_numIdEiPS3_TnNSt9enable_ifIX18rocblas_is_complexIT_EEiE4typeELi0EEEvT0_S9_T1_lS9_l,"axG",@progbits,_ZN9rocsolver6v33100L13conj_in_placeI19rocblas_complex_numIdEiPS3_TnNSt9enable_ifIX18rocblas_is_complexIT_EEiE4typeELi0EEEvT0_S9_T1_lS9_l,comdat
.Lfunc_end112:
	.size	_ZN9rocsolver6v33100L13conj_in_placeI19rocblas_complex_numIdEiPS3_TnNSt9enable_ifIX18rocblas_is_complexIT_EEiE4typeELi0EEEvT0_S9_T1_lS9_l, .Lfunc_end112-_ZN9rocsolver6v33100L13conj_in_placeI19rocblas_complex_numIdEiPS3_TnNSt9enable_ifIX18rocblas_is_complexIT_EEiE4typeELi0EEEvT0_S9_T1_lS9_l
                                        ; -- End function
	.set _ZN9rocsolver6v33100L13conj_in_placeI19rocblas_complex_numIdEiPS3_TnNSt9enable_ifIX18rocblas_is_complexIT_EEiE4typeELi0EEEvT0_S9_T1_lS9_l.num_vgpr, 8
	.set _ZN9rocsolver6v33100L13conj_in_placeI19rocblas_complex_numIdEiPS3_TnNSt9enable_ifIX18rocblas_is_complexIT_EEiE4typeELi0EEEvT0_S9_T1_lS9_l.num_agpr, 0
	.set _ZN9rocsolver6v33100L13conj_in_placeI19rocblas_complex_numIdEiPS3_TnNSt9enable_ifIX18rocblas_is_complexIT_EEiE4typeELi0EEEvT0_S9_T1_lS9_l.numbered_sgpr, 14
	.set _ZN9rocsolver6v33100L13conj_in_placeI19rocblas_complex_numIdEiPS3_TnNSt9enable_ifIX18rocblas_is_complexIT_EEiE4typeELi0EEEvT0_S9_T1_lS9_l.num_named_barrier, 0
	.set _ZN9rocsolver6v33100L13conj_in_placeI19rocblas_complex_numIdEiPS3_TnNSt9enable_ifIX18rocblas_is_complexIT_EEiE4typeELi0EEEvT0_S9_T1_lS9_l.private_seg_size, 0
	.set _ZN9rocsolver6v33100L13conj_in_placeI19rocblas_complex_numIdEiPS3_TnNSt9enable_ifIX18rocblas_is_complexIT_EEiE4typeELi0EEEvT0_S9_T1_lS9_l.uses_vcc, 1
	.set _ZN9rocsolver6v33100L13conj_in_placeI19rocblas_complex_numIdEiPS3_TnNSt9enable_ifIX18rocblas_is_complexIT_EEiE4typeELi0EEEvT0_S9_T1_lS9_l.uses_flat_scratch, 0
	.set _ZN9rocsolver6v33100L13conj_in_placeI19rocblas_complex_numIdEiPS3_TnNSt9enable_ifIX18rocblas_is_complexIT_EEiE4typeELi0EEEvT0_S9_T1_lS9_l.has_dyn_sized_stack, 0
	.set _ZN9rocsolver6v33100L13conj_in_placeI19rocblas_complex_numIdEiPS3_TnNSt9enable_ifIX18rocblas_is_complexIT_EEiE4typeELi0EEEvT0_S9_T1_lS9_l.has_recursion, 0
	.set _ZN9rocsolver6v33100L13conj_in_placeI19rocblas_complex_numIdEiPS3_TnNSt9enable_ifIX18rocblas_is_complexIT_EEiE4typeELi0EEEvT0_S9_T1_lS9_l.has_indirect_call, 0
	.section	.AMDGPU.csdata,"",@progbits
; Kernel info:
; codeLenInByte = 380
; TotalNumSgprs: 16
; NumVgprs: 8
; ScratchSize: 0
; MemoryBound: 0
; FloatMode: 240
; IeeeMode: 1
; LDSByteSize: 0 bytes/workgroup (compile time only)
; SGPRBlocks: 0
; VGPRBlocks: 0
; NumSGPRsForWavesPerEU: 16
; NumVGPRsForWavesPerEU: 8
; NamedBarCnt: 0
; Occupancy: 16
; WaveLimiterHint : 0
; COMPUTE_PGM_RSRC2:SCRATCH_EN: 0
; COMPUTE_PGM_RSRC2:USER_SGPR: 2
; COMPUTE_PGM_RSRC2:TRAP_HANDLER: 0
; COMPUTE_PGM_RSRC2:TGID_X_EN: 1
; COMPUTE_PGM_RSRC2:TGID_Y_EN: 1
; COMPUTE_PGM_RSRC2:TGID_Z_EN: 1
; COMPUTE_PGM_RSRC2:TIDIG_COMP_CNT: 1
	.section	.text._ZN9rocsolver6v33100L16larf_left_kernelILi1024E19rocblas_complex_numIdEiPS3_EEvT1_S5_T2_lS5_lPKT0_lS6_lS5_l,"axG",@progbits,_ZN9rocsolver6v33100L16larf_left_kernelILi1024E19rocblas_complex_numIdEiPS3_EEvT1_S5_T2_lS5_lPKT0_lS6_lS5_l,comdat
	.globl	_ZN9rocsolver6v33100L16larf_left_kernelILi1024E19rocblas_complex_numIdEiPS3_EEvT1_S5_T2_lS5_lPKT0_lS6_lS5_l ; -- Begin function _ZN9rocsolver6v33100L16larf_left_kernelILi1024E19rocblas_complex_numIdEiPS3_EEvT1_S5_T2_lS5_lPKT0_lS6_lS5_l
	.p2align	8
	.type	_ZN9rocsolver6v33100L16larf_left_kernelILi1024E19rocblas_complex_numIdEiPS3_EEvT1_S5_T2_lS5_lPKT0_lS6_lS5_l,@function
_ZN9rocsolver6v33100L16larf_left_kernelILi1024E19rocblas_complex_numIdEiPS3_EEvT1_S5_T2_lS5_lPKT0_lS6_lS5_l: ; @_ZN9rocsolver6v33100L16larf_left_kernelILi1024E19rocblas_complex_numIdEiPS3_EEvT1_S5_T2_lS5_lPKT0_lS6_lS5_l
; %bb.0:
	s_clause 0x3
	s_load_b96 s[12:14], s[0:1], 0x40
	s_load_b64 s[16:17], s[0:1], 0x50
	s_load_b32 s18, s[0:1], 0x0
	s_load_b256 s[4:11], s[0:1], 0x20
	s_bfe_u32 s2, ttmp6, 0x40010
	s_bfe_u32 s20, ttmp6, 0x40014
	s_and_b32 s15, ttmp7, 0xffff
	s_lshr_b32 s22, ttmp7, 16
	s_add_co_i32 s2, s2, 1
	s_add_co_i32 s20, s20, 1
	s_bfe_u32 s19, ttmp6, 0x40004
	s_bfe_u32 s21, ttmp6, 0x40008
	s_mul_i32 s2, s15, s2
	s_mul_i32 s20, s22, s20
	s_getreg_b32 s23, hwreg(HW_REG_IB_STS2, 6, 4)
	v_mov_b64_e32 v[4:5], 0
	s_add_co_i32 s19, s19, s2
	s_add_co_i32 s2, s21, s20
	v_mov_b64_e32 v[6:7], 0
	s_mov_b32 s3, 0
	s_wait_kmcnt 0x0
	s_ashr_i32 s21, s14, 31
	s_cmp_eq_u32 s23, 0
	v_cmp_gt_i32_e32 vcc_lo, s18, v0
	v_lshlrev_b32_e32 v2, 4, v0
	s_mov_b32 s20, s14
	s_cselect_b32 s2, s22, s2
	s_cselect_b32 s22, s15, s19
	s_mov_b32 s23, s3
	s_mul_u64 s[14:15], s[16:17], s[2:3]
	s_mul_u64 s[16:17], s[22:23], s[20:21]
	s_and_saveexec_b32 s19, vcc_lo
	s_cbranch_execz .LBB113_6
; %bb.1:
	s_clause 0x1
	s_load_b32 s24, s[0:1], 0x18
	s_load_b128 s[20:23], s[0:1], 0x8
	v_dual_mov_b32 v1, 0 :: v_dual_mov_b32 v6, v0
	s_wait_xcnt 0x0
	s_sub_co_i32 s1, 1, s18
	s_mul_u64 s[4:5], s[4:5], s[2:3]
	s_wait_kmcnt 0x0
	s_ashr_i32 s25, s24, 31
	s_mul_i32 s1, s24, s1
	v_mul_u64_e32 v[4:5], s[24:25], v[0:1]
	v_cmp_lt_i64_e64 s0, s[24:25], 1
	v_add3_u32 v1, v2, 0, 0x200
	s_delay_alu instid0(VALU_DEP_1)
	v_mov_b32_e32 v3, v1
	s_and_b32 s0, s0, exec_lo
	s_cselect_b32 s0, s1, 0
	s_lshl_b64 s[22:23], s[22:23], 4
	s_ashr_i32 s1, s0, 31
	s_lshl_b64 s[4:5], s[4:5], 4
	s_lshl_b64 s[0:1], s[0:1], 4
	s_delay_alu instid0(SALU_CYCLE_1) | instskip(NEXT) | instid1(SALU_CYCLE_1)
	s_add_nc_u64 s[0:1], s[20:21], s[0:1]
	s_add_nc_u64 s[0:1], s[0:1], s[22:23]
	s_delay_alu instid0(SALU_CYCLE_1)
	s_add_nc_u64 s[0:1], s[0:1], s[4:5]
	s_lshl_b64 s[4:5], s[24:25], 14
	v_lshl_add_u64 v[4:5], v[4:5], 4, s[0:1]
	s_mov_b32 s1, s3
.LBB113_2:                              ; =>This Inner Loop Header: Depth=1
	global_load_b128 v[8:11], v[4:5], off
	v_add_nc_u32_e32 v6, 0x400, v6
	s_wait_xcnt 0x0
	v_add_nc_u64_e32 v[4:5], s[4:5], v[4:5]
	s_delay_alu instid0(VALU_DEP_2)
	v_cmp_le_i32_e64 s0, s18, v6
	s_or_b32 s1, s0, s1
	s_wait_loadcnt 0x0
	ds_store_2addr_b64 v3, v[8:9], v[10:11] offset1:1
	v_add_nc_u32_e32 v3, 0x4000, v3
	s_and_not1_b32 exec_lo, exec_lo, s1
	s_cbranch_execnz .LBB113_2
; %bb.3:
	s_or_b32 exec_lo, exec_lo, s1
	s_lshl_b64 s[0:1], s[14:15], 4
	s_lshl_b64 s[4:5], s[16:17], 4
	v_dual_mov_b32 v5, 0 :: v_dual_lshlrev_b32 v4, 4, v0
	s_add_nc_u64 s[0:1], s[0:1], s[4:5]
	s_lshl_b64 s[4:5], s[12:13], 4
	v_mov_b32_e32 v3, v0
	s_add_nc_u64 s[0:1], s[0:1], s[4:5]
	s_delay_alu instid0(SALU_CYCLE_1) | instskip(NEXT) | instid1(SALU_CYCLE_1)
	s_add_nc_u64 s[0:1], s[10:11], s[0:1]
	v_add_nc_u64_e32 v[6:7], s[0:1], v[4:5]
	v_mov_b64_e32 v[4:5], 0
	s_mov_b32 s1, 0
	s_delay_alu instid0(VALU_DEP_2)
	v_add_nc_u64_e32 v[8:9], 8, v[6:7]
	v_mov_b64_e32 v[6:7], 0
.LBB113_4:                              ; =>This Inner Loop Header: Depth=1
	global_load_b128 v[10:13], v[8:9], off offset:-8
	ds_load_2addr_b64 v[14:17], v1 offset1:1
	v_add_nc_u32_e32 v3, 0x400, v3
	s_wait_xcnt 0x0
	v_add_nc_u64_e32 v[8:9], 0x4000, v[8:9]
	v_add_nc_u32_e32 v1, 0x4000, v1
	s_delay_alu instid0(VALU_DEP_3) | instskip(SKIP_4) | instid1(VALU_DEP_2)
	v_cmp_le_i32_e64 s0, s18, v3
	s_or_b32 s1, s0, s1
	s_wait_loadcnt_dscnt 0x0
	v_mul_f64_e32 v[18:19], v[12:13], v[16:17]
	v_mul_f64_e32 v[12:13], v[12:13], v[14:15]
	v_fmac_f64_e32 v[18:19], v[10:11], v[14:15]
	s_delay_alu instid0(VALU_DEP_2) | instskip(NEXT) | instid1(VALU_DEP_2)
	v_fma_f64 v[10:11], v[10:11], v[16:17], -v[12:13]
	v_add_f64_e32 v[6:7], v[6:7], v[18:19]
	s_delay_alu instid0(VALU_DEP_2)
	v_add_f64_e32 v[4:5], v[4:5], v[10:11]
	s_and_not1_b32 exec_lo, exec_lo, s1
	s_cbranch_execnz .LBB113_4
; %bb.5:
	s_or_b32 exec_lo, exec_lo, s1
.LBB113_6:
	s_delay_alu instid0(SALU_CYCLE_1) | instskip(SKIP_2) | instid1(VALU_DEP_1)
	s_or_b32 exec_lo, exec_lo, s19
	v_mbcnt_lo_u32_b32 v1, -1, 0
	s_mov_b32 s1, exec_lo
	v_cmp_ne_u32_e64 s0, 31, v1
	s_delay_alu instid0(VALU_DEP_1) | instskip(SKIP_1) | instid1(VALU_DEP_2)
	v_add_co_ci_u32_e64 v3, null, 0, v1, s0
	v_cmp_gt_u32_e64 s0, 30, v1
	v_lshlrev_b32_e32 v3, 2, v3
	ds_bpermute_b32 v8, v3, v6
	ds_bpermute_b32 v9, v3, v7
	s_wait_dscnt 0x0
	v_add_f64_e32 v[6:7], v[6:7], v[8:9]
	ds_bpermute_b32 v10, v3, v4
	ds_bpermute_b32 v11, v3, v5
	v_cndmask_b32_e64 v3, 0, 2, s0
	v_cmp_gt_u32_e64 s0, 28, v1
	s_delay_alu instid0(VALU_DEP_2)
	v_add_lshl_u32 v3, v3, v1, 2
	s_wait_dscnt 0x0
	v_add_f64_e32 v[4:5], v[4:5], v[10:11]
	ds_bpermute_b32 v8, v3, v6
	ds_bpermute_b32 v9, v3, v7
	s_wait_dscnt 0x0
	v_add_f64_e32 v[6:7], v[6:7], v[8:9]
	ds_bpermute_b32 v10, v3, v4
	ds_bpermute_b32 v11, v3, v5
	v_cndmask_b32_e64 v3, 0, 4, s0
	v_cmp_gt_u32_e64 s0, 24, v1
	s_delay_alu instid0(VALU_DEP_2)
	v_add_lshl_u32 v3, v3, v1, 2
	s_wait_dscnt 0x0
	v_add_f64_e32 v[4:5], v[4:5], v[10:11]
	ds_bpermute_b32 v8, v3, v6
	ds_bpermute_b32 v9, v3, v7
	s_wait_dscnt 0x0
	v_add_f64_e32 v[6:7], v[6:7], v[8:9]
	ds_bpermute_b32 v10, v3, v4
	ds_bpermute_b32 v11, v3, v5
	v_cndmask_b32_e64 v3, 0, 8, s0
	s_delay_alu instid0(VALU_DEP_1)
	v_add_lshl_u32 v3, v3, v1, 2
	v_lshl_or_b32 v1, v1, 2, 64
	s_wait_dscnt 0x0
	v_add_f64_e32 v[4:5], v[4:5], v[10:11]
	ds_bpermute_b32 v8, v3, v6
	ds_bpermute_b32 v9, v3, v7
	s_wait_dscnt 0x0
	v_add_f64_e32 v[6:7], v[6:7], v[8:9]
	ds_bpermute_b32 v10, v3, v4
	ds_bpermute_b32 v11, v3, v5
	;; [unrolled: 4-line block ×4, first 2 shown]
	s_wait_dscnt 0x0
	v_dual_add_f64 v[6:7], v[8:9], v[10:11] :: v_dual_bitop2_b32 v1, 31, v0 bitop3:0x40
	s_delay_alu instid0(VALU_DEP_1)
	v_cmpx_eq_u32_e32 0, v1
; %bb.7:
	v_lshrrev_b32_e32 v1, 1, v0
	s_delay_alu instid0(VALU_DEP_1)
	v_add_nc_u32_e32 v1, 0, v1
	ds_store_2addr_b64 v1, v[4:5], v[6:7] offset1:1
; %bb.8:
	s_or_b32 exec_lo, exec_lo, s1
	s_delay_alu instid0(SALU_CYCLE_1)
	s_mov_b32 s1, exec_lo
	s_wait_dscnt 0x0
	s_barrier_signal -1
	s_barrier_wait -1
	v_cmpx_eq_u32_e32 0, v0
	s_cbranch_execz .LBB113_10
; %bb.9:
	v_mov_b32_e32 v1, 0
	ds_load_2addr_b64 v[8:11], v1 offset0:2 offset1:3
	ds_load_2addr_b64 v[12:15], v1 offset0:4 offset1:5
	s_wait_dscnt 0x1
	v_add_f64_e32 v[4:5], v[4:5], v[8:9]
	v_add_f64_e32 v[6:7], v[6:7], v[10:11]
	s_wait_dscnt 0x0
	s_delay_alu instid0(VALU_DEP_2) | instskip(NEXT) | instid1(VALU_DEP_2)
	v_add_f64_e32 v[12:13], v[4:5], v[12:13]
	v_add_f64_e32 v[14:15], v[6:7], v[14:15]
	ds_load_2addr_b64 v[4:7], v1 offset0:6 offset1:7
	ds_load_2addr_b64 v[8:11], v1 offset0:8 offset1:9
	s_wait_dscnt 0x1
	v_add_f64_e32 v[4:5], v[12:13], v[4:5]
	v_add_f64_e32 v[6:7], v[14:15], v[6:7]
	s_wait_dscnt 0x0
	s_delay_alu instid0(VALU_DEP_2) | instskip(NEXT) | instid1(VALU_DEP_2)
	v_add_f64_e32 v[12:13], v[4:5], v[8:9]
	v_add_f64_e32 v[14:15], v[6:7], v[10:11]
	;; [unrolled: 9-line block ×15, first 2 shown]
	ds_load_2addr_b64 v[4:7], v1 offset0:62 offset1:63
	s_wait_dscnt 0x0
	v_add_f64_e32 v[4:5], v[8:9], v[4:5]
	v_add_f64_e32 v[6:7], v[10:11], v[6:7]
	ds_store_2addr_b64 v1, v[4:5], v[6:7] offset1:1
.LBB113_10:
	s_or_b32 exec_lo, exec_lo, s1
	s_wait_dscnt 0x0
	s_barrier_signal -1
	s_barrier_wait -1
	s_and_saveexec_b32 s0, vcc_lo
	s_cbranch_execz .LBB113_13
; %bb.11:
	s_mul_u64 s[0:1], s[8:9], s[2:3]
	v_add3_u32 v1, v2, 0, 0x200
	s_lshl_b64 s[0:1], s[0:1], 4
	s_delay_alu instid0(SALU_CYCLE_1)
	s_add_nc_u64 s[4:5], s[6:7], s[0:1]
	s_load_b128 s[0:3], s[4:5], 0x0
	v_mov_b32_e32 v3, 0
	ds_load_2addr_b64 v[4:7], v3 offset1:1
	s_wait_dscnt 0x0
	s_wait_kmcnt 0x0
	v_mul_f64_e32 v[8:9], s[2:3], v[6:7]
	v_mul_f64_e32 v[10:11], s[2:3], v[4:5]
	s_lshl_b64 s[2:3], s[16:17], 4
	s_delay_alu instid0(VALU_DEP_2) | instskip(NEXT) | instid1(VALU_DEP_2)
	v_fma_f64 v[4:5], v[4:5], -s[0:1], -v[8:9]
	v_fma_f64 v[6:7], s[0:1], v[6:7], -v[10:11]
	s_lshl_b64 s[0:1], s[14:15], 4
	s_delay_alu instid0(SALU_CYCLE_1) | instskip(SKIP_1) | instid1(SALU_CYCLE_1)
	s_add_nc_u64 s[0:1], s[0:1], s[2:3]
	s_lshl_b64 s[2:3], s[12:13], 4
	s_add_nc_u64 s[0:1], s[0:1], s[2:3]
	s_delay_alu instid0(SALU_CYCLE_1) | instskip(NEXT) | instid1(SALU_CYCLE_1)
	s_add_nc_u64 s[0:1], s[10:11], s[0:1]
	v_add_nc_u64_e32 v[8:9], s[0:1], v[2:3]
	s_mov_b32 s0, 0
	s_delay_alu instid0(VALU_DEP_1)
	v_add_nc_u64_e32 v[8:9], 8, v[8:9]
.LBB113_12:                             ; =>This Inner Loop Header: Depth=1
	global_load_b128 v[10:13], v[8:9], off offset:-8
	ds_load_2addr_b64 v[14:17], v1 offset1:1
	v_add_nc_u32_e32 v0, 0x400, v0
	v_add_nc_u32_e32 v1, 0x4000, v1
	s_delay_alu instid0(VALU_DEP_2) | instskip(SKIP_4) | instid1(VALU_DEP_2)
	v_cmp_le_i32_e32 vcc_lo, s18, v0
	s_or_b32 s0, vcc_lo, s0
	s_wait_dscnt 0x0
	v_mul_f64_e32 v[2:3], v[6:7], v[16:17]
	v_mul_f64_e32 v[16:17], v[4:5], v[16:17]
	v_fma_f64 v[2:3], v[4:5], v[14:15], -v[2:3]
	s_delay_alu instid0(VALU_DEP_2) | instskip(SKIP_1) | instid1(VALU_DEP_2)
	v_fmac_f64_e32 v[16:17], v[6:7], v[14:15]
	s_wait_loadcnt 0x0
	v_add_f64_e32 v[10:11], v[10:11], v[2:3]
	s_delay_alu instid0(VALU_DEP_2)
	v_add_f64_e32 v[12:13], v[16:17], v[12:13]
	global_store_b128 v[8:9], v[10:13], off offset:-8
	s_wait_xcnt 0x0
	v_add_nc_u64_e32 v[8:9], 0x4000, v[8:9]
	s_and_not1_b32 exec_lo, exec_lo, s0
	s_cbranch_execnz .LBB113_12
.LBB113_13:
	s_endpgm
	.section	.rodata,"a",@progbits
	.p2align	6, 0x0
	.amdhsa_kernel _ZN9rocsolver6v33100L16larf_left_kernelILi1024E19rocblas_complex_numIdEiPS3_EEvT1_S5_T2_lS5_lPKT0_lS6_lS5_l
		.amdhsa_group_segment_fixed_size 0
		.amdhsa_private_segment_fixed_size 0
		.amdhsa_kernarg_size 88
		.amdhsa_user_sgpr_count 2
		.amdhsa_user_sgpr_dispatch_ptr 0
		.amdhsa_user_sgpr_queue_ptr 0
		.amdhsa_user_sgpr_kernarg_segment_ptr 1
		.amdhsa_user_sgpr_dispatch_id 0
		.amdhsa_user_sgpr_kernarg_preload_length 0
		.amdhsa_user_sgpr_kernarg_preload_offset 0
		.amdhsa_user_sgpr_private_segment_size 0
		.amdhsa_wavefront_size32 1
		.amdhsa_uses_dynamic_stack 0
		.amdhsa_enable_private_segment 0
		.amdhsa_system_sgpr_workgroup_id_x 1
		.amdhsa_system_sgpr_workgroup_id_y 1
		.amdhsa_system_sgpr_workgroup_id_z 1
		.amdhsa_system_sgpr_workgroup_info 0
		.amdhsa_system_vgpr_workitem_id 0
		.amdhsa_next_free_vgpr 20
		.amdhsa_next_free_sgpr 26
		.amdhsa_named_barrier_count 0
		.amdhsa_reserve_vcc 1
		.amdhsa_float_round_mode_32 0
		.amdhsa_float_round_mode_16_64 0
		.amdhsa_float_denorm_mode_32 3
		.amdhsa_float_denorm_mode_16_64 3
		.amdhsa_fp16_overflow 0
		.amdhsa_memory_ordered 1
		.amdhsa_forward_progress 1
		.amdhsa_inst_pref_size 16
		.amdhsa_round_robin_scheduling 0
		.amdhsa_exception_fp_ieee_invalid_op 0
		.amdhsa_exception_fp_denorm_src 0
		.amdhsa_exception_fp_ieee_div_zero 0
		.amdhsa_exception_fp_ieee_overflow 0
		.amdhsa_exception_fp_ieee_underflow 0
		.amdhsa_exception_fp_ieee_inexact 0
		.amdhsa_exception_int_div_zero 0
	.end_amdhsa_kernel
	.section	.text._ZN9rocsolver6v33100L16larf_left_kernelILi1024E19rocblas_complex_numIdEiPS3_EEvT1_S5_T2_lS5_lPKT0_lS6_lS5_l,"axG",@progbits,_ZN9rocsolver6v33100L16larf_left_kernelILi1024E19rocblas_complex_numIdEiPS3_EEvT1_S5_T2_lS5_lPKT0_lS6_lS5_l,comdat
.Lfunc_end113:
	.size	_ZN9rocsolver6v33100L16larf_left_kernelILi1024E19rocblas_complex_numIdEiPS3_EEvT1_S5_T2_lS5_lPKT0_lS6_lS5_l, .Lfunc_end113-_ZN9rocsolver6v33100L16larf_left_kernelILi1024E19rocblas_complex_numIdEiPS3_EEvT1_S5_T2_lS5_lPKT0_lS6_lS5_l
                                        ; -- End function
	.set _ZN9rocsolver6v33100L16larf_left_kernelILi1024E19rocblas_complex_numIdEiPS3_EEvT1_S5_T2_lS5_lPKT0_lS6_lS5_l.num_vgpr, 20
	.set _ZN9rocsolver6v33100L16larf_left_kernelILi1024E19rocblas_complex_numIdEiPS3_EEvT1_S5_T2_lS5_lPKT0_lS6_lS5_l.num_agpr, 0
	.set _ZN9rocsolver6v33100L16larf_left_kernelILi1024E19rocblas_complex_numIdEiPS3_EEvT1_S5_T2_lS5_lPKT0_lS6_lS5_l.numbered_sgpr, 26
	.set _ZN9rocsolver6v33100L16larf_left_kernelILi1024E19rocblas_complex_numIdEiPS3_EEvT1_S5_T2_lS5_lPKT0_lS6_lS5_l.num_named_barrier, 0
	.set _ZN9rocsolver6v33100L16larf_left_kernelILi1024E19rocblas_complex_numIdEiPS3_EEvT1_S5_T2_lS5_lPKT0_lS6_lS5_l.private_seg_size, 0
	.set _ZN9rocsolver6v33100L16larf_left_kernelILi1024E19rocblas_complex_numIdEiPS3_EEvT1_S5_T2_lS5_lPKT0_lS6_lS5_l.uses_vcc, 1
	.set _ZN9rocsolver6v33100L16larf_left_kernelILi1024E19rocblas_complex_numIdEiPS3_EEvT1_S5_T2_lS5_lPKT0_lS6_lS5_l.uses_flat_scratch, 0
	.set _ZN9rocsolver6v33100L16larf_left_kernelILi1024E19rocblas_complex_numIdEiPS3_EEvT1_S5_T2_lS5_lPKT0_lS6_lS5_l.has_dyn_sized_stack, 0
	.set _ZN9rocsolver6v33100L16larf_left_kernelILi1024E19rocblas_complex_numIdEiPS3_EEvT1_S5_T2_lS5_lPKT0_lS6_lS5_l.has_recursion, 0
	.set _ZN9rocsolver6v33100L16larf_left_kernelILi1024E19rocblas_complex_numIdEiPS3_EEvT1_S5_T2_lS5_lPKT0_lS6_lS5_l.has_indirect_call, 0
	.section	.AMDGPU.csdata,"",@progbits
; Kernel info:
; codeLenInByte = 1992
; TotalNumSgprs: 28
; NumVgprs: 20
; ScratchSize: 0
; MemoryBound: 0
; FloatMode: 240
; IeeeMode: 1
; LDSByteSize: 0 bytes/workgroup (compile time only)
; SGPRBlocks: 0
; VGPRBlocks: 1
; NumSGPRsForWavesPerEU: 28
; NumVGPRsForWavesPerEU: 20
; NamedBarCnt: 0
; Occupancy: 16
; WaveLimiterHint : 0
; COMPUTE_PGM_RSRC2:SCRATCH_EN: 0
; COMPUTE_PGM_RSRC2:USER_SGPR: 2
; COMPUTE_PGM_RSRC2:TRAP_HANDLER: 0
; COMPUTE_PGM_RSRC2:TGID_X_EN: 1
; COMPUTE_PGM_RSRC2:TGID_Y_EN: 1
; COMPUTE_PGM_RSRC2:TGID_Z_EN: 1
; COMPUTE_PGM_RSRC2:TIDIG_COMP_CNT: 0
	.section	.text._ZN9rocsolver6v33100L17larf_right_kernelILi1024E19rocblas_complex_numIdEiPS3_EEvT1_S5_T2_lS5_lPKT0_lS6_lS5_l,"axG",@progbits,_ZN9rocsolver6v33100L17larf_right_kernelILi1024E19rocblas_complex_numIdEiPS3_EEvT1_S5_T2_lS5_lPKT0_lS6_lS5_l,comdat
	.globl	_ZN9rocsolver6v33100L17larf_right_kernelILi1024E19rocblas_complex_numIdEiPS3_EEvT1_S5_T2_lS5_lPKT0_lS6_lS5_l ; -- Begin function _ZN9rocsolver6v33100L17larf_right_kernelILi1024E19rocblas_complex_numIdEiPS3_EEvT1_S5_T2_lS5_lPKT0_lS6_lS5_l
	.p2align	8
	.type	_ZN9rocsolver6v33100L17larf_right_kernelILi1024E19rocblas_complex_numIdEiPS3_EEvT1_S5_T2_lS5_lPKT0_lS6_lS5_l,@function
_ZN9rocsolver6v33100L17larf_right_kernelILi1024E19rocblas_complex_numIdEiPS3_EEvT1_S5_T2_lS5_lPKT0_lS6_lS5_l: ; @_ZN9rocsolver6v33100L17larf_right_kernelILi1024E19rocblas_complex_numIdEiPS3_EEvT1_S5_T2_lS5_lPKT0_lS6_lS5_l
; %bb.0:
	s_clause 0x3
	s_load_b32 s15, s[0:1], 0x4
	s_load_b256 s[4:11], s[0:1], 0x20
	s_load_b96 s[12:14], s[0:1], 0x40
	s_load_b64 s[2:3], s[0:1], 0x50
	s_bfe_u32 s16, ttmp6, 0x40010
	s_and_b32 s18, ttmp7, 0xffff
	s_add_co_i32 s16, s16, 1
	s_bfe_u32 s20, ttmp6, 0x40014
	s_mul_i32 s16, s18, s16
	s_bfe_u32 s19, ttmp6, 0x40004
	s_lshr_b32 s21, ttmp7, 16
	s_add_co_i32 s20, s20, 1
	s_add_co_i32 s19, s19, s16
	s_mul_i32 s16, s21, s20
	s_bfe_u32 s20, ttmp6, 0x40008
	s_getreg_b32 s22, hwreg(HW_REG_IB_STS2, 6, 4)
	s_add_co_i32 s20, s20, s16
	v_mov_b64_e32 v[2:3], 0
	v_mov_b64_e32 v[4:5], 0
	s_cmp_eq_u32 s22, 0
	s_wait_kmcnt 0x0
	v_cmp_gt_i32_e32 vcc_lo, s15, v0
	v_lshlrev_b32_e32 v8, 4, v0
	s_mov_b32 s17, 0
	s_cselect_b32 s16, s21, s20
	s_cselect_b32 s18, s18, s19
	s_mul_u64 s[2:3], s[2:3], s[16:17]
	s_and_saveexec_b32 s19, vcc_lo
	s_cbranch_execz .LBB114_6
; %bb.1:
	s_clause 0x1
	s_load_b32 s24, s[0:1], 0x18
	s_load_b128 s[20:23], s[0:1], 0x8
	v_add3_u32 v9, v8, 0, 0x200
	v_mov_b32_e32 v1, 0
	s_wait_xcnt 0x0
	s_sub_co_i32 s1, 1, s15
	s_mul_u64 s[4:5], s[4:5], s[16:17]
	v_dual_mov_b32 v5, v0 :: v_dual_mov_b32 v4, v9
	s_wait_kmcnt 0x0
	s_ashr_i32 s25, s24, 31
	s_mul_i32 s1, s24, s1
	v_mul_u64_e32 v[2:3], s[24:25], v[0:1]
	v_cmp_lt_i64_e64 s0, s[24:25], 1
	s_and_b32 s0, s0, exec_lo
	s_cselect_b32 s0, s1, 0
	s_lshl_b64 s[22:23], s[22:23], 4
	s_ashr_i32 s1, s0, 31
	s_lshl_b64 s[4:5], s[4:5], 4
	s_lshl_b64 s[0:1], s[0:1], 4
	s_delay_alu instid0(SALU_CYCLE_1) | instskip(NEXT) | instid1(SALU_CYCLE_1)
	s_add_nc_u64 s[0:1], s[20:21], s[0:1]
	s_add_nc_u64 s[0:1], s[0:1], s[22:23]
	s_delay_alu instid0(SALU_CYCLE_1)
	s_add_nc_u64 s[0:1], s[0:1], s[4:5]
	s_lshl_b64 s[4:5], s[24:25], 14
	v_lshl_add_u64 v[2:3], v[2:3], 4, s[0:1]
	s_mov_b32 s1, s17
.LBB114_2:                              ; =>This Inner Loop Header: Depth=1
	global_load_b128 v[10:13], v[2:3], off
	v_add_nc_u32_e32 v5, 0x400, v5
	s_wait_xcnt 0x0
	v_add_nc_u64_e32 v[2:3], s[4:5], v[2:3]
	s_delay_alu instid0(VALU_DEP_2)
	v_cmp_le_i32_e64 s0, s15, v5
	s_or_b32 s1, s0, s1
	s_wait_loadcnt 0x0
	ds_store_2addr_b64 v4, v[10:11], v[12:13] offset1:1
	v_add_nc_u32_e32 v4, 0x4000, v4
	s_and_not1_b32 exec_lo, exec_lo, s1
	s_cbranch_execnz .LBB114_2
; %bb.3:
	s_or_b32 exec_lo, exec_lo, s1
	s_ashr_i32 s5, s14, 31
	s_mov_b32 s4, s14
	s_lshl_b32 s0, s18, 4
	v_mul_u64_e32 v[2:3], s[4:5], v[0:1]
	s_mov_b32 s1, 0
	s_lshl_b64 s[20:21], s[12:13], 4
	s_add_nc_u64 s[22:23], s[10:11], s[0:1]
	s_lshl_b64 s[24:25], s[2:3], 4
	s_add_nc_u64 s[20:21], s[22:23], s[20:21]
	v_mov_b32_e32 v1, v0
	s_add_nc_u64 s[20:21], s[20:21], s[24:25]
	s_lshl_b64 s[4:5], s[4:5], 14
	s_delay_alu instid0(VALU_DEP_2) | instskip(SKIP_1) | instid1(VALU_DEP_2)
	v_lshl_add_u64 v[4:5], v[2:3], 4, s[20:21]
	v_mov_b64_e32 v[2:3], 0
	v_add_nc_u64_e32 v[6:7], 8, v[4:5]
	v_mov_b64_e32 v[4:5], 0
.LBB114_4:                              ; =>This Inner Loop Header: Depth=1
	global_load_b128 v[10:13], v[6:7], off offset:-8
	ds_load_2addr_b64 v[14:17], v9 offset1:1
	v_add_nc_u32_e32 v1, 0x400, v1
	s_wait_xcnt 0x0
	v_add_nc_u64_e32 v[6:7], s[4:5], v[6:7]
	v_add_nc_u32_e32 v9, 0x4000, v9
	s_delay_alu instid0(VALU_DEP_3) | instskip(SKIP_4) | instid1(VALU_DEP_2)
	v_cmp_le_i32_e64 s0, s15, v1
	s_or_b32 s1, s0, s1
	s_wait_loadcnt_dscnt 0x0
	v_mul_f64_e32 v[18:19], v[16:17], v[12:13]
	v_mul_f64_e32 v[12:13], v[14:15], v[12:13]
	v_fma_f64 v[14:15], v[14:15], v[10:11], -v[18:19]
	s_delay_alu instid0(VALU_DEP_2) | instskip(NEXT) | instid1(VALU_DEP_2)
	v_fmac_f64_e32 v[12:13], v[16:17], v[10:11]
	v_add_f64_e32 v[4:5], v[4:5], v[14:15]
	s_delay_alu instid0(VALU_DEP_2)
	v_add_f64_e32 v[2:3], v[2:3], v[12:13]
	s_and_not1_b32 exec_lo, exec_lo, s1
	s_cbranch_execnz .LBB114_4
; %bb.5:
	s_or_b32 exec_lo, exec_lo, s1
.LBB114_6:
	s_delay_alu instid0(SALU_CYCLE_1) | instskip(SKIP_2) | instid1(VALU_DEP_1)
	s_or_b32 exec_lo, exec_lo, s19
	v_mbcnt_lo_u32_b32 v1, -1, 0
	s_mov_b32 s1, exec_lo
	v_cmp_ne_u32_e64 s0, 31, v1
	s_delay_alu instid0(VALU_DEP_1) | instskip(SKIP_1) | instid1(VALU_DEP_2)
	v_add_co_ci_u32_e64 v6, null, 0, v1, s0
	v_cmp_gt_u32_e64 s0, 30, v1
	v_lshlrev_b32_e32 v9, 2, v6
	ds_bpermute_b32 v6, v9, v4
	ds_bpermute_b32 v7, v9, v5
	;; [unrolled: 1-line block ×4, first 2 shown]
	s_wait_dscnt 0x2
	v_add_f64_e32 v[4:5], v[4:5], v[6:7]
	v_cndmask_b32_e64 v6, 0, 2, s0
	s_wait_dscnt 0x0
	v_add_f64_e32 v[2:3], v[2:3], v[10:11]
	v_cmp_gt_u32_e64 s0, 28, v1
	s_delay_alu instid0(VALU_DEP_3)
	v_add_lshl_u32 v9, v6, v1, 2
	ds_bpermute_b32 v6, v9, v4
	ds_bpermute_b32 v7, v9, v5
	;; [unrolled: 1-line block ×4, first 2 shown]
	s_wait_dscnt 0x2
	v_add_f64_e32 v[4:5], v[4:5], v[6:7]
	v_cndmask_b32_e64 v6, 0, 4, s0
	s_wait_dscnt 0x0
	v_add_f64_e32 v[2:3], v[2:3], v[10:11]
	v_cmp_gt_u32_e64 s0, 24, v1
	s_delay_alu instid0(VALU_DEP_3)
	v_add_lshl_u32 v9, v6, v1, 2
	ds_bpermute_b32 v6, v9, v4
	ds_bpermute_b32 v7, v9, v5
	;; [unrolled: 1-line block ×4, first 2 shown]
	s_wait_dscnt 0x2
	v_add_f64_e32 v[4:5], v[4:5], v[6:7]
	v_cndmask_b32_e64 v6, 0, 8, s0
	s_wait_dscnt 0x0
	v_add_f64_e32 v[2:3], v[2:3], v[10:11]
	s_delay_alu instid0(VALU_DEP_2)
	v_add_lshl_u32 v9, v6, v1, 2
	v_lshl_or_b32 v1, v1, 2, 64
	ds_bpermute_b32 v6, v9, v4
	ds_bpermute_b32 v7, v9, v5
	;; [unrolled: 1-line block ×4, first 2 shown]
	s_wait_dscnt 0x2
	v_add_f64_e32 v[4:5], v[4:5], v[6:7]
	s_wait_dscnt 0x0
	v_add_f64_e32 v[6:7], v[2:3], v[10:11]
	ds_bpermute_b32 v2, v1, v4
	ds_bpermute_b32 v3, v1, v5
	;; [unrolled: 1-line block ×4, first 2 shown]
	s_wait_dscnt 0x2
	v_dual_add_f64 v[2:3], v[4:5], v[2:3] :: v_dual_bitop2_b32 v1, 31, v0 bitop3:0x40
	s_wait_dscnt 0x0
	v_add_f64_e32 v[4:5], v[6:7], v[10:11]
	s_delay_alu instid0(VALU_DEP_2)
	v_cmpx_eq_u32_e32 0, v1
; %bb.7:
	v_lshrrev_b32_e32 v1, 1, v0
	s_delay_alu instid0(VALU_DEP_1)
	v_add_nc_u32_e32 v1, 0, v1
	ds_store_2addr_b64 v1, v[2:3], v[4:5] offset1:1
; %bb.8:
	s_or_b32 exec_lo, exec_lo, s1
	s_delay_alu instid0(SALU_CYCLE_1)
	s_mov_b32 s1, exec_lo
	s_wait_dscnt 0x0
	s_barrier_signal -1
	s_barrier_wait -1
	v_cmpx_eq_u32_e32 0, v0
	s_cbranch_execz .LBB114_10
; %bb.9:
	v_mov_b32_e32 v1, 0
	ds_load_2addr_b64 v[10:13], v1 offset0:2 offset1:3
	ds_load_2addr_b64 v[14:17], v1 offset0:4 offset1:5
	s_wait_dscnt 0x1
	v_add_f64_e32 v[2:3], v[2:3], v[10:11]
	v_add_f64_e32 v[4:5], v[4:5], v[12:13]
	s_wait_dscnt 0x0
	s_delay_alu instid0(VALU_DEP_2) | instskip(NEXT) | instid1(VALU_DEP_2)
	v_add_f64_e32 v[6:7], v[2:3], v[14:15]
	v_add_f64_e32 v[14:15], v[4:5], v[16:17]
	ds_load_2addr_b64 v[2:5], v1 offset0:6 offset1:7
	ds_load_2addr_b64 v[10:13], v1 offset0:8 offset1:9
	s_wait_dscnt 0x1
	v_add_f64_e32 v[2:3], v[6:7], v[2:3]
	v_add_f64_e32 v[4:5], v[14:15], v[4:5]
	s_wait_dscnt 0x0
	s_delay_alu instid0(VALU_DEP_2) | instskip(NEXT) | instid1(VALU_DEP_2)
	v_add_f64_e32 v[6:7], v[2:3], v[10:11]
	v_add_f64_e32 v[14:15], v[4:5], v[12:13]
	;; [unrolled: 9-line block ×15, first 2 shown]
	ds_load_2addr_b64 v[2:5], v1 offset0:62 offset1:63
	s_wait_dscnt 0x0
	v_add_f64_e32 v[2:3], v[6:7], v[2:3]
	v_add_f64_e32 v[4:5], v[10:11], v[4:5]
	ds_store_2addr_b64 v1, v[2:3], v[4:5] offset1:1
.LBB114_10:
	s_or_b32 exec_lo, exec_lo, s1
	s_wait_dscnt 0x0
	s_barrier_signal -1
	s_barrier_wait -1
	s_and_saveexec_b32 s0, vcc_lo
	s_cbranch_execz .LBB114_13
; %bb.11:
	s_mul_u64 s[0:1], s[8:9], s[16:17]
	s_lshl_b64 s[2:3], s[2:3], 4
	s_lshl_b64 s[0:1], s[0:1], 4
	s_delay_alu instid0(SALU_CYCLE_1)
	s_add_nc_u64 s[0:1], s[6:7], s[0:1]
	s_load_b128 s[4:7], s[0:1], 0x0
	v_mov_b32_e32 v1, 0
	s_wait_xcnt 0x0
	s_mov_b32 s1, 0
	s_lshl_b32 s0, s18, 4
	s_delay_alu instid0(SALU_CYCLE_1)
	s_add_nc_u64 s[8:9], s[10:11], s[0:1]
	ds_load_2addr_b64 v[4:7], v1 offset1:1
	s_wait_dscnt 0x0
	s_wait_kmcnt 0x0
	v_mul_f64_e32 v[2:3], s[4:5], v[4:5]
	v_mul_f64_e32 v[10:11], s[4:5], v[6:7]
	s_ashr_i32 s5, s14, 31
	s_mov_b32 s4, s14
	s_delay_alu instid0(SALU_CYCLE_1) | instskip(SKIP_1) | instid1(VALU_DEP_4)
	v_mul_u64_e32 v[12:13], s[4:5], v[0:1]
	v_add3_u32 v1, v8, 0, 0x200
	v_fma_f64 v[2:3], s[6:7], v[6:7], -v[2:3]
	s_delay_alu instid0(VALU_DEP_4) | instskip(SKIP_1) | instid1(SALU_CYCLE_1)
	v_fma_f64 v[4:5], v[4:5], -s[6:7], -v[10:11]
	s_lshl_b64 s[6:7], s[12:13], 4
	s_add_nc_u64 s[6:7], s[8:9], s[6:7]
	s_delay_alu instid0(SALU_CYCLE_1)
	s_add_nc_u64 s[2:3], s[6:7], s[2:3]
	s_delay_alu instid0(VALU_DEP_4) | instid1(SALU_CYCLE_1)
	v_lshl_add_u64 v[6:7], v[12:13], 4, s[2:3]
	s_lshl_b64 s[2:3], s[4:5], 14
	s_delay_alu instid0(VALU_DEP_1)
	v_add_nc_u64_e32 v[6:7], 8, v[6:7]
.LBB114_12:                             ; =>This Inner Loop Header: Depth=1
	global_load_b128 v[8:11], v[6:7], off offset:-8
	ds_load_2addr_b64 v[12:15], v1 offset1:1
	v_add_nc_u32_e32 v0, 0x400, v0
	v_add_nc_u32_e32 v1, 0x4000, v1
	s_delay_alu instid0(VALU_DEP_2) | instskip(SKIP_4) | instid1(VALU_DEP_2)
	v_cmp_le_i32_e32 vcc_lo, s15, v0
	s_or_b32 s1, vcc_lo, s1
	s_wait_dscnt 0x0
	v_mul_f64_e32 v[16:17], v[4:5], v[14:15]
	v_mul_f64_e32 v[14:15], v[2:3], v[14:15]
	v_fmac_f64_e32 v[16:17], v[2:3], v[12:13]
	s_delay_alu instid0(VALU_DEP_2) | instskip(SKIP_1) | instid1(VALU_DEP_2)
	v_fma_f64 v[12:13], v[4:5], v[12:13], -v[14:15]
	s_wait_loadcnt 0x0
	v_add_f64_e32 v[8:9], v[8:9], v[16:17]
	s_delay_alu instid0(VALU_DEP_2)
	v_add_f64_e32 v[10:11], v[12:13], v[10:11]
	global_store_b128 v[6:7], v[8:11], off offset:-8
	s_wait_xcnt 0x0
	v_add_nc_u64_e32 v[6:7], s[2:3], v[6:7]
	s_and_not1_b32 exec_lo, exec_lo, s1
	s_cbranch_execnz .LBB114_12
.LBB114_13:
	s_endpgm
	.section	.rodata,"a",@progbits
	.p2align	6, 0x0
	.amdhsa_kernel _ZN9rocsolver6v33100L17larf_right_kernelILi1024E19rocblas_complex_numIdEiPS3_EEvT1_S5_T2_lS5_lPKT0_lS6_lS5_l
		.amdhsa_group_segment_fixed_size 0
		.amdhsa_private_segment_fixed_size 0
		.amdhsa_kernarg_size 88
		.amdhsa_user_sgpr_count 2
		.amdhsa_user_sgpr_dispatch_ptr 0
		.amdhsa_user_sgpr_queue_ptr 0
		.amdhsa_user_sgpr_kernarg_segment_ptr 1
		.amdhsa_user_sgpr_dispatch_id 0
		.amdhsa_user_sgpr_kernarg_preload_length 0
		.amdhsa_user_sgpr_kernarg_preload_offset 0
		.amdhsa_user_sgpr_private_segment_size 0
		.amdhsa_wavefront_size32 1
		.amdhsa_uses_dynamic_stack 0
		.amdhsa_enable_private_segment 0
		.amdhsa_system_sgpr_workgroup_id_x 1
		.amdhsa_system_sgpr_workgroup_id_y 1
		.amdhsa_system_sgpr_workgroup_id_z 1
		.amdhsa_system_sgpr_workgroup_info 0
		.amdhsa_system_vgpr_workitem_id 0
		.amdhsa_next_free_vgpr 20
		.amdhsa_next_free_sgpr 26
		.amdhsa_named_barrier_count 0
		.amdhsa_reserve_vcc 1
		.amdhsa_float_round_mode_32 0
		.amdhsa_float_round_mode_16_64 0
		.amdhsa_float_denorm_mode_32 3
		.amdhsa_float_denorm_mode_16_64 3
		.amdhsa_fp16_overflow 0
		.amdhsa_memory_ordered 1
		.amdhsa_forward_progress 1
		.amdhsa_inst_pref_size 16
		.amdhsa_round_robin_scheduling 0
		.amdhsa_exception_fp_ieee_invalid_op 0
		.amdhsa_exception_fp_denorm_src 0
		.amdhsa_exception_fp_ieee_div_zero 0
		.amdhsa_exception_fp_ieee_overflow 0
		.amdhsa_exception_fp_ieee_underflow 0
		.amdhsa_exception_fp_ieee_inexact 0
		.amdhsa_exception_int_div_zero 0
	.end_amdhsa_kernel
	.section	.text._ZN9rocsolver6v33100L17larf_right_kernelILi1024E19rocblas_complex_numIdEiPS3_EEvT1_S5_T2_lS5_lPKT0_lS6_lS5_l,"axG",@progbits,_ZN9rocsolver6v33100L17larf_right_kernelILi1024E19rocblas_complex_numIdEiPS3_EEvT1_S5_T2_lS5_lPKT0_lS6_lS5_l,comdat
.Lfunc_end114:
	.size	_ZN9rocsolver6v33100L17larf_right_kernelILi1024E19rocblas_complex_numIdEiPS3_EEvT1_S5_T2_lS5_lPKT0_lS6_lS5_l, .Lfunc_end114-_ZN9rocsolver6v33100L17larf_right_kernelILi1024E19rocblas_complex_numIdEiPS3_EEvT1_S5_T2_lS5_lPKT0_lS6_lS5_l
                                        ; -- End function
	.set _ZN9rocsolver6v33100L17larf_right_kernelILi1024E19rocblas_complex_numIdEiPS3_EEvT1_S5_T2_lS5_lPKT0_lS6_lS5_l.num_vgpr, 20
	.set _ZN9rocsolver6v33100L17larf_right_kernelILi1024E19rocblas_complex_numIdEiPS3_EEvT1_S5_T2_lS5_lPKT0_lS6_lS5_l.num_agpr, 0
	.set _ZN9rocsolver6v33100L17larf_right_kernelILi1024E19rocblas_complex_numIdEiPS3_EEvT1_S5_T2_lS5_lPKT0_lS6_lS5_l.numbered_sgpr, 26
	.set _ZN9rocsolver6v33100L17larf_right_kernelILi1024E19rocblas_complex_numIdEiPS3_EEvT1_S5_T2_lS5_lPKT0_lS6_lS5_l.num_named_barrier, 0
	.set _ZN9rocsolver6v33100L17larf_right_kernelILi1024E19rocblas_complex_numIdEiPS3_EEvT1_S5_T2_lS5_lPKT0_lS6_lS5_l.private_seg_size, 0
	.set _ZN9rocsolver6v33100L17larf_right_kernelILi1024E19rocblas_complex_numIdEiPS3_EEvT1_S5_T2_lS5_lPKT0_lS6_lS5_l.uses_vcc, 1
	.set _ZN9rocsolver6v33100L17larf_right_kernelILi1024E19rocblas_complex_numIdEiPS3_EEvT1_S5_T2_lS5_lPKT0_lS6_lS5_l.uses_flat_scratch, 0
	.set _ZN9rocsolver6v33100L17larf_right_kernelILi1024E19rocblas_complex_numIdEiPS3_EEvT1_S5_T2_lS5_lPKT0_lS6_lS5_l.has_dyn_sized_stack, 0
	.set _ZN9rocsolver6v33100L17larf_right_kernelILi1024E19rocblas_complex_numIdEiPS3_EEvT1_S5_T2_lS5_lPKT0_lS6_lS5_l.has_recursion, 0
	.set _ZN9rocsolver6v33100L17larf_right_kernelILi1024E19rocblas_complex_numIdEiPS3_EEvT1_S5_T2_lS5_lPKT0_lS6_lS5_l.has_indirect_call, 0
	.section	.AMDGPU.csdata,"",@progbits
; Kernel info:
; codeLenInByte = 2004
; TotalNumSgprs: 28
; NumVgprs: 20
; ScratchSize: 0
; MemoryBound: 0
; FloatMode: 240
; IeeeMode: 1
; LDSByteSize: 0 bytes/workgroup (compile time only)
; SGPRBlocks: 0
; VGPRBlocks: 1
; NumSGPRsForWavesPerEU: 28
; NumVGPRsForWavesPerEU: 20
; NamedBarCnt: 0
; Occupancy: 16
; WaveLimiterHint : 0
; COMPUTE_PGM_RSRC2:SCRATCH_EN: 0
; COMPUTE_PGM_RSRC2:USER_SGPR: 2
; COMPUTE_PGM_RSRC2:TRAP_HANDLER: 0
; COMPUTE_PGM_RSRC2:TGID_X_EN: 1
; COMPUTE_PGM_RSRC2:TGID_Y_EN: 1
; COMPUTE_PGM_RSRC2:TGID_Z_EN: 1
; COMPUTE_PGM_RSRC2:TIDIG_COMP_CNT: 0
	.section	.text._ZN9rocsolver6v33100L12restore_diagI19rocblas_complex_numIdEidPS3_EEvPT1_llT2_lT0_lS8_,"axG",@progbits,_ZN9rocsolver6v33100L12restore_diagI19rocblas_complex_numIdEidPS3_EEvPT1_llT2_lT0_lS8_,comdat
	.globl	_ZN9rocsolver6v33100L12restore_diagI19rocblas_complex_numIdEidPS3_EEvPT1_llT2_lT0_lS8_ ; -- Begin function _ZN9rocsolver6v33100L12restore_diagI19rocblas_complex_numIdEidPS3_EEvPT1_llT2_lT0_lS8_
	.p2align	8
	.type	_ZN9rocsolver6v33100L12restore_diagI19rocblas_complex_numIdEidPS3_EEvPT1_llT2_lT0_lS8_,@function
_ZN9rocsolver6v33100L12restore_diagI19rocblas_complex_numIdEidPS3_EEvPT1_llT2_lT0_lS8_: ; @_ZN9rocsolver6v33100L12restore_diagI19rocblas_complex_numIdEidPS3_EEvPT1_llT2_lT0_lS8_
; %bb.0:
	s_clause 0x1
	s_load_u16 s3, s[0:1], 0x4e
	s_load_b32 s4, s[0:1], 0x38
	s_bfe_u32 s2, ttmp6, 0x40010
	s_bfe_u32 s5, ttmp6, 0x40004
	s_add_co_i32 s2, s2, 1
	v_bfe_u32 v0, v0, 10, 10
	s_mul_i32 s2, ttmp7, s2
	s_delay_alu instid0(SALU_CYCLE_1) | instskip(SKIP_1) | instid1(SALU_CYCLE_1)
	s_add_co_i32 s5, s5, s2
	s_getreg_b32 s2, hwreg(HW_REG_IB_STS2, 6, 4)
	s_cmp_eq_u32 s2, 0
	s_cselect_b32 s5, ttmp7, s5
	s_wait_kmcnt 0x0
	v_mad_u32 v0, s5, s3, v0
	s_mov_b32 s3, exec_lo
	s_delay_alu instid0(VALU_DEP_1)
	v_cmpx_gt_i32_e64 s4, v0
	s_cbranch_execz .LBB115_2
; %bb.1:
	s_load_b256 s[4:11], s[0:1], 0x0
	s_bfe_u32 s3, ttmp6, 0x4000c
	s_and_b32 s12, ttmp6, 15
	s_add_co_i32 s3, s3, 1
	v_mov_b32_e32 v4, 0
	s_mul_i32 s3, ttmp9, s3
	s_delay_alu instid0(SALU_CYCLE_1) | instskip(SKIP_1) | instid1(VALU_DEP_1)
	s_add_co_i32 s12, s12, s3
	s_cmp_eq_u32 s2, 0
	v_mov_b32_e32 v5, v4
	s_cselect_b32 s2, ttmp9, s12
	s_delay_alu instid0(SALU_CYCLE_1) | instskip(SKIP_4) | instid1(SALU_CYCLE_1)
	s_ashr_i32 s3, s2, 31
	s_wait_kmcnt 0x0
	s_mul_u64 s[8:9], s[8:9], s[2:3]
	s_lshl_b64 s[6:7], s[6:7], 3
	s_lshl_b64 s[8:9], s[8:9], 3
	s_add_nc_u64 s[4:5], s[4:5], s[8:9]
	s_delay_alu instid0(SALU_CYCLE_1)
	s_add_nc_u64 s[4:5], s[4:5], s[6:7]
	global_load_b64 v[2:3], v0, s[4:5] scale_offset
	s_clause 0x1
	s_load_b64 s[8:9], s[0:1], 0x30
	s_load_b96 s[4:6], s[0:1], 0x20
	s_wait_kmcnt 0x0
	s_mul_u64 s[0:1], s[8:9], s[2:3]
	v_mad_u32 v0, v0, s6, v0
	s_lshl_b64 s[0:1], s[0:1], 4
	s_lshl_b64 s[2:3], s[4:5], 4
	s_add_nc_u64 s[0:1], s[10:11], s[0:1]
	s_delay_alu instid0(SALU_CYCLE_1)
	s_add_nc_u64 s[0:1], s[0:1], s[2:3]
	s_wait_loadcnt 0x0
	global_store_b128 v0, v[2:5], s[0:1] scale_offset
.LBB115_2:
	s_endpgm
	.section	.rodata,"a",@progbits
	.p2align	6, 0x0
	.amdhsa_kernel _ZN9rocsolver6v33100L12restore_diagI19rocblas_complex_numIdEidPS3_EEvPT1_llT2_lT0_lS8_
		.amdhsa_group_segment_fixed_size 0
		.amdhsa_private_segment_fixed_size 0
		.amdhsa_kernarg_size 320
		.amdhsa_user_sgpr_count 2
		.amdhsa_user_sgpr_dispatch_ptr 0
		.amdhsa_user_sgpr_queue_ptr 0
		.amdhsa_user_sgpr_kernarg_segment_ptr 1
		.amdhsa_user_sgpr_dispatch_id 0
		.amdhsa_user_sgpr_kernarg_preload_length 0
		.amdhsa_user_sgpr_kernarg_preload_offset 0
		.amdhsa_user_sgpr_private_segment_size 0
		.amdhsa_wavefront_size32 1
		.amdhsa_uses_dynamic_stack 0
		.amdhsa_enable_private_segment 0
		.amdhsa_system_sgpr_workgroup_id_x 1
		.amdhsa_system_sgpr_workgroup_id_y 1
		.amdhsa_system_sgpr_workgroup_id_z 0
		.amdhsa_system_sgpr_workgroup_info 0
		.amdhsa_system_vgpr_workitem_id 1
		.amdhsa_next_free_vgpr 6
		.amdhsa_next_free_sgpr 13
		.amdhsa_named_barrier_count 0
		.amdhsa_reserve_vcc 0
		.amdhsa_float_round_mode_32 0
		.amdhsa_float_round_mode_16_64 0
		.amdhsa_float_denorm_mode_32 3
		.amdhsa_float_denorm_mode_16_64 3
		.amdhsa_fp16_overflow 0
		.amdhsa_memory_ordered 1
		.amdhsa_forward_progress 1
		.amdhsa_inst_pref_size 3
		.amdhsa_round_robin_scheduling 0
		.amdhsa_exception_fp_ieee_invalid_op 0
		.amdhsa_exception_fp_denorm_src 0
		.amdhsa_exception_fp_ieee_div_zero 0
		.amdhsa_exception_fp_ieee_overflow 0
		.amdhsa_exception_fp_ieee_underflow 0
		.amdhsa_exception_fp_ieee_inexact 0
		.amdhsa_exception_int_div_zero 0
	.end_amdhsa_kernel
	.section	.text._ZN9rocsolver6v33100L12restore_diagI19rocblas_complex_numIdEidPS3_EEvPT1_llT2_lT0_lS8_,"axG",@progbits,_ZN9rocsolver6v33100L12restore_diagI19rocblas_complex_numIdEidPS3_EEvPT1_llT2_lT0_lS8_,comdat
.Lfunc_end115:
	.size	_ZN9rocsolver6v33100L12restore_diagI19rocblas_complex_numIdEidPS3_EEvPT1_llT2_lT0_lS8_, .Lfunc_end115-_ZN9rocsolver6v33100L12restore_diagI19rocblas_complex_numIdEidPS3_EEvPT1_llT2_lT0_lS8_
                                        ; -- End function
	.set _ZN9rocsolver6v33100L12restore_diagI19rocblas_complex_numIdEidPS3_EEvPT1_llT2_lT0_lS8_.num_vgpr, 6
	.set _ZN9rocsolver6v33100L12restore_diagI19rocblas_complex_numIdEidPS3_EEvPT1_llT2_lT0_lS8_.num_agpr, 0
	.set _ZN9rocsolver6v33100L12restore_diagI19rocblas_complex_numIdEidPS3_EEvPT1_llT2_lT0_lS8_.numbered_sgpr, 13
	.set _ZN9rocsolver6v33100L12restore_diagI19rocblas_complex_numIdEidPS3_EEvPT1_llT2_lT0_lS8_.num_named_barrier, 0
	.set _ZN9rocsolver6v33100L12restore_diagI19rocblas_complex_numIdEidPS3_EEvPT1_llT2_lT0_lS8_.private_seg_size, 0
	.set _ZN9rocsolver6v33100L12restore_diagI19rocblas_complex_numIdEidPS3_EEvPT1_llT2_lT0_lS8_.uses_vcc, 0
	.set _ZN9rocsolver6v33100L12restore_diagI19rocblas_complex_numIdEidPS3_EEvPT1_llT2_lT0_lS8_.uses_flat_scratch, 0
	.set _ZN9rocsolver6v33100L12restore_diagI19rocblas_complex_numIdEidPS3_EEvPT1_llT2_lT0_lS8_.has_dyn_sized_stack, 0
	.set _ZN9rocsolver6v33100L12restore_diagI19rocblas_complex_numIdEidPS3_EEvPT1_llT2_lT0_lS8_.has_recursion, 0
	.set _ZN9rocsolver6v33100L12restore_diagI19rocblas_complex_numIdEidPS3_EEvPT1_llT2_lT0_lS8_.has_indirect_call, 0
	.section	.AMDGPU.csdata,"",@progbits
; Kernel info:
; codeLenInByte = 280
; TotalNumSgprs: 13
; NumVgprs: 6
; ScratchSize: 0
; MemoryBound: 0
; FloatMode: 240
; IeeeMode: 1
; LDSByteSize: 0 bytes/workgroup (compile time only)
; SGPRBlocks: 0
; VGPRBlocks: 0
; NumSGPRsForWavesPerEU: 13
; NumVGPRsForWavesPerEU: 6
; NamedBarCnt: 0
; Occupancy: 16
; WaveLimiterHint : 0
; COMPUTE_PGM_RSRC2:SCRATCH_EN: 0
; COMPUTE_PGM_RSRC2:USER_SGPR: 2
; COMPUTE_PGM_RSRC2:TRAP_HANDLER: 0
; COMPUTE_PGM_RSRC2:TGID_X_EN: 1
; COMPUTE_PGM_RSRC2:TGID_Y_EN: 1
; COMPUTE_PGM_RSRC2:TGID_Z_EN: 0
; COMPUTE_PGM_RSRC2:TIDIG_COMP_CNT: 1
	.section	.text._ZN9rocsolver6v33100L14set_triangularI19rocblas_complex_numIdEPS3_TnNSt9enable_ifIX18rocblas_is_complexIT_EEiE4typeELi0EEEviiT0_iilPS6_lSA_il15rocblas_direct_15rocblas_storev_b,"axG",@progbits,_ZN9rocsolver6v33100L14set_triangularI19rocblas_complex_numIdEPS3_TnNSt9enable_ifIX18rocblas_is_complexIT_EEiE4typeELi0EEEviiT0_iilPS6_lSA_il15rocblas_direct_15rocblas_storev_b,comdat
	.globl	_ZN9rocsolver6v33100L14set_triangularI19rocblas_complex_numIdEPS3_TnNSt9enable_ifIX18rocblas_is_complexIT_EEiE4typeELi0EEEviiT0_iilPS6_lSA_il15rocblas_direct_15rocblas_storev_b ; -- Begin function _ZN9rocsolver6v33100L14set_triangularI19rocblas_complex_numIdEPS3_TnNSt9enable_ifIX18rocblas_is_complexIT_EEiE4typeELi0EEEviiT0_iilPS6_lSA_il15rocblas_direct_15rocblas_storev_b
	.p2align	8
	.type	_ZN9rocsolver6v33100L14set_triangularI19rocblas_complex_numIdEPS3_TnNSt9enable_ifIX18rocblas_is_complexIT_EEiE4typeELi0EEEviiT0_iilPS6_lSA_il15rocblas_direct_15rocblas_storev_b,@function
_ZN9rocsolver6v33100L14set_triangularI19rocblas_complex_numIdEPS3_TnNSt9enable_ifIX18rocblas_is_complexIT_EEiE4typeELi0EEEviiT0_iilPS6_lSA_il15rocblas_direct_15rocblas_storev_b: ; @_ZN9rocsolver6v33100L14set_triangularI19rocblas_complex_numIdEPS3_TnNSt9enable_ifIX18rocblas_is_complexIT_EEiE4typeELi0EEEviiT0_iilPS6_lSA_il15rocblas_direct_15rocblas_storev_b
; %bb.0:
	s_clause 0x1
	s_load_b32 s2, s[0:1], 0x64
	s_load_b64 s[18:19], s[0:1], 0x0
	s_bfe_u32 s5, ttmp6, 0x40010
	s_bfe_u32 s8, ttmp6, 0x4000c
	s_and_b32 s4, ttmp7, 0xffff
	s_add_co_i32 s5, s5, 1
	s_add_co_i32 s8, s8, 1
	s_bfe_u32 s6, ttmp6, 0x40004
	s_and_b32 s7, ttmp6, 15
	s_mul_i32 s5, s4, s5
	s_mul_i32 s8, ttmp9, s8
	s_getreg_b32 s3, hwreg(HW_REG_IB_STS2, 6, 4)
	v_and_b32_e32 v1, 0x3ff, v0
	v_bfe_u32 v0, v0, 10, 10
	s_add_co_i32 s6, s6, s5
	s_add_co_i32 s7, s7, s8
	s_mov_b32 s21, 0
	s_wait_kmcnt 0x0
	s_lshr_b32 s5, s2, 16
	s_and_b32 s2, s2, 0xffff
	s_cmp_eq_u32 s3, 0
	s_cselect_b32 s7, ttmp9, s7
	s_cselect_b32 s4, s4, s6
	v_mad_u32 v6, s7, s2, v1
	v_mad_u32 v0, s4, s5, v0
	s_mov_b32 s2, exec_lo
	s_delay_alu instid0(VALU_DEP_1) | instskip(NEXT) | instid1(VALU_DEP_1)
	v_max_u32_e32 v1, v6, v0
	v_cmpx_gt_u32_e64 s19, v1
	s_cbranch_execz .LBB116_36
; %bb.1:
	s_clause 0x2
	s_load_b256 s[4:11], s[0:1], 0x18
	s_load_b64 s[12:13], s[0:1], 0x40
	s_load_b32 s2, s[0:1], 0x38
	s_bfe_u32 s14, ttmp6, 0x40014
	s_lshr_b32 s15, ttmp7, 16
	s_add_co_i32 s14, s14, 1
	s_bfe_u32 s16, ttmp6, 0x40008
	s_mul_i32 s14, s15, s14
	s_delay_alu instid0(SALU_CYCLE_1)
	s_add_co_i32 s16, s16, s14
	s_cmp_eq_u32 s3, 0
	s_mov_b32 s3, exec_lo
	s_cselect_b32 s20, s15, s16
	s_wait_kmcnt 0x0
	s_mul_u64 s[8:9], s[8:9], s[20:21]
	s_mul_u64 s[12:13], s[12:13], s[20:21]
	s_lshl_b64 s[8:9], s[8:9], 4
	s_lshl_b64 s[12:13], s[12:13], 4
	s_add_nc_u64 s[16:17], s[6:7], s[8:9]
	s_add_nc_u64 s[6:7], s[10:11], s[12:13]
	v_cmpx_ne_u32_e64 v0, v6
	s_xor_b32 s15, exec_lo, s3
	s_cbranch_execz .LBB116_34
; %bb.2:
	s_clause 0x1
	s_load_b128 s[8:11], s[0:1], 0x8
	s_load_b96 s[12:14], s[0:1], 0x48
	s_wait_xcnt 0x0
	s_mul_u64 s[0:1], s[4:5], s[20:21]
	v_mov_b32_e32 v7, 0
	s_lshl_b64 s[0:1], s[0:1], 4
	s_wait_kmcnt 0x0
	s_ashr_i32 s5, s10, 31
	s_mov_b32 s4, s10
	s_add_nc_u64 s[0:1], s[8:9], s[0:1]
	s_lshl_b64 s[4:5], s[4:5], 4
	s_bitcmp1_b32 s14, 0
	s_add_nc_u64 s[0:1], s[0:1], s[4:5]
	s_cselect_b32 s3, -1, 0
	s_delay_alu instid0(SALU_CYCLE_1)
	s_xor_b32 s4, s3, -1
	s_cmp_lg_u32 s12, 0xab
	s_mov_b32 s3, -1
	s_cbranch_scc0 .LBB116_18
; %bb.3:
	s_mov_b32 s3, exec_lo
	v_cmpx_le_u32_e64 v0, v6
	s_xor_b32 s5, exec_lo, s3
	s_cbranch_execz .LBB116_5
; %bb.4:
	s_ashr_i32 s3, s2, 31
	v_mov_b32_e32 v1, 0
	v_mul_u64_e32 v[2:3], s[2:3], v[6:7]
	s_delay_alu instid0(VALU_DEP_2) | instskip(NEXT) | instid1(VALU_DEP_2)
	v_dual_mov_b32 v4, v1 :: v_dual_mov_b32 v5, v1
	v_lshl_add_u64 v[8:9], v[2:3], 4, s[6:7]
	v_dual_mov_b32 v2, v1 :: v_dual_mov_b32 v3, v1
	s_delay_alu instid0(VALU_DEP_2)
	v_lshl_add_u64 v[8:9], v[0:1], 4, v[8:9]
	global_store_b128 v[8:9], v[2:5], off
.LBB116_5:
	s_wait_xcnt 0x0
	s_and_not1_saveexec_b32 s5, s5
	s_cbranch_execz .LBB116_17
; %bb.6:
	v_lshl_add_u64 v[2:3], v[6:7], 4, s[16:17]
	s_cmp_lg_u32 s13, 0xb5
	s_mov_b32 s3, -1
	global_load_b128 v[2:5], v[2:3], off
	s_cbranch_scc0 .LBB116_12
; %bb.7:
	v_mov_b32_e32 v1, 0
	s_and_not1_b32 vcc_lo, exec_lo, s4
	s_delay_alu instid0(VALU_DEP_1)
	v_lshlrev_b64_e32 v[8:9], 4, v[0:1]
	s_cbranch_vccnz .LBB116_9
; %bb.8:
	s_sub_co_i32 s3, s18, s19
	s_delay_alu instid0(SALU_CYCLE_1) | instskip(SKIP_3) | instid1(SALU_CYCLE_1)
	v_dual_mov_b32 v11, v1 :: v_dual_add_nc_u32 v10, s3, v6
	s_ashr_i32 s9, s11, 31
	s_mov_b32 s8, s11
	s_ashr_i32 s3, s2, 31
	v_mul_u64_e32 v[18:19], s[2:3], v[6:7]
	v_mul_u64_e32 v[10:11], s[8:9], v[10:11]
	s_mov_b32 s3, 0
	s_delay_alu instid0(VALU_DEP_1) | instskip(NEXT) | instid1(VALU_DEP_1)
	v_lshl_add_u64 v[10:11], v[10:11], 4, s[0:1]
	v_add_nc_u64_e32 v[10:11], v[10:11], v[8:9]
	global_load_b128 v[10:13], v[10:11], off
	s_wait_loadcnt 0x0
	v_mul_f64_e32 v[14:15], v[2:3], v[10:11]
	v_mul_f64_e32 v[16:17], v[2:3], v[12:13]
	s_delay_alu instid0(VALU_DEP_2) | instskip(NEXT) | instid1(VALU_DEP_2)
	v_fma_f64 v[12:13], v[4:5], v[12:13], -v[14:15]
	v_fma_f64 v[14:15], v[10:11], -v[4:5], -v[16:17]
	s_wait_xcnt 0x0
	v_lshl_add_u64 v[10:11], v[18:19], 4, s[6:7]
	s_delay_alu instid0(VALU_DEP_1)
	v_add_nc_u64_e32 v[10:11], v[10:11], v[8:9]
	global_store_b128 v[10:11], v[12:15], off
.LBB116_9:
	s_and_not1_b32 vcc_lo, exec_lo, s3
	s_cbranch_vccnz .LBB116_11
; %bb.10:
	s_sub_co_i32 s3, s18, s19
	s_wait_xcnt 0x0
	v_dual_mov_b32 v11, 0 :: v_dual_add_nc_u32 v10, s3, v6
	s_ashr_i32 s3, s2, 31
	s_ashr_i32 s9, s11, 31
	s_mov_b32 s8, s11
	v_mul_u64_e32 v[12:13], s[2:3], v[6:7]
	v_mul_u64_e32 v[10:11], s[8:9], v[10:11]
	s_delay_alu instid0(VALU_DEP_2) | instskip(NEXT) | instid1(VALU_DEP_2)
	v_lshl_add_u64 v[12:13], v[12:13], 4, s[6:7]
	v_lshl_add_u64 v[10:11], v[10:11], 4, s[0:1]
	s_delay_alu instid0(VALU_DEP_2) | instskip(NEXT) | instid1(VALU_DEP_2)
	v_add_nc_u64_e32 v[16:17], v[12:13], v[8:9]
	v_add_nc_u64_e32 v[18:19], v[10:11], v[8:9]
	global_load_b128 v[8:11], v[16:17], off
	global_load_b128 v[12:15], v[18:19], off
	s_wait_loadcnt 0x0
	v_add_f64_e32 v[12:13], v[12:13], v[8:9]
	v_add_f64_e32 v[8:9], v[14:15], v[10:11]
	s_delay_alu instid0(VALU_DEP_2) | instskip(NEXT) | instid1(VALU_DEP_2)
	v_mul_f64_e32 v[10:11], v[2:3], v[12:13]
	v_mul_f64_e32 v[14:15], v[2:3], v[8:9]
	s_delay_alu instid0(VALU_DEP_2) | instskip(NEXT) | instid1(VALU_DEP_2)
	v_fma_f64 v[8:9], v[4:5], v[8:9], -v[10:11]
	v_fma_f64 v[10:11], v[12:13], -v[4:5], -v[14:15]
	global_store_b128 v[16:17], v[8:11], off
.LBB116_11:
	s_mov_b32 s3, 0
.LBB116_12:
	s_delay_alu instid0(SALU_CYCLE_1)
	s_and_not1_b32 vcc_lo, exec_lo, s3
	s_cbranch_vccnz .LBB116_17
; %bb.13:
	s_and_not1_b32 vcc_lo, exec_lo, s4
	s_mov_b32 s3, -1
	s_cbranch_vccnz .LBB116_15
; %bb.14:
	s_sub_co_i32 s3, s18, s19
	s_wait_xcnt 0x0
	v_dual_mov_b32 v9, 0 :: v_dual_add_nc_u32 v8, s3, v6
	s_ashr_i32 s9, s11, 31
	s_mov_b32 s8, s11
	s_ashr_i32 s3, s2, 31
	s_delay_alu instid0(VALU_DEP_1) | instskip(SKIP_2) | instid1(VALU_DEP_2)
	v_mov_b32_e32 v1, v9
	v_mul_u64_e32 v[16:17], s[2:3], v[6:7]
	s_mov_b32 s3, 0
	v_mul_u64_e32 v[10:11], s[8:9], v[0:1]
	s_delay_alu instid0(VALU_DEP_1) | instskip(NEXT) | instid1(VALU_DEP_1)
	v_lshl_add_u64 v[10:11], v[10:11], 4, s[0:1]
	v_lshl_add_u64 v[8:9], v[8:9], 4, v[10:11]
	global_load_b128 v[8:11], v[8:9], off
	s_wait_loadcnt 0x0
	v_mul_f64_e32 v[12:13], v[4:5], v[10:11]
	v_mul_f64_e32 v[14:15], v[4:5], v[8:9]
	s_wait_xcnt 0x0
	s_delay_alu instid0(VALU_DEP_2) | instskip(NEXT) | instid1(VALU_DEP_2)
	v_fma_f64 v[8:9], v[8:9], -v[2:3], -v[12:13]
	v_fma_f64 v[10:11], v[2:3], v[10:11], -v[14:15]
	v_lshl_add_u64 v[12:13], v[16:17], 4, s[6:7]
	s_delay_alu instid0(VALU_DEP_1)
	v_lshl_add_u64 v[12:13], v[0:1], 4, v[12:13]
	global_store_b128 v[12:13], v[8:11], off
.LBB116_15:
	s_and_not1_b32 vcc_lo, exec_lo, s3
	s_cbranch_vccnz .LBB116_17
; %bb.16:
	s_ashr_i32 s3, s2, 31
	s_ashr_i32 s9, s11, 31
	s_wait_xcnt 0x0
	v_mul_u64_e32 v[8:9], s[2:3], v[6:7]
	s_sub_co_i32 s3, s18, s19
	s_delay_alu instid0(SALU_CYCLE_1)
	v_dual_mov_b32 v1, 0 :: v_dual_add_nc_u32 v12, s3, v6
	s_mov_b32 s8, s11
	s_delay_alu instid0(VALU_DEP_1) | instid1(SALU_CYCLE_1)
	v_mul_u64_e32 v[10:11], s[8:9], v[0:1]
	v_mov_b32_e32 v13, v1
	s_delay_alu instid0(VALU_DEP_4) | instskip(NEXT) | instid1(VALU_DEP_1)
	v_lshl_add_u64 v[8:9], v[8:9], 4, s[6:7]
	v_lshl_add_u64 v[16:17], v[0:1], 4, v[8:9]
	s_delay_alu instid0(VALU_DEP_4) | instskip(NEXT) | instid1(VALU_DEP_1)
	v_lshl_add_u64 v[10:11], v[10:11], 4, s[0:1]
	v_lshl_add_u64 v[18:19], v[12:13], 4, v[10:11]
	global_load_b128 v[8:11], v[16:17], off
	global_load_b128 v[12:15], v[18:19], off
	s_wait_loadcnt 0x0
	v_add_f64_e32 v[8:9], v[12:13], v[8:9]
	v_add_f64_e64 v[10:11], v[10:11], -v[14:15]
	s_delay_alu instid0(VALU_DEP_2) | instskip(NEXT) | instid1(VALU_DEP_2)
	v_mul_f64_e32 v[12:13], v[2:3], v[8:9]
	v_mul_f64_e32 v[14:15], v[2:3], v[10:11]
	s_delay_alu instid0(VALU_DEP_2) | instskip(NEXT) | instid1(VALU_DEP_2)
	v_fma_f64 v[2:3], v[4:5], v[10:11], -v[12:13]
	v_fma_f64 v[4:5], v[8:9], -v[4:5], -v[14:15]
	global_store_b128 v[16:17], v[2:5], off
.LBB116_17:
	s_wait_xcnt 0x0
	s_or_b32 exec_lo, exec_lo, s5
	s_mov_b32 s3, 0
.LBB116_18:
	s_delay_alu instid0(SALU_CYCLE_1)
	s_and_not1_b32 vcc_lo, exec_lo, s3
	s_cbranch_vccnz .LBB116_34
; %bb.19:
	s_mov_b32 s3, exec_lo
	v_cmpx_ge_u32_e64 v0, v6
	s_xor_b32 s5, exec_lo, s3
	s_cbranch_execz .LBB116_21
; %bb.20:
	s_ashr_i32 s3, s2, 31
	v_mov_b32_e32 v1, 0
	s_wait_loadcnt 0x0
	v_mul_u64_e32 v[2:3], s[2:3], v[6:7]
                                        ; implicit-def: $vgpr6_vgpr7
	s_delay_alu instid0(VALU_DEP_1) | instskip(NEXT) | instid1(VALU_DEP_3)
	v_lshl_add_u64 v[4:5], v[2:3], 4, s[6:7]
	v_dual_mov_b32 v2, v1 :: v_dual_mov_b32 v3, v1
	s_delay_alu instid0(VALU_DEP_2)
	v_lshl_add_u64 v[4:5], v[0:1], 4, v[4:5]
	v_mov_b32_e32 v0, v1
	global_store_b128 v[4:5], v[0:3], off
                                        ; implicit-def: $vgpr0
.LBB116_21:
	s_wait_xcnt 0x0
	s_and_not1_saveexec_b32 s5, s5
	s_cbranch_execz .LBB116_33
; %bb.22:
	s_wait_loadcnt 0x0
	v_lshl_add_u64 v[2:3], v[6:7], 4, s[16:17]
	v_cndmask_b32_e64 v1, 0, 1, s4
	s_cmp_lg_u32 s13, 0xb5
	s_mov_b32 s3, -1
	global_load_b128 v[2:5], v[2:3], off
	v_cmp_ne_u32_e32 vcc_lo, 1, v1
	s_cbranch_scc0 .LBB116_28
; %bb.23:
	v_mov_b32_e32 v1, 0
	s_and_b32 vcc_lo, exec_lo, vcc_lo
	s_delay_alu instid0(VALU_DEP_1)
	v_lshlrev_b64_e32 v[8:9], 4, v[0:1]
	s_cbranch_vccnz .LBB116_25
; %bb.24:
	s_ashr_i32 s9, s11, 31
	s_mov_b32 s8, s11
	s_ashr_i32 s3, s2, 31
	v_mul_u64_e32 v[10:11], s[8:9], v[6:7]
	v_mul_u64_e32 v[18:19], s[2:3], v[6:7]
	s_mov_b32 s3, 0
	s_delay_alu instid0(VALU_DEP_2) | instskip(NEXT) | instid1(VALU_DEP_1)
	v_lshl_add_u64 v[10:11], v[10:11], 4, s[0:1]
	v_add_nc_u64_e32 v[10:11], v[10:11], v[8:9]
	global_load_b128 v[10:13], v[10:11], off
	s_wait_loadcnt 0x0
	v_mul_f64_e32 v[14:15], v[2:3], v[10:11]
	v_mul_f64_e32 v[16:17], v[2:3], v[12:13]
	s_delay_alu instid0(VALU_DEP_2) | instskip(NEXT) | instid1(VALU_DEP_2)
	v_fma_f64 v[12:13], v[4:5], v[12:13], -v[14:15]
	v_fma_f64 v[14:15], v[10:11], -v[4:5], -v[16:17]
	s_wait_xcnt 0x0
	v_lshl_add_u64 v[10:11], v[18:19], 4, s[6:7]
	s_delay_alu instid0(VALU_DEP_1)
	v_add_nc_u64_e32 v[10:11], v[10:11], v[8:9]
	global_store_b128 v[10:11], v[12:15], off
.LBB116_25:
	s_and_not1_b32 vcc_lo, exec_lo, s3
	s_cbranch_vccnz .LBB116_27
; %bb.26:
	s_ashr_i32 s9, s11, 31
	s_mov_b32 s8, s11
	s_ashr_i32 s3, s2, 31
	s_wait_xcnt 0x0
	v_mul_u64_e32 v[10:11], s[8:9], v[6:7]
	v_mul_u64_e32 v[12:13], s[2:3], v[6:7]
	s_delay_alu instid0(VALU_DEP_2) | instskip(NEXT) | instid1(VALU_DEP_2)
	v_lshl_add_u64 v[10:11], v[10:11], 4, s[0:1]
	v_lshl_add_u64 v[12:13], v[12:13], 4, s[6:7]
	s_delay_alu instid0(VALU_DEP_2) | instskip(NEXT) | instid1(VALU_DEP_2)
	v_add_nc_u64_e32 v[16:17], v[10:11], v[8:9]
	v_add_nc_u64_e32 v[18:19], v[12:13], v[8:9]
	global_load_b128 v[8:11], v[16:17], off
	global_load_b128 v[12:15], v[18:19], off
	s_wait_loadcnt 0x0
	v_add_f64_e32 v[12:13], v[8:9], v[12:13]
	v_add_f64_e32 v[8:9], v[10:11], v[14:15]
	s_delay_alu instid0(VALU_DEP_2) | instskip(NEXT) | instid1(VALU_DEP_2)
	v_mul_f64_e32 v[10:11], v[2:3], v[12:13]
	v_mul_f64_e32 v[14:15], v[2:3], v[8:9]
	s_delay_alu instid0(VALU_DEP_2) | instskip(NEXT) | instid1(VALU_DEP_2)
	v_fma_f64 v[8:9], v[4:5], v[8:9], -v[10:11]
	v_fma_f64 v[10:11], v[12:13], -v[4:5], -v[14:15]
	global_store_b128 v[18:19], v[8:11], off
.LBB116_27:
	s_mov_b32 s3, 0
.LBB116_28:
	s_delay_alu instid0(SALU_CYCLE_1)
	s_and_not1_b32 vcc_lo, exec_lo, s3
	s_cbranch_vccnz .LBB116_33
; %bb.29:
	v_mov_b32_e32 v1, 0
	s_and_not1_b32 vcc_lo, exec_lo, s4
	s_mov_b32 s3, -1
	s_cbranch_vccnz .LBB116_31
; %bb.30:
	s_ashr_i32 s9, s11, 31
	s_mov_b32 s8, s11
	s_ashr_i32 s3, s2, 31
	s_wait_xcnt 0x0
	v_mul_u64_e32 v[8:9], s[8:9], v[0:1]
	v_mul_u64_e32 v[16:17], s[2:3], v[6:7]
	s_mov_b32 s3, 0
	s_delay_alu instid0(VALU_DEP_2) | instskip(NEXT) | instid1(VALU_DEP_1)
	v_lshl_add_u64 v[8:9], v[8:9], 4, s[0:1]
	v_lshl_add_u64 v[8:9], v[6:7], 4, v[8:9]
	global_load_b128 v[8:11], v[8:9], off
	s_wait_loadcnt 0x0
	v_mul_f64_e32 v[12:13], v[4:5], v[10:11]
	v_mul_f64_e32 v[14:15], v[4:5], v[8:9]
	s_wait_xcnt 0x0
	s_delay_alu instid0(VALU_DEP_2) | instskip(NEXT) | instid1(VALU_DEP_2)
	v_fma_f64 v[8:9], v[8:9], -v[2:3], -v[12:13]
	v_fma_f64 v[10:11], v[2:3], v[10:11], -v[14:15]
	v_lshl_add_u64 v[12:13], v[16:17], 4, s[6:7]
	s_delay_alu instid0(VALU_DEP_1)
	v_lshl_add_u64 v[12:13], v[0:1], 4, v[12:13]
	global_store_b128 v[12:13], v[8:11], off
.LBB116_31:
	s_and_not1_b32 vcc_lo, exec_lo, s3
	s_cbranch_vccnz .LBB116_33
; %bb.32:
	s_ashr_i32 s9, s11, 31
	s_mov_b32 s8, s11
	s_ashr_i32 s3, s2, 31
	s_wait_xcnt 0x0
	v_mul_u64_e32 v[8:9], s[8:9], v[0:1]
	v_mul_u64_e32 v[10:11], s[2:3], v[6:7]
	s_delay_alu instid0(VALU_DEP_2) | instskip(NEXT) | instid1(VALU_DEP_2)
	v_lshl_add_u64 v[8:9], v[8:9], 4, s[0:1]
	v_lshl_add_u64 v[10:11], v[10:11], 4, s[6:7]
	s_delay_alu instid0(VALU_DEP_2) | instskip(NEXT) | instid1(VALU_DEP_2)
	v_lshl_add_u64 v[14:15], v[6:7], 4, v[8:9]
	v_lshl_add_u64 v[16:17], v[0:1], 4, v[10:11]
	global_load_b128 v[6:9], v[14:15], off
	global_load_b128 v[10:13], v[16:17], off
	s_wait_loadcnt 0x0
	v_add_f64_e32 v[6:7], v[6:7], v[10:11]
	v_add_f64_e64 v[0:1], v[12:13], -v[8:9]
	s_delay_alu instid0(VALU_DEP_2) | instskip(NEXT) | instid1(VALU_DEP_2)
	v_mul_f64_e32 v[8:9], v[2:3], v[6:7]
	v_mul_f64_e32 v[2:3], v[2:3], v[0:1]
	s_delay_alu instid0(VALU_DEP_2) | instskip(NEXT) | instid1(VALU_DEP_2)
	v_fma_f64 v[0:1], v[4:5], v[0:1], -v[8:9]
	v_fma_f64 v[2:3], v[6:7], -v[4:5], -v[2:3]
	global_store_b128 v[16:17], v[0:3], off
.LBB116_33:
	s_wait_xcnt 0x0
	s_or_b32 exec_lo, exec_lo, s5
                                        ; implicit-def: $vgpr6
.LBB116_34:
	s_and_not1_saveexec_b32 s0, s15
	s_cbranch_execz .LBB116_36
; %bb.35:
	s_wait_loadcnt 0x0
	global_load_b128 v[0:3], v6, s[16:17] scale_offset
	v_mov_b32_e32 v7, 0
	s_ashr_i32 s3, s2, 31
	s_delay_alu instid0(VALU_DEP_1) | instid1(SALU_CYCLE_1)
	v_mul_u64_e32 v[4:5], s[2:3], v[6:7]
	s_wait_xcnt 0x0
	v_lshlrev_b64_e32 v[6:7], 4, v[6:7]
	s_delay_alu instid0(VALU_DEP_2) | instskip(NEXT) | instid1(VALU_DEP_1)
	v_lshl_add_u64 v[4:5], v[4:5], 4, s[6:7]
	v_add_nc_u64_e32 v[4:5], v[4:5], v[6:7]
	s_wait_loadcnt 0x0
	global_store_b128 v[4:5], v[0:3], off
.LBB116_36:
	s_endpgm
	.section	.rodata,"a",@progbits
	.p2align	6, 0x0
	.amdhsa_kernel _ZN9rocsolver6v33100L14set_triangularI19rocblas_complex_numIdEPS3_TnNSt9enable_ifIX18rocblas_is_complexIT_EEiE4typeELi0EEEviiT0_iilPS6_lSA_il15rocblas_direct_15rocblas_storev_b
		.amdhsa_group_segment_fixed_size 0
		.amdhsa_private_segment_fixed_size 0
		.amdhsa_kernarg_size 344
		.amdhsa_user_sgpr_count 2
		.amdhsa_user_sgpr_dispatch_ptr 0
		.amdhsa_user_sgpr_queue_ptr 0
		.amdhsa_user_sgpr_kernarg_segment_ptr 1
		.amdhsa_user_sgpr_dispatch_id 0
		.amdhsa_user_sgpr_kernarg_preload_length 0
		.amdhsa_user_sgpr_kernarg_preload_offset 0
		.amdhsa_user_sgpr_private_segment_size 0
		.amdhsa_wavefront_size32 1
		.amdhsa_uses_dynamic_stack 0
		.amdhsa_enable_private_segment 0
		.amdhsa_system_sgpr_workgroup_id_x 1
		.amdhsa_system_sgpr_workgroup_id_y 1
		.amdhsa_system_sgpr_workgroup_id_z 1
		.amdhsa_system_sgpr_workgroup_info 0
		.amdhsa_system_vgpr_workitem_id 1
		.amdhsa_next_free_vgpr 20
		.amdhsa_next_free_sgpr 22
		.amdhsa_named_barrier_count 0
		.amdhsa_reserve_vcc 1
		.amdhsa_float_round_mode_32 0
		.amdhsa_float_round_mode_16_64 0
		.amdhsa_float_denorm_mode_32 3
		.amdhsa_float_denorm_mode_16_64 3
		.amdhsa_fp16_overflow 0
		.amdhsa_memory_ordered 1
		.amdhsa_forward_progress 1
		.amdhsa_inst_pref_size 16
		.amdhsa_round_robin_scheduling 0
		.amdhsa_exception_fp_ieee_invalid_op 0
		.amdhsa_exception_fp_denorm_src 0
		.amdhsa_exception_fp_ieee_div_zero 0
		.amdhsa_exception_fp_ieee_overflow 0
		.amdhsa_exception_fp_ieee_underflow 0
		.amdhsa_exception_fp_ieee_inexact 0
		.amdhsa_exception_int_div_zero 0
	.end_amdhsa_kernel
	.section	.text._ZN9rocsolver6v33100L14set_triangularI19rocblas_complex_numIdEPS3_TnNSt9enable_ifIX18rocblas_is_complexIT_EEiE4typeELi0EEEviiT0_iilPS6_lSA_il15rocblas_direct_15rocblas_storev_b,"axG",@progbits,_ZN9rocsolver6v33100L14set_triangularI19rocblas_complex_numIdEPS3_TnNSt9enable_ifIX18rocblas_is_complexIT_EEiE4typeELi0EEEviiT0_iilPS6_lSA_il15rocblas_direct_15rocblas_storev_b,comdat
.Lfunc_end116:
	.size	_ZN9rocsolver6v33100L14set_triangularI19rocblas_complex_numIdEPS3_TnNSt9enable_ifIX18rocblas_is_complexIT_EEiE4typeELi0EEEviiT0_iilPS6_lSA_il15rocblas_direct_15rocblas_storev_b, .Lfunc_end116-_ZN9rocsolver6v33100L14set_triangularI19rocblas_complex_numIdEPS3_TnNSt9enable_ifIX18rocblas_is_complexIT_EEiE4typeELi0EEEviiT0_iilPS6_lSA_il15rocblas_direct_15rocblas_storev_b
                                        ; -- End function
	.set _ZN9rocsolver6v33100L14set_triangularI19rocblas_complex_numIdEPS3_TnNSt9enable_ifIX18rocblas_is_complexIT_EEiE4typeELi0EEEviiT0_iilPS6_lSA_il15rocblas_direct_15rocblas_storev_b.num_vgpr, 20
	.set _ZN9rocsolver6v33100L14set_triangularI19rocblas_complex_numIdEPS3_TnNSt9enable_ifIX18rocblas_is_complexIT_EEiE4typeELi0EEEviiT0_iilPS6_lSA_il15rocblas_direct_15rocblas_storev_b.num_agpr, 0
	.set _ZN9rocsolver6v33100L14set_triangularI19rocblas_complex_numIdEPS3_TnNSt9enable_ifIX18rocblas_is_complexIT_EEiE4typeELi0EEEviiT0_iilPS6_lSA_il15rocblas_direct_15rocblas_storev_b.numbered_sgpr, 22
	.set _ZN9rocsolver6v33100L14set_triangularI19rocblas_complex_numIdEPS3_TnNSt9enable_ifIX18rocblas_is_complexIT_EEiE4typeELi0EEEviiT0_iilPS6_lSA_il15rocblas_direct_15rocblas_storev_b.num_named_barrier, 0
	.set _ZN9rocsolver6v33100L14set_triangularI19rocblas_complex_numIdEPS3_TnNSt9enable_ifIX18rocblas_is_complexIT_EEiE4typeELi0EEEviiT0_iilPS6_lSA_il15rocblas_direct_15rocblas_storev_b.private_seg_size, 0
	.set _ZN9rocsolver6v33100L14set_triangularI19rocblas_complex_numIdEPS3_TnNSt9enable_ifIX18rocblas_is_complexIT_EEiE4typeELi0EEEviiT0_iilPS6_lSA_il15rocblas_direct_15rocblas_storev_b.uses_vcc, 1
	.set _ZN9rocsolver6v33100L14set_triangularI19rocblas_complex_numIdEPS3_TnNSt9enable_ifIX18rocblas_is_complexIT_EEiE4typeELi0EEEviiT0_iilPS6_lSA_il15rocblas_direct_15rocblas_storev_b.uses_flat_scratch, 0
	.set _ZN9rocsolver6v33100L14set_triangularI19rocblas_complex_numIdEPS3_TnNSt9enable_ifIX18rocblas_is_complexIT_EEiE4typeELi0EEEviiT0_iilPS6_lSA_il15rocblas_direct_15rocblas_storev_b.has_dyn_sized_stack, 0
	.set _ZN9rocsolver6v33100L14set_triangularI19rocblas_complex_numIdEPS3_TnNSt9enable_ifIX18rocblas_is_complexIT_EEiE4typeELi0EEEviiT0_iilPS6_lSA_il15rocblas_direct_15rocblas_storev_b.has_recursion, 0
	.set _ZN9rocsolver6v33100L14set_triangularI19rocblas_complex_numIdEPS3_TnNSt9enable_ifIX18rocblas_is_complexIT_EEiE4typeELi0EEEviiT0_iilPS6_lSA_il15rocblas_direct_15rocblas_storev_b.has_indirect_call, 0
	.section	.AMDGPU.csdata,"",@progbits
; Kernel info:
; codeLenInByte = 2040
; TotalNumSgprs: 24
; NumVgprs: 20
; ScratchSize: 0
; MemoryBound: 1
; FloatMode: 240
; IeeeMode: 1
; LDSByteSize: 0 bytes/workgroup (compile time only)
; SGPRBlocks: 0
; VGPRBlocks: 1
; NumSGPRsForWavesPerEU: 24
; NumVGPRsForWavesPerEU: 20
; NamedBarCnt: 0
; Occupancy: 16
; WaveLimiterHint : 0
; COMPUTE_PGM_RSRC2:SCRATCH_EN: 0
; COMPUTE_PGM_RSRC2:USER_SGPR: 2
; COMPUTE_PGM_RSRC2:TRAP_HANDLER: 0
; COMPUTE_PGM_RSRC2:TGID_X_EN: 1
; COMPUTE_PGM_RSRC2:TGID_Y_EN: 1
; COMPUTE_PGM_RSRC2:TGID_Z_EN: 1
; COMPUTE_PGM_RSRC2:TIDIG_COMP_CNT: 1
	.section	.text._ZN9rocsolver6v33100L7set_tauI19rocblas_complex_numIdEEEviPT_l,"axG",@progbits,_ZN9rocsolver6v33100L7set_tauI19rocblas_complex_numIdEEEviPT_l,comdat
	.globl	_ZN9rocsolver6v33100L7set_tauI19rocblas_complex_numIdEEEviPT_l ; -- Begin function _ZN9rocsolver6v33100L7set_tauI19rocblas_complex_numIdEEEviPT_l
	.p2align	8
	.type	_ZN9rocsolver6v33100L7set_tauI19rocblas_complex_numIdEEEviPT_l,@function
_ZN9rocsolver6v33100L7set_tauI19rocblas_complex_numIdEEEviPT_l: ; @_ZN9rocsolver6v33100L7set_tauI19rocblas_complex_numIdEEEviPT_l
; %bb.0:
	s_clause 0x1
	s_load_b32 s3, s[0:1], 0x24
	s_load_b32 s4, s[0:1], 0x0
	s_bfe_u32 s2, ttmp6, 0x4000c
	s_and_b32 s5, ttmp6, 15
	s_add_co_i32 s6, s2, 1
	s_getreg_b32 s2, hwreg(HW_REG_IB_STS2, 6, 4)
	s_mul_i32 s6, ttmp9, s6
	s_delay_alu instid0(SALU_CYCLE_1) | instskip(SKIP_4) | instid1(SALU_CYCLE_1)
	s_add_co_i32 s5, s5, s6
	s_wait_kmcnt 0x0
	s_and_b32 s3, s3, 0xffff
	s_cmp_eq_u32 s2, 0
	s_cselect_b32 s5, ttmp9, s5
	v_mad_u32 v0, s5, s3, v0
	s_mov_b32 s3, 0
	s_delay_alu instid0(VALU_DEP_1)
	v_cmp_gt_u32_e32 vcc_lo, s4, v0
	s_and_saveexec_b32 s4, vcc_lo
	s_cbranch_execz .LBB117_2
; %bb.1:
	s_load_b128 s[4:7], s[0:1], 0x8
	s_wait_xcnt 0x0
	s_bfe_u32 s0, ttmp6, 0x40010
	s_bfe_u32 s1, ttmp6, 0x40004
	s_add_co_i32 s0, s0, 1
	s_delay_alu instid0(SALU_CYCLE_1) | instskip(NEXT) | instid1(SALU_CYCLE_1)
	s_mul_i32 s0, ttmp7, s0
	s_add_co_i32 s1, s1, s0
	s_cmp_eq_u32 s2, 0
	s_cselect_b32 s2, ttmp7, s1
	s_wait_kmcnt 0x0
	s_mul_u64 s[0:1], s[6:7], s[2:3]
	s_delay_alu instid0(SALU_CYCLE_1) | instskip(NEXT) | instid1(SALU_CYCLE_1)
	s_lshl_b64 s[0:1], s[0:1], 4
	s_add_nc_u64 s[0:1], s[4:5], s[0:1]
	global_load_b128 v[2:5], v0, s[0:1] scale_offset
	s_wait_loadcnt 0x0
	v_xor_b32_e32 v3, 0x80000000, v3
	v_xor_b32_e32 v5, 0x80000000, v5
	global_store_b128 v0, v[2:5], s[0:1] scale_offset
.LBB117_2:
	s_endpgm
	.section	.rodata,"a",@progbits
	.p2align	6, 0x0
	.amdhsa_kernel _ZN9rocsolver6v33100L7set_tauI19rocblas_complex_numIdEEEviPT_l
		.amdhsa_group_segment_fixed_size 0
		.amdhsa_private_segment_fixed_size 0
		.amdhsa_kernarg_size 280
		.amdhsa_user_sgpr_count 2
		.amdhsa_user_sgpr_dispatch_ptr 0
		.amdhsa_user_sgpr_queue_ptr 0
		.amdhsa_user_sgpr_kernarg_segment_ptr 1
		.amdhsa_user_sgpr_dispatch_id 0
		.amdhsa_user_sgpr_kernarg_preload_length 0
		.amdhsa_user_sgpr_kernarg_preload_offset 0
		.amdhsa_user_sgpr_private_segment_size 0
		.amdhsa_wavefront_size32 1
		.amdhsa_uses_dynamic_stack 0
		.amdhsa_enable_private_segment 0
		.amdhsa_system_sgpr_workgroup_id_x 1
		.amdhsa_system_sgpr_workgroup_id_y 1
		.amdhsa_system_sgpr_workgroup_id_z 0
		.amdhsa_system_sgpr_workgroup_info 0
		.amdhsa_system_vgpr_workitem_id 0
		.amdhsa_next_free_vgpr 6
		.amdhsa_next_free_sgpr 8
		.amdhsa_named_barrier_count 0
		.amdhsa_reserve_vcc 1
		.amdhsa_float_round_mode_32 0
		.amdhsa_float_round_mode_16_64 0
		.amdhsa_float_denorm_mode_32 3
		.amdhsa_float_denorm_mode_16_64 3
		.amdhsa_fp16_overflow 0
		.amdhsa_memory_ordered 1
		.amdhsa_forward_progress 1
		.amdhsa_inst_pref_size 2
		.amdhsa_round_robin_scheduling 0
		.amdhsa_exception_fp_ieee_invalid_op 0
		.amdhsa_exception_fp_denorm_src 0
		.amdhsa_exception_fp_ieee_div_zero 0
		.amdhsa_exception_fp_ieee_overflow 0
		.amdhsa_exception_fp_ieee_underflow 0
		.amdhsa_exception_fp_ieee_inexact 0
		.amdhsa_exception_int_div_zero 0
	.end_amdhsa_kernel
	.section	.text._ZN9rocsolver6v33100L7set_tauI19rocblas_complex_numIdEEEviPT_l,"axG",@progbits,_ZN9rocsolver6v33100L7set_tauI19rocblas_complex_numIdEEEviPT_l,comdat
.Lfunc_end117:
	.size	_ZN9rocsolver6v33100L7set_tauI19rocblas_complex_numIdEEEviPT_l, .Lfunc_end117-_ZN9rocsolver6v33100L7set_tauI19rocblas_complex_numIdEEEviPT_l
                                        ; -- End function
	.set _ZN9rocsolver6v33100L7set_tauI19rocblas_complex_numIdEEEviPT_l.num_vgpr, 6
	.set _ZN9rocsolver6v33100L7set_tauI19rocblas_complex_numIdEEEviPT_l.num_agpr, 0
	.set _ZN9rocsolver6v33100L7set_tauI19rocblas_complex_numIdEEEviPT_l.numbered_sgpr, 8
	.set _ZN9rocsolver6v33100L7set_tauI19rocblas_complex_numIdEEEviPT_l.num_named_barrier, 0
	.set _ZN9rocsolver6v33100L7set_tauI19rocblas_complex_numIdEEEviPT_l.private_seg_size, 0
	.set _ZN9rocsolver6v33100L7set_tauI19rocblas_complex_numIdEEEviPT_l.uses_vcc, 1
	.set _ZN9rocsolver6v33100L7set_tauI19rocblas_complex_numIdEEEviPT_l.uses_flat_scratch, 0
	.set _ZN9rocsolver6v33100L7set_tauI19rocblas_complex_numIdEEEviPT_l.has_dyn_sized_stack, 0
	.set _ZN9rocsolver6v33100L7set_tauI19rocblas_complex_numIdEEEviPT_l.has_recursion, 0
	.set _ZN9rocsolver6v33100L7set_tauI19rocblas_complex_numIdEEEviPT_l.has_indirect_call, 0
	.section	.AMDGPU.csdata,"",@progbits
; Kernel info:
; codeLenInByte = 220
; TotalNumSgprs: 10
; NumVgprs: 6
; ScratchSize: 0
; MemoryBound: 0
; FloatMode: 240
; IeeeMode: 1
; LDSByteSize: 0 bytes/workgroup (compile time only)
; SGPRBlocks: 0
; VGPRBlocks: 0
; NumSGPRsForWavesPerEU: 10
; NumVGPRsForWavesPerEU: 6
; NamedBarCnt: 0
; Occupancy: 16
; WaveLimiterHint : 0
; COMPUTE_PGM_RSRC2:SCRATCH_EN: 0
; COMPUTE_PGM_RSRC2:USER_SGPR: 2
; COMPUTE_PGM_RSRC2:TRAP_HANDLER: 0
; COMPUTE_PGM_RSRC2:TGID_X_EN: 1
; COMPUTE_PGM_RSRC2:TGID_Y_EN: 1
; COMPUTE_PGM_RSRC2:TGID_Z_EN: 0
; COMPUTE_PGM_RSRC2:TIDIG_COMP_CNT: 0
	.section	.text._ZN9rocsolver6v33100L20larft_kernel_forwardI19rocblas_complex_numIdEPS3_EEv15rocblas_storev_iiT0_iilPT_lS8_il,"axG",@progbits,_ZN9rocsolver6v33100L20larft_kernel_forwardI19rocblas_complex_numIdEPS3_EEv15rocblas_storev_iiT0_iilPT_lS8_il,comdat
	.globl	_ZN9rocsolver6v33100L20larft_kernel_forwardI19rocblas_complex_numIdEPS3_EEv15rocblas_storev_iiT0_iilPT_lS8_il ; -- Begin function _ZN9rocsolver6v33100L20larft_kernel_forwardI19rocblas_complex_numIdEPS3_EEv15rocblas_storev_iiT0_iilPT_lS8_il
	.p2align	8
	.type	_ZN9rocsolver6v33100L20larft_kernel_forwardI19rocblas_complex_numIdEPS3_EEv15rocblas_storev_iiT0_iilPT_lS8_il,@function
_ZN9rocsolver6v33100L20larft_kernel_forwardI19rocblas_complex_numIdEPS3_EEv15rocblas_storev_iiT0_iilPT_lS8_il: ; @_ZN9rocsolver6v33100L20larft_kernel_forwardI19rocblas_complex_numIdEPS3_EEv15rocblas_storev_iiT0_iilPT_lS8_il
; %bb.0:
	s_clause 0x4
	s_load_b32 s2, s[0:1], 0x5c
	s_load_b32 s3, s[0:1], 0x40
	s_load_b64 s[12:13], s[0:1], 0x48
	s_load_b96 s[16:18], s[0:1], 0x0
	s_load_b256 s[4:11], s[0:1], 0x20
	s_bfe_u32 s14, ttmp6, 0x40010
	s_bfe_u32 s15, ttmp6, 0x40004
	s_add_co_i32 s14, s14, 1
	s_getreg_b32 s20, hwreg(HW_REG_IB_STS2, 6, 4)
	s_mul_i32 s14, ttmp7, s14
	v_lshlrev_b32_e32 v12, 4, v0
	s_add_co_i32 s15, s15, s14
	s_wait_kmcnt 0x0
	s_and_b32 s19, s2, 0xffff
	s_cmp_eq_u32 s20, 0
	v_mad_u32 v1, v0, s3, v0
	s_cselect_b32 s20, ttmp7, s15
	v_cmp_gt_i32_e64 s2, s18, v0
	s_ashr_i32 s21, s20, 31
	s_delay_alu instid0(SALU_CYCLE_1) | instskip(NEXT) | instid1(SALU_CYCLE_1)
	s_mul_u64 s[12:13], s[12:13], s[20:21]
	s_lshl_b64 s[14:15], s[12:13], 4
	s_mov_b32 s12, 0
	s_add_nc_u64 s[10:11], s[10:11], s[14:15]
	s_and_saveexec_b32 s13, s2
	s_cbranch_execz .LBB118_5
; %bb.1:
	v_dual_add_nc_u32 v2, 16, v12 :: v_dual_mov_b32 v4, v0
	s_lshl_b32 s14, s18, 4
	s_add_co_i32 s22, s3, 1
	s_add_co_i32 s15, s14, 16
	s_delay_alu instid0(VALU_DEP_1) | instskip(SKIP_3) | instid1(VALU_DEP_2)
	v_mul_lo_u32 v3, s18, v2
	v_mad_u32 v2, v0, s3, v0
	s_mul_i32 s15, s15, s19
	s_mul_i32 s22, s22, s19
	v_add3_u32 v3, v3, v12, 0
.LBB118_2:                              ; =>This Loop Header: Depth=1
                                        ;     Child Loop BB118_3 Depth 2
	s_delay_alu instid0(VALU_DEP_1)
	v_dual_mov_b32 v5, v2 :: v_dual_mov_b32 v6, v3
	v_mov_b32_e32 v7, v4
	s_mov_b32 s23, 0
.LBB118_3:                              ;   Parent Loop BB118_2 Depth=1
                                        ; =>  This Inner Loop Header: Depth=2
	global_load_b128 v[8:11], v5, s[10:11] scale_offset
	s_wait_xcnt 0x0
	v_dual_add_nc_u32 v7, 1, v7 :: v_dual_add_nc_u32 v5, s3, v5
	s_delay_alu instid0(VALU_DEP_1)
	v_cmp_le_i32_e32 vcc_lo, s18, v7
	s_or_b32 s23, vcc_lo, s23
	s_wait_loadcnt 0x0
	ds_store_2addr_b64 v6, v[8:9], v[10:11] offset1:1
	v_add_nc_u32_e32 v6, s14, v6
	s_and_not1_b32 exec_lo, exec_lo, s23
	s_cbranch_execnz .LBB118_3
; %bb.4:                                ;   in Loop: Header=BB118_2 Depth=1
	s_or_b32 exec_lo, exec_lo, s23
	v_dual_add_nc_u32 v4, s19, v4 :: v_dual_add_nc_u32 v3, s15, v3
	v_add_nc_u32_e32 v2, s22, v2
	s_delay_alu instid0(VALU_DEP_2) | instskip(SKIP_1) | instid1(SALU_CYCLE_1)
	v_cmp_le_i32_e32 vcc_lo, s18, v4
	s_or_b32 s12, vcc_lo, s12
	s_and_not1_b32 exec_lo, exec_lo, s12
	s_cbranch_execnz .LBB118_2
.LBB118_5:
	s_or_b32 exec_lo, exec_lo, s13
	s_cmp_lt_i32 s18, 2
	s_wait_dscnt 0x0
	s_barrier_signal -1
	s_barrier_wait -1
	s_cbranch_scc1 .LBB118_30
; %bb.6:
	s_load_b128 s[12:15], s[0:1], 0x10
	v_dual_add_nc_u32 v4, 16, v12 :: v_dual_bitop2_b32 v2, 8, v12 bitop3:0x54
	s_wait_xcnt 0x0
	s_mul_u64 s[0:1], s[8:9], s[20:21]
	s_lshl_b32 s33, s18, 4
	s_lshl_b64 s[0:1], s[0:1], 4
	s_mul_u64 s[4:5], s[4:5], s[20:21]
	v_mul_lo_u32 v4, s18, v4
	s_add_co_i32 s37, s33, 0
	s_add_nc_u64 s[20:21], s[6:7], s[0:1]
	v_dual_mov_b32 v3, 0 :: v_dual_add_nc_u32 v15, 0, v12
	s_mov_b32 s9, 0
	s_mov_b32 s36, 1
	s_mov_b64 s[28:29], 0
	s_delay_alu instid0(VALU_DEP_2)
	v_add3_u32 v14, v4, v12, 0
	s_wait_kmcnt 0x0
	s_ashr_i32 s1, s14, 31
	v_mul_lo_u32 v13, v0, s15
	s_mov_b32 s0, s14
	s_cmp_lg_u32 s16, 0xb5
	s_mov_b32 s6, s15
	s_cselect_b32 s16, -1, 0
	s_lshl_b64 s[4:5], s[4:5], 4
	s_lshl_b64 s[0:1], s[0:1], 4
	s_ashr_i32 s7, s15, 31
	s_add_nc_u64 s[0:1], s[4:5], s[0:1]
	s_add_co_i32 s39, s33, 16
	s_add_nc_u64 s[12:13], s[12:13], s[0:1]
	s_mul_i32 s14, s15, s19
	s_add_co_i32 s38, s17, -2
	s_lshl_b32 s22, s15, 1
	s_lshl_b32 s8, s19, 4
	s_lshl_b64 s[24:25], s[6:7], 4
	s_add_nc_u64 s[26:27], s[12:13], 40
	s_mul_i32 s39, s39, s19
	s_mov_b32 s30, s15
	s_branch .LBB118_8
.LBB118_7:                              ;   in Loop: Header=BB118_8 Depth=1
	s_or_b32 exec_lo, exec_lo, s0
	s_wait_xcnt 0x0
	s_add_co_i32 s36, s36, 1
	s_add_co_i32 s38, s38, -1
	s_add_co_i32 s22, s22, s15
	s_add_co_i32 s30, s30, s15
	s_add_nc_u64 s[28:29], s[28:29], 16
	s_cmp_eq_u32 s36, s18
	s_add_nc_u64 s[26:27], s[26:27], 16
	s_wait_dscnt 0x0
	s_barrier_signal -1
	s_barrier_wait -1
	s_cbranch_scc1 .LBB118_30
.LBB118_8:                              ; =>This Loop Header: Depth=1
                                        ;     Child Loop BB118_12 Depth 2
                                        ;       Child Loop BB118_14 Depth 3
                                        ;     Child Loop BB118_21 Depth 2
                                        ;       Child Loop BB118_23 Depth 3
	;; [unrolled: 2-line block ×3, first 2 shown]
	s_mul_i32 s0, s36, s18
	s_not_b32 s1, s36
	s_lshl_b32 s0, s0, 4
	s_add_co_i32 s41, s17, s1
	s_add_co_i32 s40, s37, s0
	v_cmp_gt_u32_e64 s0, s36, v0
	s_and_b32 vcc_lo, exec_lo, s16
	s_mov_b32 s1, -1
	s_cbranch_vccz .LBB118_16
; %bb.9:                                ;   in Loop: Header=BB118_8 Depth=1
	s_and_saveexec_b32 s31, s0
	s_cbranch_execz .LBB118_15
; %bb.10:                               ;   in Loop: Header=BB118_8 Depth=1
	s_load_b128 s[4:7], s[20:21], s36 offset:0x0 scale_offset
	s_ashr_i32 s23, s22, 31
	v_mov_b64_e32 v[4:5], v[2:3]
	s_lshl_b64 s[0:1], s[22:23], 4
	v_mov_b32_e32 v10, v0
	s_cmp_gt_i32 s41, 0
	s_add_nc_u64 s[0:1], s[12:13], s[0:1]
	s_cselect_b32 s23, -1, 0
	s_mov_b32 s42, 0
	s_branch .LBB118_12
.LBB118_11:                             ;   in Loop: Header=BB118_12 Depth=2
	s_wait_kmcnt 0x0
	s_delay_alu instid0(VALU_DEP_1) | instskip(NEXT) | instid1(VALU_DEP_2)
	v_mul_f64_e32 v[16:17], s[6:7], v[6:7]
	v_dual_mul_f64 v[18:19], s[6:7], v[8:9] :: v_dual_lshlrev_b32 v11, 4, v10
	v_add_nc_u64_e32 v[4:5], s[8:9], v[4:5]
	v_add_nc_u32_e32 v10, s19, v10
	s_delay_alu instid0(VALU_DEP_1)
	v_cmp_le_u32_e32 vcc_lo, s36, v10
	s_or_b32 s42, vcc_lo, s42
	v_fma_f64 v[16:17], v[8:9], s[4:5], -v[16:17]
	v_fmac_f64_e32 v[18:19], s[4:5], v[6:7]
	v_dual_add_nc_u32 v6, s40, v11 :: v_dual_add_nc_u32 v11, 0, v11
	ds_load_2addr_b64 v[6:9], v6 offset1:1
	s_wait_dscnt 0x0
	v_add_f64_e32 v[6:7], v[6:7], v[16:17]
	v_add_f64_e32 v[8:9], v[8:9], v[18:19]
	ds_store_2addr_b64 v11, v[6:7], v[8:9] offset1:1
	s_and_not1_b32 exec_lo, exec_lo, s42
	s_cbranch_execz .LBB118_15
.LBB118_12:                             ;   Parent Loop BB118_8 Depth=1
                                        ; =>  This Loop Header: Depth=2
                                        ;       Child Loop BB118_14 Depth 3
	v_mov_b64_e32 v[6:7], 0
	v_mov_b64_e32 v[8:9], 0
	s_and_not1_b32 vcc_lo, exec_lo, s23
	s_cbranch_vccnz .LBB118_11
; %bb.13:                               ;   in Loop: Header=BB118_12 Depth=2
	s_mov_b32 s43, 0
	s_mov_b64 s[34:35], s[0:1]
.LBB118_14:                             ;   Parent Loop BB118_8 Depth=1
                                        ;     Parent Loop BB118_12 Depth=2
                                        ; =>    This Inner Loop Header: Depth=3
	s_delay_alu instid0(SALU_CYCLE_1)
	v_add_nc_u64_e32 v[16:17], s[34:35], v[4:5]
	s_add_nc_u64 s[48:49], s[34:35], s[28:29]
	s_add_co_i32 s43, s43, 1
	s_load_b128 s[44:47], s[48:49], 0x10
	s_cmp_eq_u32 s38, s43
	s_add_nc_u64 s[34:35], s[34:35], s[24:25]
	global_load_b128 v[16:19], v[16:17], off offset:-8
	s_wait_loadcnt 0x0
	s_wait_kmcnt 0x0
	v_mul_f64_e32 v[20:21], s[46:47], v[18:19]
	v_mul_f64_e32 v[22:23], s[46:47], v[16:17]
	s_delay_alu instid0(VALU_DEP_2) | instskip(SKIP_1) | instid1(VALU_DEP_2)
	v_fmac_f64_e32 v[20:21], s[44:45], v[16:17]
	s_wait_xcnt 0x0
	v_fma_f64 v[16:17], s[44:45], v[18:19], -v[22:23]
	s_delay_alu instid0(VALU_DEP_2) | instskip(NEXT) | instid1(VALU_DEP_2)
	v_add_f64_e32 v[8:9], v[8:9], v[20:21]
	v_add_f64_e32 v[6:7], v[6:7], v[16:17]
	s_cbranch_scc0 .LBB118_14
	s_branch .LBB118_11
.LBB118_15:                             ;   in Loop: Header=BB118_8 Depth=1
	s_or_b32 exec_lo, exec_lo, s31
	s_mov_b32 s1, 0
.LBB118_16:                             ;   in Loop: Header=BB118_8 Depth=1
	s_delay_alu instid0(SALU_CYCLE_1)
	s_and_not1_b32 vcc_lo, exec_lo, s1
	s_cbranch_vccnz .LBB118_25
; %bb.17:                               ;   in Loop: Header=BB118_8 Depth=1
	s_mov_b32 s23, exec_lo
	v_cmpx_gt_u32_e64 s36, v0
	s_cbranch_execz .LBB118_24
; %bb.18:                               ;   in Loop: Header=BB118_8 Depth=1
	s_load_b128 s[4:7], s[20:21], s36 offset:0x0 scale_offset
	s_ashr_i32 s31, s30, 31
	v_dual_mov_b32 v4, v13 :: v_dual_mov_b32 v16, v0
	s_lshl_b64 s[0:1], s[30:31], 4
	s_cmp_gt_i32 s41, 0
	s_mov_b32 s41, 0
	s_cselect_b32 s31, -1, 0
	s_branch .LBB118_21
.LBB118_19:                             ;   in Loop: Header=BB118_21 Depth=2
	v_mov_b64_e32 v[6:7], 0
	v_mov_b64_e32 v[8:9], 0
.LBB118_20:                             ;   in Loop: Header=BB118_21 Depth=2
	s_wait_kmcnt 0x0
	s_delay_alu instid0(VALU_DEP_1) | instskip(NEXT) | instid1(VALU_DEP_2)
	v_dual_mul_f64 v[10:11], s[6:7], v[6:7] :: v_dual_lshlrev_b32 v5, 4, v16
	v_mul_f64_e32 v[18:19], s[6:7], v[8:9]
	v_add_nc_u32_e32 v4, s14, v4
	v_add_nc_u32_e32 v16, s19, v16
	s_delay_alu instid0(VALU_DEP_1)
	v_cmp_le_u32_e32 vcc_lo, s36, v16
	s_or_b32 s41, vcc_lo, s41
	v_fma_f64 v[10:11], v[8:9], s[4:5], -v[10:11]
	v_fmac_f64_e32 v[18:19], s[4:5], v[6:7]
	v_dual_add_nc_u32 v6, s40, v5 :: v_dual_add_nc_u32 v5, 0, v5
	ds_load_2addr_b64 v[6:9], v6 offset1:1
	s_wait_dscnt 0x0
	v_add_f64_e32 v[6:7], v[6:7], v[10:11]
	v_add_f64_e32 v[8:9], v[8:9], v[18:19]
	ds_store_2addr_b64 v5, v[6:7], v[8:9] offset1:1
	s_and_not1_b32 exec_lo, exec_lo, s41
	s_cbranch_execz .LBB118_24
.LBB118_21:                             ;   Parent Loop BB118_8 Depth=1
                                        ; =>  This Loop Header: Depth=2
                                        ;       Child Loop BB118_23 Depth 3
	s_and_not1_b32 vcc_lo, exec_lo, s31
	s_cbranch_vccnz .LBB118_19
; %bb.22:                               ;   in Loop: Header=BB118_21 Depth=2
	v_ashrrev_i32_e32 v5, 31, v4
	v_mov_b64_e32 v[6:7], 0
	v_mov_b64_e32 v[8:9], 0
	s_mov_b32 s42, 0
	s_mov_b64 s[34:35], s[26:27]
	v_lshlrev_b64_e32 v[10:11], 4, v[4:5]
.LBB118_23:                             ;   Parent Loop BB118_8 Depth=1
                                        ;     Parent Loop BB118_21 Depth=2
                                        ; =>    This Inner Loop Header: Depth=3
	s_delay_alu instid0(VALU_DEP_1)
	v_add_nc_u64_e32 v[18:19], s[34:35], v[10:11]
	s_add_nc_u64 s[44:45], s[34:35], s[0:1]
	s_add_co_i32 s42, s42, 1
	s_add_nc_u64 s[48:49], s[44:45], -8
	s_cmp_eq_u32 s38, s42
	s_add_nc_u64 s[34:35], s[34:35], 16
	s_load_b128 s[44:47], s[48:49], 0x0
	global_load_b128 v[18:21], v[18:19], off offset:-8
	s_wait_loadcnt 0x0
	s_wait_kmcnt 0x0
	v_mul_f64_e32 v[22:23], s[46:47], v[20:21]
	v_mul_f64_e32 v[20:21], s[44:45], v[20:21]
	s_delay_alu instid0(VALU_DEP_2) | instskip(NEXT) | instid1(VALU_DEP_2)
	v_fmac_f64_e32 v[22:23], s[44:45], v[18:19]
	v_fma_f64 v[18:19], v[18:19], s[46:47], -v[20:21]
	s_delay_alu instid0(VALU_DEP_2) | instskip(NEXT) | instid1(VALU_DEP_2)
	v_add_f64_e32 v[8:9], v[8:9], v[22:23]
	v_add_f64_e32 v[6:7], v[6:7], v[18:19]
	s_cbranch_scc0 .LBB118_23
	s_branch .LBB118_20
.LBB118_24:                             ;   in Loop: Header=BB118_8 Depth=1
	s_or_b32 exec_lo, exec_lo, s23
.LBB118_25:                             ;   in Loop: Header=BB118_8 Depth=1
	s_delay_alu instid0(SALU_CYCLE_1)
	s_mov_b32 s0, exec_lo
	s_wait_dscnt 0x0
	s_barrier_signal -1
	s_barrier_wait -1
	v_cmpx_gt_u32_e64 s36, v0
	s_cbranch_execz .LBB118_7
; %bb.26:                               ;   in Loop: Header=BB118_8 Depth=1
	v_dual_mov_b32 v8, v15 :: v_dual_mov_b32 v9, v14
	v_mov_b32_e32 v10, v0
	s_mov_b32 s1, 0
.LBB118_27:                             ;   Parent Loop BB118_8 Depth=1
                                        ; =>  This Loop Header: Depth=2
                                        ;       Child Loop BB118_28 Depth 3
	v_mov_b64_e32 v[4:5], 0
	v_mov_b64_e32 v[6:7], 0
	v_dual_mov_b32 v11, v8 :: v_dual_mov_b32 v16, v9
	v_mov_b32_e32 v17, v10
	s_mov_b32 s4, 0
.LBB118_28:                             ;   Parent Loop BB118_8 Depth=1
                                        ;     Parent Loop BB118_27 Depth=2
                                        ; =>    This Inner Loop Header: Depth=3
	ds_load_2addr_b64 v[18:21], v11 offset1:1
	ds_load_2addr_b64 v[22:25], v16 offset1:1
	v_dual_add_nc_u32 v11, 16, v11 :: v_dual_add_nc_u32 v17, 1, v17
	v_add_nc_u32_e32 v16, s33, v16
	s_delay_alu instid0(VALU_DEP_2) | instskip(SKIP_4) | instid1(VALU_DEP_2)
	v_cmp_le_u32_e32 vcc_lo, s36, v17
	s_or_b32 s4, vcc_lo, s4
	s_wait_dscnt 0x0
	v_mul_f64_e32 v[26:27], v[20:21], v[24:25]
	v_mul_f64_e32 v[24:25], v[18:19], v[24:25]
	v_fma_f64 v[18:19], v[18:19], v[22:23], -v[26:27]
	s_delay_alu instid0(VALU_DEP_2) | instskip(NEXT) | instid1(VALU_DEP_2)
	v_fmac_f64_e32 v[24:25], v[20:21], v[22:23]
	v_add_f64_e32 v[4:5], v[4:5], v[18:19]
	s_delay_alu instid0(VALU_DEP_2)
	v_add_f64_e32 v[6:7], v[6:7], v[24:25]
	s_and_not1_b32 exec_lo, exec_lo, s4
	s_cbranch_execnz .LBB118_28
; %bb.29:                               ;   in Loop: Header=BB118_27 Depth=2
	s_or_b32 exec_lo, exec_lo, s4
	v_lshl_add_u32 v11, v10, 4, s40
	v_dual_add_nc_u32 v10, s19, v10 :: v_dual_add_nc_u32 v9, s39, v9
	v_add_nc_u32_e32 v8, s8, v8
	ds_store_2addr_b64 v11, v[4:5], v[6:7] offset1:1
	v_cmp_le_u32_e32 vcc_lo, s36, v10
	s_or_b32 s1, vcc_lo, s1
	s_delay_alu instid0(SALU_CYCLE_1)
	s_and_not1_b32 exec_lo, exec_lo, s1
	s_cbranch_execnz .LBB118_27
	s_branch .LBB118_7
.LBB118_30:
	s_and_saveexec_b32 s0, s2
	s_cbranch_execz .LBB118_35
; %bb.31:
	v_add_nc_u32_e32 v2, 16, v12
	s_lshl_b32 s1, s18, 4
	s_add_co_i32 s0, s3, 1
	s_add_co_i32 s4, s1, 16
	s_mul_i32 s0, s0, s19
	v_mul_lo_u32 v2, s18, v2
	s_mov_b32 s2, 0
	s_mul_i32 s4, s4, s19
	s_delay_alu instid0(VALU_DEP_1)
	v_add3_u32 v2, v2, v12, 0
.LBB118_32:                             ; =>This Loop Header: Depth=1
                                        ;     Child Loop BB118_33 Depth 2
	s_delay_alu instid0(VALU_DEP_1)
	v_dual_mov_b32 v3, v2 :: v_dual_mov_b32 v4, v1
	v_mov_b32_e32 v5, v0
	s_mov_b32 s5, 0
.LBB118_33:                             ;   Parent Loop BB118_32 Depth=1
                                        ; =>  This Inner Loop Header: Depth=2
	ds_load_2addr_b64 v[6:9], v3 offset1:1
	v_dual_add_nc_u32 v5, 1, v5 :: v_dual_add_nc_u32 v3, s1, v3
	s_delay_alu instid0(VALU_DEP_1)
	v_cmp_le_i32_e32 vcc_lo, s18, v5
	s_or_b32 s5, vcc_lo, s5
	s_wait_dscnt 0x0
	global_store_b128 v4, v[6:9], s[10:11] scale_offset
	s_wait_xcnt 0x0
	v_add_nc_u32_e32 v4, s3, v4
	s_and_not1_b32 exec_lo, exec_lo, s5
	s_cbranch_execnz .LBB118_33
; %bb.34:                               ;   in Loop: Header=BB118_32 Depth=1
	s_or_b32 exec_lo, exec_lo, s5
	v_dual_add_nc_u32 v0, s19, v0 :: v_dual_add_nc_u32 v1, s0, v1
	v_add_nc_u32_e32 v2, s4, v2
	s_delay_alu instid0(VALU_DEP_2) | instskip(SKIP_1) | instid1(SALU_CYCLE_1)
	v_cmp_le_i32_e32 vcc_lo, s18, v0
	s_or_b32 s2, vcc_lo, s2
	s_and_not1_b32 exec_lo, exec_lo, s2
	s_cbranch_execnz .LBB118_32
.LBB118_35:
	s_endpgm
	.section	.rodata,"a",@progbits
	.p2align	6, 0x0
	.amdhsa_kernel _ZN9rocsolver6v33100L20larft_kernel_forwardI19rocblas_complex_numIdEPS3_EEv15rocblas_storev_iiT0_iilPT_lS8_il
		.amdhsa_group_segment_fixed_size 0
		.amdhsa_private_segment_fixed_size 0
		.amdhsa_kernarg_size 336
		.amdhsa_user_sgpr_count 2
		.amdhsa_user_sgpr_dispatch_ptr 0
		.amdhsa_user_sgpr_queue_ptr 0
		.amdhsa_user_sgpr_kernarg_segment_ptr 1
		.amdhsa_user_sgpr_dispatch_id 0
		.amdhsa_user_sgpr_kernarg_preload_length 0
		.amdhsa_user_sgpr_kernarg_preload_offset 0
		.amdhsa_user_sgpr_private_segment_size 0
		.amdhsa_wavefront_size32 1
		.amdhsa_uses_dynamic_stack 0
		.amdhsa_enable_private_segment 0
		.amdhsa_system_sgpr_workgroup_id_x 1
		.amdhsa_system_sgpr_workgroup_id_y 1
		.amdhsa_system_sgpr_workgroup_id_z 0
		.amdhsa_system_sgpr_workgroup_info 0
		.amdhsa_system_vgpr_workitem_id 0
		.amdhsa_next_free_vgpr 28
		.amdhsa_next_free_sgpr 50
		.amdhsa_named_barrier_count 0
		.amdhsa_reserve_vcc 1
		.amdhsa_float_round_mode_32 0
		.amdhsa_float_round_mode_16_64 0
		.amdhsa_float_denorm_mode_32 3
		.amdhsa_float_denorm_mode_16_64 3
		.amdhsa_fp16_overflow 0
		.amdhsa_memory_ordered 1
		.amdhsa_forward_progress 1
		.amdhsa_inst_pref_size 13
		.amdhsa_round_robin_scheduling 0
		.amdhsa_exception_fp_ieee_invalid_op 0
		.amdhsa_exception_fp_denorm_src 0
		.amdhsa_exception_fp_ieee_div_zero 0
		.amdhsa_exception_fp_ieee_overflow 0
		.amdhsa_exception_fp_ieee_underflow 0
		.amdhsa_exception_fp_ieee_inexact 0
		.amdhsa_exception_int_div_zero 0
	.end_amdhsa_kernel
	.section	.text._ZN9rocsolver6v33100L20larft_kernel_forwardI19rocblas_complex_numIdEPS3_EEv15rocblas_storev_iiT0_iilPT_lS8_il,"axG",@progbits,_ZN9rocsolver6v33100L20larft_kernel_forwardI19rocblas_complex_numIdEPS3_EEv15rocblas_storev_iiT0_iilPT_lS8_il,comdat
.Lfunc_end118:
	.size	_ZN9rocsolver6v33100L20larft_kernel_forwardI19rocblas_complex_numIdEPS3_EEv15rocblas_storev_iiT0_iilPT_lS8_il, .Lfunc_end118-_ZN9rocsolver6v33100L20larft_kernel_forwardI19rocblas_complex_numIdEPS3_EEv15rocblas_storev_iiT0_iilPT_lS8_il
                                        ; -- End function
	.set _ZN9rocsolver6v33100L20larft_kernel_forwardI19rocblas_complex_numIdEPS3_EEv15rocblas_storev_iiT0_iilPT_lS8_il.num_vgpr, 28
	.set _ZN9rocsolver6v33100L20larft_kernel_forwardI19rocblas_complex_numIdEPS3_EEv15rocblas_storev_iiT0_iilPT_lS8_il.num_agpr, 0
	.set _ZN9rocsolver6v33100L20larft_kernel_forwardI19rocblas_complex_numIdEPS3_EEv15rocblas_storev_iiT0_iilPT_lS8_il.numbered_sgpr, 50
	.set _ZN9rocsolver6v33100L20larft_kernel_forwardI19rocblas_complex_numIdEPS3_EEv15rocblas_storev_iiT0_iilPT_lS8_il.num_named_barrier, 0
	.set _ZN9rocsolver6v33100L20larft_kernel_forwardI19rocblas_complex_numIdEPS3_EEv15rocblas_storev_iiT0_iilPT_lS8_il.private_seg_size, 0
	.set _ZN9rocsolver6v33100L20larft_kernel_forwardI19rocblas_complex_numIdEPS3_EEv15rocblas_storev_iiT0_iilPT_lS8_il.uses_vcc, 1
	.set _ZN9rocsolver6v33100L20larft_kernel_forwardI19rocblas_complex_numIdEPS3_EEv15rocblas_storev_iiT0_iilPT_lS8_il.uses_flat_scratch, 0
	.set _ZN9rocsolver6v33100L20larft_kernel_forwardI19rocblas_complex_numIdEPS3_EEv15rocblas_storev_iiT0_iilPT_lS8_il.has_dyn_sized_stack, 0
	.set _ZN9rocsolver6v33100L20larft_kernel_forwardI19rocblas_complex_numIdEPS3_EEv15rocblas_storev_iiT0_iilPT_lS8_il.has_recursion, 0
	.set _ZN9rocsolver6v33100L20larft_kernel_forwardI19rocblas_complex_numIdEPS3_EEv15rocblas_storev_iiT0_iilPT_lS8_il.has_indirect_call, 0
	.section	.AMDGPU.csdata,"",@progbits
; Kernel info:
; codeLenInByte = 1652
; TotalNumSgprs: 52
; NumVgprs: 28
; ScratchSize: 0
; MemoryBound: 0
; FloatMode: 240
; IeeeMode: 1
; LDSByteSize: 0 bytes/workgroup (compile time only)
; SGPRBlocks: 0
; VGPRBlocks: 1
; NumSGPRsForWavesPerEU: 52
; NumVGPRsForWavesPerEU: 28
; NamedBarCnt: 0
; Occupancy: 16
; WaveLimiterHint : 0
; COMPUTE_PGM_RSRC2:SCRATCH_EN: 0
; COMPUTE_PGM_RSRC2:USER_SGPR: 2
; COMPUTE_PGM_RSRC2:TRAP_HANDLER: 0
; COMPUTE_PGM_RSRC2:TGID_X_EN: 1
; COMPUTE_PGM_RSRC2:TGID_Y_EN: 1
; COMPUTE_PGM_RSRC2:TGID_Z_EN: 0
; COMPUTE_PGM_RSRC2:TIDIG_COMP_CNT: 0
	.section	.text._ZN9rocsolver6v33100L21larft_kernel_backwardI19rocblas_complex_numIdEPS3_EEv15rocblas_storev_iiT0_iilPT_lS8_il,"axG",@progbits,_ZN9rocsolver6v33100L21larft_kernel_backwardI19rocblas_complex_numIdEPS3_EEv15rocblas_storev_iiT0_iilPT_lS8_il,comdat
	.globl	_ZN9rocsolver6v33100L21larft_kernel_backwardI19rocblas_complex_numIdEPS3_EEv15rocblas_storev_iiT0_iilPT_lS8_il ; -- Begin function _ZN9rocsolver6v33100L21larft_kernel_backwardI19rocblas_complex_numIdEPS3_EEv15rocblas_storev_iiT0_iilPT_lS8_il
	.p2align	8
	.type	_ZN9rocsolver6v33100L21larft_kernel_backwardI19rocblas_complex_numIdEPS3_EEv15rocblas_storev_iiT0_iilPT_lS8_il,@function
_ZN9rocsolver6v33100L21larft_kernel_backwardI19rocblas_complex_numIdEPS3_EEv15rocblas_storev_iiT0_iilPT_lS8_il: ; @_ZN9rocsolver6v33100L21larft_kernel_backwardI19rocblas_complex_numIdEPS3_EEv15rocblas_storev_iiT0_iilPT_lS8_il
; %bb.0:
	s_clause 0x4
	s_load_b32 s2, s[0:1], 0x5c
	s_load_b96 s[16:18], s[0:1], 0x0
	s_load_b64 s[12:13], s[0:1], 0x48
	s_load_b256 s[4:11], s[0:1], 0x20
	s_load_b32 s3, s[0:1], 0x40
	s_bfe_u32 s14, ttmp6, 0x40010
	s_bfe_u32 s15, ttmp6, 0x40004
	s_add_co_i32 s14, s14, 1
	s_getreg_b32 s20, hwreg(HW_REG_IB_STS2, 6, 4)
	s_mul_i32 s14, ttmp7, s14
	v_dual_add_nc_u32 v1, 1, v0 :: v_dual_lshlrev_b32 v2, 4, v0
	s_add_co_i32 s15, s15, s14
	s_wait_kmcnt 0x0
	s_and_b32 s19, s2, 0xffff
	s_cmp_eq_u32 s20, 0
	v_cmp_gt_i32_e64 s2, s18, v0
	s_cselect_b32 s20, ttmp7, s15
	s_delay_alu instid0(SALU_CYCLE_1) | instskip(NEXT) | instid1(SALU_CYCLE_1)
	s_ashr_i32 s21, s20, 31
	s_mul_u64 s[12:13], s[12:13], s[20:21]
	s_delay_alu instid0(SALU_CYCLE_1)
	s_lshl_b64 s[14:15], s[12:13], 4
	s_mov_b32 s12, 0
	s_add_nc_u64 s[10:11], s[10:11], s[14:15]
	s_and_saveexec_b32 s13, s2
	s_cbranch_execz .LBB119_5
; %bb.1:
	s_lshl_b32 s14, s18, 4
	v_dual_add_nc_u32 v3, 1, v0 :: v_dual_mov_b32 v5, v0
	v_add3_u32 v4, 0, s14, v2
	s_lshl_b32 s15, s19, 4
.LBB119_2:                              ; =>This Loop Header: Depth=1
                                        ;     Child Loop BB119_3 Depth 2
	s_delay_alu instid0(VALU_DEP_1)
	v_dual_mov_b32 v6, v5 :: v_dual_mov_b32 v7, v4
	s_mov_b32 s22, 0
	s_mov_b32 s23, 0
.LBB119_3:                              ;   Parent Loop BB119_2 Depth=1
                                        ; =>  This Inner Loop Header: Depth=2
	global_load_b128 v[8:11], v6, s[10:11] scale_offset
	s_add_co_i32 s23, s23, 1
	s_wait_xcnt 0x0
	v_add_nc_u32_e32 v6, s3, v6
	v_cmp_eq_u32_e32 vcc_lo, s23, v3
	s_or_b32 s22, vcc_lo, s22
	s_wait_loadcnt 0x0
	ds_store_2addr_b64 v7, v[8:9], v[10:11] offset1:1
	v_add_nc_u32_e32 v7, s14, v7
	s_and_not1_b32 exec_lo, exec_lo, s22
	s_cbranch_execnz .LBB119_3
; %bb.4:                                ;   in Loop: Header=BB119_2 Depth=1
	s_or_b32 exec_lo, exec_lo, s22
	v_dual_add_nc_u32 v5, s19, v5 :: v_dual_add_nc_u32 v3, s19, v3
	v_add_nc_u32_e32 v4, s15, v4
	s_delay_alu instid0(VALU_DEP_2) | instskip(SKIP_1) | instid1(SALU_CYCLE_1)
	v_cmp_le_i32_e32 vcc_lo, s18, v5
	s_or_b32 s12, vcc_lo, s12
	s_and_not1_b32 exec_lo, exec_lo, s12
	s_cbranch_execnz .LBB119_2
.LBB119_5:
	s_or_b32 exec_lo, exec_lo, s13
	s_cmp_lt_i32 s18, 2
	s_wait_dscnt 0x0
	s_barrier_signal -1
	s_barrier_wait -1
	s_cbranch_scc1 .LBB119_30
; %bb.6:
	s_load_b128 s[12:15], s[0:1], 0x10
	s_wait_xcnt 0x0
	s_mul_u64 s[0:1], s[8:9], s[20:21]
	s_lshl_b32 s33, s18, 4
	s_lshl_b64 s[0:1], s[0:1], 4
	s_add_co_i32 s8, s18, -2
	s_sub_co_i32 s36, s17, s18
	s_add_co_i32 s37, s33, 0
	s_add_nc_u64 s[22:23], s[6:7], s[0:1]
	s_mov_b32 s9, 0
	s_mul_u64 s[4:5], s[4:5], s[20:21]
	v_mov_b32_e32 v3, 0
	s_mov_b32 s21, s9
	s_wait_kmcnt 0x0
	s_ashr_i32 s1, s14, 31
	s_mov_b32 s0, s14
	s_cmp_lg_u32 s16, 0xb5
	s_mov_b32 s6, s15
	s_cselect_b32 s14, -1, 0
	s_lshl_b64 s[4:5], s[4:5], 4
	s_lshl_b64 s[0:1], s[0:1], 4
	;; [unrolled: 1-line block ×3, first 2 shown]
	s_add_nc_u64 s[0:1], s[4:5], s[0:1]
	s_add_nc_u64 s[4:5], s[12:13], s[24:25]
	v_mul_lo_u32 v14, v0, s15
	s_add_nc_u64 s[4:5], s[4:5], s[0:1]
	s_ashr_i32 s7, s15, 31
	v_add_nc_u64_e32 v[4:5], s[4:5], v[2:3]
	s_add_co_i32 s9, s33, 16
	s_add_co_i32 s38, s17, -2
	s_lshl_b64 s[16:17], s[6:7], 4
	s_mul_i32 s6, s18, s9
	s_add_nc_u64 s[4:5], s[0:1], s[24:25]
	s_add_nc_u64 s[0:1], s[12:13], s[0:1]
	;; [unrolled: 1-line block ×4, first 2 shown]
	v_add_nc_u64_e32 v[4:5], 24, v[4:5]
	s_add_co_i32 s0, s6, 0
	s_add_co_i32 s1, s18, -1
	v_add3_u32 v3, s0, v2, -16
	s_lshl_b32 s20, s19, 4
	s_add_nc_u64 s[24:25], s[4:5], 8
	s_mul_i32 s26, s15, s8
	s_mul_i32 s28, s15, s1
	;; [unrolled: 1-line block ×3, first 2 shown]
	s_xor_b32 s39, s33, -16
	s_branch .LBB119_8
.LBB119_7:                              ;   in Loop: Header=BB119_8 Depth=1
	s_or_b32 exec_lo, exec_lo, s0
	v_add_nc_u64_e32 v[4:5], -16, v[4:5]
	v_add_nc_u32_e32 v3, s39, v3
	s_add_co_i32 s0, s8, -1
	s_add_co_i32 s38, s38, -1
	s_sub_co_i32 s26, s26, s15
	s_sub_co_i32 s28, s28, s15
	s_add_nc_u64 s[24:25], s[24:25], -16
	s_cmp_lt_i32 s8, 1
	s_wait_xcnt 0x0
	s_mov_b32 s8, s0
	s_wait_dscnt 0x0
	s_barrier_signal -1
	s_barrier_wait -1
	s_cbranch_scc1 .LBB119_30
.LBB119_8:                              ; =>This Loop Header: Depth=1
                                        ;     Child Loop BB119_12 Depth 2
                                        ;       Child Loop BB119_14 Depth 3
                                        ;     Child Loop BB119_21 Depth 2
                                        ;       Child Loop BB119_23 Depth 3
	;; [unrolled: 2-line block ×3, first 2 shown]
	s_not_b32 s0, s8
	s_lshl_b32 s1, s8, 4
	s_add_co_i32 s40, s18, s0
	s_mul_i32 s0, s8, s18
	s_add_co_i32 s41, s37, s1
	s_lshl_b32 s0, s0, 4
	s_add_co_i32 s30, s8, s36
	s_add_co_i32 s41, s41, s0
	v_cmp_gt_i32_e64 s0, s40, v0
	s_and_b32 vcc_lo, exec_lo, s14
	s_mov_b32 s1, -1
	s_cbranch_vccz .LBB119_16
; %bb.9:                                ;   in Loop: Header=BB119_8 Depth=1
	s_and_saveexec_b32 s27, s0
	s_cbranch_execz .LBB119_15
; %bb.10:                               ;   in Loop: Header=BB119_8 Depth=1
	s_load_b128 s[4:7], s[22:23], s8 offset:0x0 scale_offset
	v_mov_b64_e32 v[6:7], v[4:5]
	v_mov_b32_e32 v12, v0
	s_cmp_gt_i32 s30, 0
	s_mov_b32 s31, 0
	s_cselect_b32 s29, -1, 0
	s_branch .LBB119_12
.LBB119_11:                             ;   in Loop: Header=BB119_12 Depth=2
	s_wait_kmcnt 0x0
	s_delay_alu instid0(VALU_DEP_1) | instskip(NEXT) | instid1(VALU_DEP_2)
	v_mul_f64_e32 v[16:17], s[6:7], v[8:9]
	v_dual_mul_f64 v[18:19], s[6:7], v[10:11] :: v_dual_lshlrev_b32 v13, 4, v12
	v_add_nc_u32_e32 v12, s19, v12
	v_add_nc_u64_e32 v[6:7], s[20:21], v[6:7]
	s_delay_alu instid0(VALU_DEP_4) | instskip(NEXT) | instid1(VALU_DEP_4)
	v_fma_f64 v[16:17], v[10:11], s[4:5], -v[16:17]
	v_fmac_f64_e32 v[18:19], s[4:5], v[8:9]
	v_dual_add_nc_u32 v8, s41, v13 :: v_dual_add_nc_u32 v13, 0, v13
	v_cmp_le_i32_e32 vcc_lo, s40, v12
	ds_load_2addr_b64 v[8:11], v8 offset0:2 offset1:3
	s_or_b32 s31, vcc_lo, s31
	s_wait_dscnt 0x0
	v_add_f64_e32 v[8:9], v[8:9], v[16:17]
	v_add_f64_e32 v[10:11], v[10:11], v[18:19]
	ds_store_2addr_b64 v13, v[8:9], v[10:11] offset1:1
	s_and_not1_b32 exec_lo, exec_lo, s31
	s_cbranch_execz .LBB119_15
.LBB119_12:                             ;   Parent Loop BB119_8 Depth=1
                                        ; =>  This Loop Header: Depth=2
                                        ;       Child Loop BB119_14 Depth 3
	v_mov_b64_e32 v[8:9], 0
	v_mov_b64_e32 v[10:11], 0
	s_and_not1_b32 vcc_lo, exec_lo, s29
	s_cbranch_vccnz .LBB119_11
; %bb.13:                               ;   in Loop: Header=BB119_12 Depth=2
	s_mov_b32 s34, 0
	s_mov_b64 s[0:1], 0
.LBB119_14:                             ;   Parent Loop BB119_8 Depth=1
                                        ;     Parent Loop BB119_12 Depth=2
                                        ; =>    This Inner Loop Header: Depth=3
	s_delay_alu instid0(SALU_CYCLE_1)
	v_add_nc_u64_e32 v[16:17], s[0:1], v[6:7]
	s_add_nc_u64 s[42:43], s[24:25], s[0:1]
	s_add_co_i32 s34, s34, 1
	s_add_nc_u64 s[42:43], s[42:43], -8
	s_cmp_eq_u32 s38, s34
	s_load_b128 s[44:47], s[42:43], 0x0
	s_add_nc_u64 s[0:1], s[0:1], s[16:17]
	global_load_b128 v[16:19], v[16:17], off offset:-8
	s_wait_loadcnt 0x0
	s_wait_kmcnt 0x0
	v_mul_f64_e32 v[20:21], s[46:47], v[18:19]
	v_mul_f64_e32 v[22:23], s[46:47], v[16:17]
	s_delay_alu instid0(VALU_DEP_2) | instskip(SKIP_1) | instid1(VALU_DEP_2)
	v_fmac_f64_e32 v[20:21], s[44:45], v[16:17]
	s_wait_xcnt 0x0
	v_fma_f64 v[16:17], s[44:45], v[18:19], -v[22:23]
	s_delay_alu instid0(VALU_DEP_2) | instskip(NEXT) | instid1(VALU_DEP_2)
	v_add_f64_e32 v[10:11], v[10:11], v[20:21]
	v_add_f64_e32 v[8:9], v[8:9], v[16:17]
	s_cbranch_scc0 .LBB119_14
	s_branch .LBB119_11
.LBB119_15:                             ;   in Loop: Header=BB119_8 Depth=1
	s_or_b32 exec_lo, exec_lo, s27
	s_mov_b32 s1, 0
.LBB119_16:                             ;   in Loop: Header=BB119_8 Depth=1
	s_delay_alu instid0(SALU_CYCLE_1)
	s_and_not1_b32 vcc_lo, exec_lo, s1
	s_cbranch_vccnz .LBB119_25
; %bb.17:                               ;   in Loop: Header=BB119_8 Depth=1
	s_mov_b32 s42, exec_lo
	v_cmpx_gt_i32_e64 s40, v0
	s_cbranch_execz .LBB119_24
; %bb.18:                               ;   in Loop: Header=BB119_8 Depth=1
	s_load_b128 s[4:7], s[22:23], s8 offset:0x0 scale_offset
	s_ashr_i32 s27, s26, 31
	s_ashr_i32 s29, s28, 31
	s_lshl_b64 s[0:1], s[26:27], 4
	s_lshl_b64 s[34:35], s[28:29], 4
	v_dual_mov_b32 v6, v14 :: v_dual_mov_b32 v15, v0
	s_cmp_gt_i32 s30, 0
	s_add_nc_u64 s[0:1], s[12:13], s[0:1]
	s_cselect_b32 s27, -1, 0
	s_mov_b32 s29, 0
	s_add_nc_u64 s[30:31], s[12:13], s[34:35]
	s_branch .LBB119_21
.LBB119_19:                             ;   in Loop: Header=BB119_21 Depth=2
	v_mov_b64_e32 v[8:9], 0
	v_mov_b64_e32 v[10:11], 0
.LBB119_20:                             ;   in Loop: Header=BB119_21 Depth=2
	s_wait_kmcnt 0x0
	s_delay_alu instid0(VALU_DEP_1) | instskip(NEXT) | instid1(VALU_DEP_2)
	v_dual_mul_f64 v[12:13], s[6:7], v[8:9] :: v_dual_lshlrev_b32 v7, 4, v15
	v_mul_f64_e32 v[16:17], s[6:7], v[10:11]
	v_dual_add_nc_u32 v6, s9, v6 :: v_dual_add_nc_u32 v15, s19, v15
	s_delay_alu instid0(VALU_DEP_1) | instskip(SKIP_1) | instid1(VALU_DEP_4)
	v_cmp_le_i32_e32 vcc_lo, s40, v15
	s_or_b32 s29, vcc_lo, s29
	v_fma_f64 v[12:13], v[10:11], s[4:5], -v[12:13]
	s_delay_alu instid0(VALU_DEP_4)
	v_fmac_f64_e32 v[16:17], s[4:5], v[8:9]
	v_dual_add_nc_u32 v8, s41, v7 :: v_dual_add_nc_u32 v7, 0, v7
	ds_load_2addr_b64 v[8:11], v8 offset0:2 offset1:3
	s_wait_dscnt 0x0
	v_add_f64_e32 v[8:9], v[8:9], v[12:13]
	v_add_f64_e32 v[10:11], v[10:11], v[16:17]
	ds_store_2addr_b64 v7, v[8:9], v[10:11] offset1:1
	s_and_not1_b32 exec_lo, exec_lo, s29
	s_cbranch_execz .LBB119_24
.LBB119_21:                             ;   Parent Loop BB119_8 Depth=1
                                        ; =>  This Loop Header: Depth=2
                                        ;       Child Loop BB119_23 Depth 3
	s_and_not1_b32 vcc_lo, exec_lo, s27
	s_cbranch_vccnz .LBB119_19
; %bb.22:                               ;   in Loop: Header=BB119_21 Depth=2
	v_ashrrev_i32_e32 v7, 31, v6
	v_mov_b64_e32 v[8:9], 0
	v_mov_b64_e32 v[10:11], 0
	s_mov_b32 s43, 0
	s_mov_b64 s[34:35], s[0:1]
	v_lshl_add_u64 v[12:13], v[6:7], 4, s[30:31]
.LBB119_23:                             ;   Parent Loop BB119_8 Depth=1
                                        ;     Parent Loop BB119_21 Depth=2
                                        ; =>    This Inner Loop Header: Depth=3
	global_load_b128 v[16:19], v[12:13], off offset:-8
	s_add_nc_u64 s[48:49], s[34:35], -8
	s_wait_xcnt 0x0
	v_add_nc_u64_e32 v[12:13], 16, v[12:13]
	s_load_b128 s[44:47], s[48:49], 0x0
	s_add_co_i32 s43, s43, 1
	s_add_nc_u64 s[34:35], s[34:35], 16
	s_cmp_eq_u32 s38, s43
	s_wait_loadcnt 0x0
	s_wait_kmcnt 0x0
	v_mul_f64_e32 v[20:21], s[46:47], v[18:19]
	v_mul_f64_e32 v[18:19], s[44:45], v[18:19]
	s_delay_alu instid0(VALU_DEP_2) | instskip(NEXT) | instid1(VALU_DEP_2)
	v_fmac_f64_e32 v[20:21], s[44:45], v[16:17]
	v_fma_f64 v[16:17], v[16:17], s[46:47], -v[18:19]
	s_delay_alu instid0(VALU_DEP_2) | instskip(NEXT) | instid1(VALU_DEP_2)
	v_add_f64_e32 v[10:11], v[10:11], v[20:21]
	v_add_f64_e32 v[8:9], v[8:9], v[16:17]
	s_cbranch_scc0 .LBB119_23
	s_branch .LBB119_20
.LBB119_24:                             ;   in Loop: Header=BB119_8 Depth=1
	s_or_b32 exec_lo, exec_lo, s42
.LBB119_25:                             ;   in Loop: Header=BB119_8 Depth=1
	s_delay_alu instid0(SALU_CYCLE_1)
	s_mov_b32 s0, exec_lo
	s_wait_dscnt 0x0
	s_barrier_signal -1
	s_barrier_wait -1
	v_cmpx_gt_i32_e64 s40, v0
	s_cbranch_execz .LBB119_7
; %bb.26:                               ;   in Loop: Header=BB119_8 Depth=1
	v_dual_mov_b32 v10, v3 :: v_dual_mov_b32 v11, v0
	s_mov_b32 s1, 0
.LBB119_27:                             ;   Parent Loop BB119_8 Depth=1
                                        ; =>  This Loop Header: Depth=2
                                        ;       Child Loop BB119_28 Depth 3
	v_mov_b64_e32 v[6:7], 0
	v_mov_b64_e32 v[8:9], 0
	s_delay_alu instid0(VALU_DEP_3)
	v_mov_b32_e32 v12, v10
	s_mov_b32 s5, -1
	s_mov_b32 s4, 0
	s_mov_b32 s6, 0
.LBB119_28:                             ;   Parent Loop BB119_8 Depth=1
                                        ;     Parent Loop BB119_27 Depth=2
                                        ; =>    This Inner Loop Header: Depth=3
	s_delay_alu instid0(SALU_CYCLE_1)
	v_mov_b32_e32 v13, s6
	s_add_co_i32 s5, s5, 1
	s_add_co_i32 s6, s6, 16
	v_cmp_eq_u32_e32 vcc_lo, s5, v11
	ds_load_2addr_b64 v[16:19], v12 offset1:1
	ds_load_2addr_b64 v[20:23], v13 offset1:1
	v_add_nc_u32_e32 v12, s33, v12
	s_or_b32 s4, vcc_lo, s4
	s_wait_dscnt 0x0
	v_mul_f64_e32 v[24:25], v[22:23], v[18:19]
	v_mul_f64_e32 v[18:19], v[20:21], v[18:19]
	s_delay_alu instid0(VALU_DEP_2) | instskip(NEXT) | instid1(VALU_DEP_2)
	v_fma_f64 v[20:21], v[20:21], v[16:17], -v[24:25]
	v_fmac_f64_e32 v[18:19], v[22:23], v[16:17]
	s_delay_alu instid0(VALU_DEP_2) | instskip(NEXT) | instid1(VALU_DEP_2)
	v_add_f64_e32 v[6:7], v[6:7], v[20:21]
	v_add_f64_e32 v[8:9], v[8:9], v[18:19]
	s_and_not1_b32 exec_lo, exec_lo, s4
	s_cbranch_execnz .LBB119_28
; %bb.29:                               ;   in Loop: Header=BB119_27 Depth=2
	s_or_b32 exec_lo, exec_lo, s4
	v_lshl_add_u32 v12, v11, 4, s41
	v_dual_add_nc_u32 v11, s19, v11 :: v_dual_add_nc_u32 v10, s20, v10
	ds_store_2addr_b64 v12, v[6:7], v[8:9] offset0:2 offset1:3
	v_cmp_le_i32_e32 vcc_lo, s40, v11
	s_or_b32 s1, vcc_lo, s1
	s_delay_alu instid0(SALU_CYCLE_1)
	s_and_not1_b32 exec_lo, exec_lo, s1
	s_cbranch_execnz .LBB119_27
	s_branch .LBB119_7
.LBB119_30:
	s_and_saveexec_b32 s0, s2
	s_cbranch_execz .LBB119_35
; %bb.31:
	s_lshl_b32 s0, s18, 4
	s_mov_b32 s1, 0
	v_add3_u32 v2, 0, s0, v2
	s_lshl_b32 s2, s19, 4
.LBB119_32:                             ; =>This Loop Header: Depth=1
                                        ;     Child Loop BB119_33 Depth 2
	s_delay_alu instid0(VALU_DEP_1)
	v_dual_mov_b32 v3, v2 :: v_dual_mov_b32 v4, v0
	s_mov_b32 s4, 0
	s_mov_b32 s5, 0
.LBB119_33:                             ;   Parent Loop BB119_32 Depth=1
                                        ; =>  This Inner Loop Header: Depth=2
	ds_load_2addr_b64 v[6:9], v3 offset1:1
	s_add_co_i32 s5, s5, 1
	v_add_nc_u32_e32 v3, s0, v3
	v_cmp_eq_u32_e32 vcc_lo, s5, v1
	s_or_b32 s4, vcc_lo, s4
	s_wait_dscnt 0x0
	global_store_b128 v4, v[6:9], s[10:11] scale_offset
	s_wait_xcnt 0x0
	v_add_nc_u32_e32 v4, s3, v4
	s_and_not1_b32 exec_lo, exec_lo, s4
	s_cbranch_execnz .LBB119_33
; %bb.34:                               ;   in Loop: Header=BB119_32 Depth=1
	s_or_b32 exec_lo, exec_lo, s4
	v_dual_add_nc_u32 v0, s19, v0 :: v_dual_add_nc_u32 v1, s19, v1
	v_add_nc_u32_e32 v2, s2, v2
	s_delay_alu instid0(VALU_DEP_2) | instskip(SKIP_1) | instid1(SALU_CYCLE_1)
	v_cmp_le_i32_e32 vcc_lo, s18, v0
	s_or_b32 s1, vcc_lo, s1
	s_and_not1_b32 exec_lo, exec_lo, s1
	s_cbranch_execnz .LBB119_32
.LBB119_35:
	s_endpgm
	.section	.rodata,"a",@progbits
	.p2align	6, 0x0
	.amdhsa_kernel _ZN9rocsolver6v33100L21larft_kernel_backwardI19rocblas_complex_numIdEPS3_EEv15rocblas_storev_iiT0_iilPT_lS8_il
		.amdhsa_group_segment_fixed_size 0
		.amdhsa_private_segment_fixed_size 0
		.amdhsa_kernarg_size 336
		.amdhsa_user_sgpr_count 2
		.amdhsa_user_sgpr_dispatch_ptr 0
		.amdhsa_user_sgpr_queue_ptr 0
		.amdhsa_user_sgpr_kernarg_segment_ptr 1
		.amdhsa_user_sgpr_dispatch_id 0
		.amdhsa_user_sgpr_kernarg_preload_length 0
		.amdhsa_user_sgpr_kernarg_preload_offset 0
		.amdhsa_user_sgpr_private_segment_size 0
		.amdhsa_wavefront_size32 1
		.amdhsa_uses_dynamic_stack 0
		.amdhsa_enable_private_segment 0
		.amdhsa_system_sgpr_workgroup_id_x 1
		.amdhsa_system_sgpr_workgroup_id_y 1
		.amdhsa_system_sgpr_workgroup_id_z 0
		.amdhsa_system_sgpr_workgroup_info 0
		.amdhsa_system_vgpr_workitem_id 0
		.amdhsa_next_free_vgpr 26
		.amdhsa_next_free_sgpr 50
		.amdhsa_named_barrier_count 0
		.amdhsa_reserve_vcc 1
		.amdhsa_float_round_mode_32 0
		.amdhsa_float_round_mode_16_64 0
		.amdhsa_float_denorm_mode_32 3
		.amdhsa_float_denorm_mode_16_64 3
		.amdhsa_fp16_overflow 0
		.amdhsa_memory_ordered 1
		.amdhsa_forward_progress 1
		.amdhsa_inst_pref_size 13
		.amdhsa_round_robin_scheduling 0
		.amdhsa_exception_fp_ieee_invalid_op 0
		.amdhsa_exception_fp_denorm_src 0
		.amdhsa_exception_fp_ieee_div_zero 0
		.amdhsa_exception_fp_ieee_overflow 0
		.amdhsa_exception_fp_ieee_underflow 0
		.amdhsa_exception_fp_ieee_inexact 0
		.amdhsa_exception_int_div_zero 0
	.end_amdhsa_kernel
	.section	.text._ZN9rocsolver6v33100L21larft_kernel_backwardI19rocblas_complex_numIdEPS3_EEv15rocblas_storev_iiT0_iilPT_lS8_il,"axG",@progbits,_ZN9rocsolver6v33100L21larft_kernel_backwardI19rocblas_complex_numIdEPS3_EEv15rocblas_storev_iiT0_iilPT_lS8_il,comdat
.Lfunc_end119:
	.size	_ZN9rocsolver6v33100L21larft_kernel_backwardI19rocblas_complex_numIdEPS3_EEv15rocblas_storev_iiT0_iilPT_lS8_il, .Lfunc_end119-_ZN9rocsolver6v33100L21larft_kernel_backwardI19rocblas_complex_numIdEPS3_EEv15rocblas_storev_iiT0_iilPT_lS8_il
                                        ; -- End function
	.set _ZN9rocsolver6v33100L21larft_kernel_backwardI19rocblas_complex_numIdEPS3_EEv15rocblas_storev_iiT0_iilPT_lS8_il.num_vgpr, 26
	.set _ZN9rocsolver6v33100L21larft_kernel_backwardI19rocblas_complex_numIdEPS3_EEv15rocblas_storev_iiT0_iilPT_lS8_il.num_agpr, 0
	.set _ZN9rocsolver6v33100L21larft_kernel_backwardI19rocblas_complex_numIdEPS3_EEv15rocblas_storev_iiT0_iilPT_lS8_il.numbered_sgpr, 50
	.set _ZN9rocsolver6v33100L21larft_kernel_backwardI19rocblas_complex_numIdEPS3_EEv15rocblas_storev_iiT0_iilPT_lS8_il.num_named_barrier, 0
	.set _ZN9rocsolver6v33100L21larft_kernel_backwardI19rocblas_complex_numIdEPS3_EEv15rocblas_storev_iiT0_iilPT_lS8_il.private_seg_size, 0
	.set _ZN9rocsolver6v33100L21larft_kernel_backwardI19rocblas_complex_numIdEPS3_EEv15rocblas_storev_iiT0_iilPT_lS8_il.uses_vcc, 1
	.set _ZN9rocsolver6v33100L21larft_kernel_backwardI19rocblas_complex_numIdEPS3_EEv15rocblas_storev_iiT0_iilPT_lS8_il.uses_flat_scratch, 0
	.set _ZN9rocsolver6v33100L21larft_kernel_backwardI19rocblas_complex_numIdEPS3_EEv15rocblas_storev_iiT0_iilPT_lS8_il.has_dyn_sized_stack, 0
	.set _ZN9rocsolver6v33100L21larft_kernel_backwardI19rocblas_complex_numIdEPS3_EEv15rocblas_storev_iiT0_iilPT_lS8_il.has_recursion, 0
	.set _ZN9rocsolver6v33100L21larft_kernel_backwardI19rocblas_complex_numIdEPS3_EEv15rocblas_storev_iiT0_iilPT_lS8_il.has_indirect_call, 0
	.section	.AMDGPU.csdata,"",@progbits
; Kernel info:
; codeLenInByte = 1624
; TotalNumSgprs: 52
; NumVgprs: 26
; ScratchSize: 0
; MemoryBound: 1
; FloatMode: 240
; IeeeMode: 1
; LDSByteSize: 0 bytes/workgroup (compile time only)
; SGPRBlocks: 0
; VGPRBlocks: 1
; NumSGPRsForWavesPerEU: 52
; NumVGPRsForWavesPerEU: 26
; NamedBarCnt: 0
; Occupancy: 16
; WaveLimiterHint : 0
; COMPUTE_PGM_RSRC2:SCRATCH_EN: 0
; COMPUTE_PGM_RSRC2:USER_SGPR: 2
; COMPUTE_PGM_RSRC2:TRAP_HANDLER: 0
; COMPUTE_PGM_RSRC2:TGID_X_EN: 1
; COMPUTE_PGM_RSRC2:TGID_Y_EN: 1
; COMPUTE_PGM_RSRC2:TGID_Z_EN: 0
; COMPUTE_PGM_RSRC2:TIDIG_COMP_CNT: 0
	.section	.text._ZN9rocsolver6v33100L9copymatA1I19rocblas_complex_numIdEPS3_EEviiT0_iilPT_,"axG",@progbits,_ZN9rocsolver6v33100L9copymatA1I19rocblas_complex_numIdEPS3_EEviiT0_iilPT_,comdat
	.globl	_ZN9rocsolver6v33100L9copymatA1I19rocblas_complex_numIdEPS3_EEviiT0_iilPT_ ; -- Begin function _ZN9rocsolver6v33100L9copymatA1I19rocblas_complex_numIdEPS3_EEviiT0_iilPT_
	.p2align	8
	.type	_ZN9rocsolver6v33100L9copymatA1I19rocblas_complex_numIdEPS3_EEviiT0_iilPT_,@function
_ZN9rocsolver6v33100L9copymatA1I19rocblas_complex_numIdEPS3_EEviiT0_iilPT_: ; @_ZN9rocsolver6v33100L9copymatA1I19rocblas_complex_numIdEPS3_EEviiT0_iilPT_
; %bb.0:
	s_clause 0x1
	s_load_b32 s2, s[0:1], 0x34
	s_load_b64 s[12:13], s[0:1], 0x0
	s_bfe_u32 s4, ttmp6, 0x40010
	s_bfe_u32 s7, ttmp6, 0x4000c
	s_and_b32 s3, ttmp7, 0xffff
	s_add_co_i32 s4, s4, 1
	s_add_co_i32 s7, s7, 1
	s_bfe_u32 s5, ttmp6, 0x40004
	s_and_b32 s6, ttmp6, 15
	s_mul_i32 s4, s3, s4
	s_mul_i32 s7, ttmp9, s7
	s_getreg_b32 s14, hwreg(HW_REG_IB_STS2, 6, 4)
	v_and_b32_e32 v1, 0x3ff, v0
	v_bfe_u32 v0, v0, 10, 10
	s_add_co_i32 s5, s5, s4
	s_add_co_i32 s6, s6, s7
	s_wait_kmcnt 0x0
	s_lshr_b32 s4, s2, 16
	s_and_b32 s2, s2, 0xffff
	s_cmp_eq_u32 s14, 0
	s_cselect_b32 s3, s3, s5
	s_cselect_b32 s5, ttmp9, s6
	v_mad_u32 v0, s3, s4, v0
	v_mad_u32 v1, s5, s2, v1
	s_mov_b32 s3, 0
	s_delay_alu instid0(VALU_DEP_2) | instskip(NEXT) | instid1(VALU_DEP_2)
	v_cmp_gt_u32_e32 vcc_lo, s12, v0
	v_cmp_gt_u32_e64 s2, s13, v1
	s_and_b32 s2, s2, vcc_lo
	s_delay_alu instid0(SALU_CYCLE_1)
	s_and_saveexec_b32 s4, s2
	s_cbranch_execz .LBB120_2
; %bb.1:
	s_load_b256 s[4:11], s[0:1], 0x8
	s_wait_xcnt 0x0
	s_bfe_u32 s0, ttmp6, 0x40014
	s_lshr_b32 s2, ttmp7, 16
	s_add_co_i32 s0, s0, 1
	s_bfe_u32 s16, ttmp6, 0x40008
	s_mul_i32 s0, s2, s0
	s_ashr_i32 s1, s12, 31
	s_ashr_i32 s15, s13, 31
	s_add_co_i32 s16, s16, s0
	s_cmp_eq_u32 s14, 0
	s_mov_b32 s0, s12
	s_cselect_b32 s2, s2, s16
	s_mov_b32 s14, s13
	s_mul_u64 s[0:1], s[0:1], s[2:3]
	s_delay_alu instid0(SALU_CYCLE_1) | instskip(NEXT) | instid1(SALU_CYCLE_1)
	s_mul_u64 s[0:1], s[0:1], s[14:15]
	s_lshl_b64 s[0:1], s[0:1], 4
	s_wait_kmcnt 0x0
	v_mad_u32 v2, v1, s7, v0
	s_mul_u64 s[8:9], s[8:9], s[2:3]
	s_ashr_i32 s7, s6, 31
	s_lshl_b64 s[8:9], s[8:9], 4
	s_lshl_b64 s[6:7], s[6:7], 4
	s_add_nc_u64 s[4:5], s[4:5], s[8:9]
	v_mad_u32 v0, v1, s12, v0
	s_add_nc_u64 s[4:5], s[4:5], s[6:7]
	s_add_nc_u64 s[0:1], s[10:11], s[0:1]
	global_load_b128 v[2:5], v2, s[4:5] scale_offset
	s_wait_loadcnt 0x0
	global_store_b128 v0, v[2:5], s[0:1] scale_offset
.LBB120_2:
	s_endpgm
	.section	.rodata,"a",@progbits
	.p2align	6, 0x0
	.amdhsa_kernel _ZN9rocsolver6v33100L9copymatA1I19rocblas_complex_numIdEPS3_EEviiT0_iilPT_
		.amdhsa_group_segment_fixed_size 0
		.amdhsa_private_segment_fixed_size 0
		.amdhsa_kernarg_size 296
		.amdhsa_user_sgpr_count 2
		.amdhsa_user_sgpr_dispatch_ptr 0
		.amdhsa_user_sgpr_queue_ptr 0
		.amdhsa_user_sgpr_kernarg_segment_ptr 1
		.amdhsa_user_sgpr_dispatch_id 0
		.amdhsa_user_sgpr_kernarg_preload_length 0
		.amdhsa_user_sgpr_kernarg_preload_offset 0
		.amdhsa_user_sgpr_private_segment_size 0
		.amdhsa_wavefront_size32 1
		.amdhsa_uses_dynamic_stack 0
		.amdhsa_enable_private_segment 0
		.amdhsa_system_sgpr_workgroup_id_x 1
		.amdhsa_system_sgpr_workgroup_id_y 1
		.amdhsa_system_sgpr_workgroup_id_z 1
		.amdhsa_system_sgpr_workgroup_info 0
		.amdhsa_system_vgpr_workitem_id 1
		.amdhsa_next_free_vgpr 6
		.amdhsa_next_free_sgpr 17
		.amdhsa_named_barrier_count 0
		.amdhsa_reserve_vcc 1
		.amdhsa_float_round_mode_32 0
		.amdhsa_float_round_mode_16_64 0
		.amdhsa_float_denorm_mode_32 3
		.amdhsa_float_denorm_mode_16_64 3
		.amdhsa_fp16_overflow 0
		.amdhsa_memory_ordered 1
		.amdhsa_forward_progress 1
		.amdhsa_inst_pref_size 3
		.amdhsa_round_robin_scheduling 0
		.amdhsa_exception_fp_ieee_invalid_op 0
		.amdhsa_exception_fp_denorm_src 0
		.amdhsa_exception_fp_ieee_div_zero 0
		.amdhsa_exception_fp_ieee_overflow 0
		.amdhsa_exception_fp_ieee_underflow 0
		.amdhsa_exception_fp_ieee_inexact 0
		.amdhsa_exception_int_div_zero 0
	.end_amdhsa_kernel
	.section	.text._ZN9rocsolver6v33100L9copymatA1I19rocblas_complex_numIdEPS3_EEviiT0_iilPT_,"axG",@progbits,_ZN9rocsolver6v33100L9copymatA1I19rocblas_complex_numIdEPS3_EEviiT0_iilPT_,comdat
.Lfunc_end120:
	.size	_ZN9rocsolver6v33100L9copymatA1I19rocblas_complex_numIdEPS3_EEviiT0_iilPT_, .Lfunc_end120-_ZN9rocsolver6v33100L9copymatA1I19rocblas_complex_numIdEPS3_EEviiT0_iilPT_
                                        ; -- End function
	.set _ZN9rocsolver6v33100L9copymatA1I19rocblas_complex_numIdEPS3_EEviiT0_iilPT_.num_vgpr, 6
	.set _ZN9rocsolver6v33100L9copymatA1I19rocblas_complex_numIdEPS3_EEviiT0_iilPT_.num_agpr, 0
	.set _ZN9rocsolver6v33100L9copymatA1I19rocblas_complex_numIdEPS3_EEviiT0_iilPT_.numbered_sgpr, 17
	.set _ZN9rocsolver6v33100L9copymatA1I19rocblas_complex_numIdEPS3_EEviiT0_iilPT_.num_named_barrier, 0
	.set _ZN9rocsolver6v33100L9copymatA1I19rocblas_complex_numIdEPS3_EEviiT0_iilPT_.private_seg_size, 0
	.set _ZN9rocsolver6v33100L9copymatA1I19rocblas_complex_numIdEPS3_EEviiT0_iilPT_.uses_vcc, 1
	.set _ZN9rocsolver6v33100L9copymatA1I19rocblas_complex_numIdEPS3_EEviiT0_iilPT_.uses_flat_scratch, 0
	.set _ZN9rocsolver6v33100L9copymatA1I19rocblas_complex_numIdEPS3_EEviiT0_iilPT_.has_dyn_sized_stack, 0
	.set _ZN9rocsolver6v33100L9copymatA1I19rocblas_complex_numIdEPS3_EEviiT0_iilPT_.has_recursion, 0
	.set _ZN9rocsolver6v33100L9copymatA1I19rocblas_complex_numIdEPS3_EEviiT0_iilPT_.has_indirect_call, 0
	.section	.AMDGPU.csdata,"",@progbits
; Kernel info:
; codeLenInByte = 344
; TotalNumSgprs: 19
; NumVgprs: 6
; ScratchSize: 0
; MemoryBound: 0
; FloatMode: 240
; IeeeMode: 1
; LDSByteSize: 0 bytes/workgroup (compile time only)
; SGPRBlocks: 0
; VGPRBlocks: 0
; NumSGPRsForWavesPerEU: 19
; NumVGPRsForWavesPerEU: 6
; NamedBarCnt: 0
; Occupancy: 16
; WaveLimiterHint : 0
; COMPUTE_PGM_RSRC2:SCRATCH_EN: 0
; COMPUTE_PGM_RSRC2:USER_SGPR: 2
; COMPUTE_PGM_RSRC2:TRAP_HANDLER: 0
; COMPUTE_PGM_RSRC2:TGID_X_EN: 1
; COMPUTE_PGM_RSRC2:TGID_Y_EN: 1
; COMPUTE_PGM_RSRC2:TGID_Z_EN: 1
; COMPUTE_PGM_RSRC2:TIDIG_COMP_CNT: 1
	.section	.text._ZN9rocsolver6v33100L8addmatA1I19rocblas_complex_numIdEPS3_EEviiT0_iilPT_,"axG",@progbits,_ZN9rocsolver6v33100L8addmatA1I19rocblas_complex_numIdEPS3_EEviiT0_iilPT_,comdat
	.globl	_ZN9rocsolver6v33100L8addmatA1I19rocblas_complex_numIdEPS3_EEviiT0_iilPT_ ; -- Begin function _ZN9rocsolver6v33100L8addmatA1I19rocblas_complex_numIdEPS3_EEviiT0_iilPT_
	.p2align	8
	.type	_ZN9rocsolver6v33100L8addmatA1I19rocblas_complex_numIdEPS3_EEviiT0_iilPT_,@function
_ZN9rocsolver6v33100L8addmatA1I19rocblas_complex_numIdEPS3_EEviiT0_iilPT_: ; @_ZN9rocsolver6v33100L8addmatA1I19rocblas_complex_numIdEPS3_EEviiT0_iilPT_
; %bb.0:
	s_clause 0x1
	s_load_b32 s2, s[0:1], 0x34
	s_load_b64 s[12:13], s[0:1], 0x0
	s_bfe_u32 s4, ttmp6, 0x40010
	s_bfe_u32 s7, ttmp6, 0x4000c
	s_and_b32 s3, ttmp7, 0xffff
	s_add_co_i32 s4, s4, 1
	s_add_co_i32 s7, s7, 1
	s_bfe_u32 s5, ttmp6, 0x40004
	s_and_b32 s6, ttmp6, 15
	s_mul_i32 s4, s3, s4
	s_mul_i32 s7, ttmp9, s7
	s_getreg_b32 s14, hwreg(HW_REG_IB_STS2, 6, 4)
	v_and_b32_e32 v1, 0x3ff, v0
	v_bfe_u32 v0, v0, 10, 10
	s_add_co_i32 s5, s5, s4
	s_add_co_i32 s6, s6, s7
	s_wait_kmcnt 0x0
	s_lshr_b32 s4, s2, 16
	s_and_b32 s2, s2, 0xffff
	s_cmp_eq_u32 s14, 0
	s_cselect_b32 s3, s3, s5
	s_cselect_b32 s5, ttmp9, s6
	v_mad_u32 v0, s3, s4, v0
	v_mad_u32 v1, s5, s2, v1
	s_mov_b32 s3, 0
	s_delay_alu instid0(VALU_DEP_2) | instskip(NEXT) | instid1(VALU_DEP_2)
	v_cmp_gt_u32_e32 vcc_lo, s12, v0
	v_cmp_gt_u32_e64 s2, s13, v1
	s_and_b32 s2, s2, vcc_lo
	s_delay_alu instid0(SALU_CYCLE_1)
	s_and_saveexec_b32 s4, s2
	s_cbranch_execz .LBB121_2
; %bb.1:
	s_load_b256 s[4:11], s[0:1], 0x8
	s_wait_xcnt 0x0
	s_bfe_u32 s0, ttmp6, 0x40014
	s_lshr_b32 s2, ttmp7, 16
	s_add_co_i32 s0, s0, 1
	s_bfe_u32 s16, ttmp6, 0x40008
	s_mul_i32 s0, s2, s0
	s_ashr_i32 s1, s12, 31
	s_ashr_i32 s15, s13, 31
	s_add_co_i32 s16, s16, s0
	s_cmp_eq_u32 s14, 0
	v_mad_u32 v8, v1, s12, v0
	s_mov_b32 s0, s12
	s_cselect_b32 s2, s2, s16
	s_mov_b32 s14, s13
	s_mul_u64 s[0:1], s[0:1], s[2:3]
	s_delay_alu instid0(SALU_CYCLE_1) | instskip(NEXT) | instid1(SALU_CYCLE_1)
	s_mul_u64 s[0:1], s[0:1], s[14:15]
	s_lshl_b64 s[0:1], s[0:1], 4
	s_wait_kmcnt 0x0
	v_mad_u32 v9, v1, s7, v0
	s_mul_u64 s[2:3], s[8:9], s[2:3]
	s_ashr_i32 s7, s6, 31
	s_lshl_b64 s[2:3], s[2:3], 4
	s_lshl_b64 s[6:7], s[6:7], 4
	s_add_nc_u64 s[2:3], s[4:5], s[2:3]
	s_add_nc_u64 s[0:1], s[10:11], s[0:1]
	;; [unrolled: 1-line block ×3, first 2 shown]
	global_load_b128 v[0:3], v8, s[0:1] scale_offset
	global_load_b128 v[4:7], v9, s[2:3] scale_offset
	s_wait_loadcnt 0x0
	v_add_f64_e64 v[0:1], v[4:5], -v[0:1]
	v_add_f64_e64 v[2:3], v[6:7], -v[2:3]
	global_store_b128 v9, v[0:3], s[2:3] scale_offset
.LBB121_2:
	s_endpgm
	.section	.rodata,"a",@progbits
	.p2align	6, 0x0
	.amdhsa_kernel _ZN9rocsolver6v33100L8addmatA1I19rocblas_complex_numIdEPS3_EEviiT0_iilPT_
		.amdhsa_group_segment_fixed_size 0
		.amdhsa_private_segment_fixed_size 0
		.amdhsa_kernarg_size 296
		.amdhsa_user_sgpr_count 2
		.amdhsa_user_sgpr_dispatch_ptr 0
		.amdhsa_user_sgpr_queue_ptr 0
		.amdhsa_user_sgpr_kernarg_segment_ptr 1
		.amdhsa_user_sgpr_dispatch_id 0
		.amdhsa_user_sgpr_kernarg_preload_length 0
		.amdhsa_user_sgpr_kernarg_preload_offset 0
		.amdhsa_user_sgpr_private_segment_size 0
		.amdhsa_wavefront_size32 1
		.amdhsa_uses_dynamic_stack 0
		.amdhsa_enable_private_segment 0
		.amdhsa_system_sgpr_workgroup_id_x 1
		.amdhsa_system_sgpr_workgroup_id_y 1
		.amdhsa_system_sgpr_workgroup_id_z 1
		.amdhsa_system_sgpr_workgroup_info 0
		.amdhsa_system_vgpr_workitem_id 1
		.amdhsa_next_free_vgpr 10
		.amdhsa_next_free_sgpr 17
		.amdhsa_named_barrier_count 0
		.amdhsa_reserve_vcc 1
		.amdhsa_float_round_mode_32 0
		.amdhsa_float_round_mode_16_64 0
		.amdhsa_float_denorm_mode_32 3
		.amdhsa_float_denorm_mode_16_64 3
		.amdhsa_fp16_overflow 0
		.amdhsa_memory_ordered 1
		.amdhsa_forward_progress 1
		.amdhsa_inst_pref_size 3
		.amdhsa_round_robin_scheduling 0
		.amdhsa_exception_fp_ieee_invalid_op 0
		.amdhsa_exception_fp_denorm_src 0
		.amdhsa_exception_fp_ieee_div_zero 0
		.amdhsa_exception_fp_ieee_overflow 0
		.amdhsa_exception_fp_ieee_underflow 0
		.amdhsa_exception_fp_ieee_inexact 0
		.amdhsa_exception_int_div_zero 0
	.end_amdhsa_kernel
	.section	.text._ZN9rocsolver6v33100L8addmatA1I19rocblas_complex_numIdEPS3_EEviiT0_iilPT_,"axG",@progbits,_ZN9rocsolver6v33100L8addmatA1I19rocblas_complex_numIdEPS3_EEviiT0_iilPT_,comdat
.Lfunc_end121:
	.size	_ZN9rocsolver6v33100L8addmatA1I19rocblas_complex_numIdEPS3_EEviiT0_iilPT_, .Lfunc_end121-_ZN9rocsolver6v33100L8addmatA1I19rocblas_complex_numIdEPS3_EEviiT0_iilPT_
                                        ; -- End function
	.set _ZN9rocsolver6v33100L8addmatA1I19rocblas_complex_numIdEPS3_EEviiT0_iilPT_.num_vgpr, 10
	.set _ZN9rocsolver6v33100L8addmatA1I19rocblas_complex_numIdEPS3_EEviiT0_iilPT_.num_agpr, 0
	.set _ZN9rocsolver6v33100L8addmatA1I19rocblas_complex_numIdEPS3_EEviiT0_iilPT_.numbered_sgpr, 17
	.set _ZN9rocsolver6v33100L8addmatA1I19rocblas_complex_numIdEPS3_EEviiT0_iilPT_.num_named_barrier, 0
	.set _ZN9rocsolver6v33100L8addmatA1I19rocblas_complex_numIdEPS3_EEviiT0_iilPT_.private_seg_size, 0
	.set _ZN9rocsolver6v33100L8addmatA1I19rocblas_complex_numIdEPS3_EEviiT0_iilPT_.uses_vcc, 1
	.set _ZN9rocsolver6v33100L8addmatA1I19rocblas_complex_numIdEPS3_EEviiT0_iilPT_.uses_flat_scratch, 0
	.set _ZN9rocsolver6v33100L8addmatA1I19rocblas_complex_numIdEPS3_EEviiT0_iilPT_.has_dyn_sized_stack, 0
	.set _ZN9rocsolver6v33100L8addmatA1I19rocblas_complex_numIdEPS3_EEviiT0_iilPT_.has_recursion, 0
	.set _ZN9rocsolver6v33100L8addmatA1I19rocblas_complex_numIdEPS3_EEviiT0_iilPT_.has_indirect_call, 0
	.section	.AMDGPU.csdata,"",@progbits
; Kernel info:
; codeLenInByte = 372
; TotalNumSgprs: 19
; NumVgprs: 10
; ScratchSize: 0
; MemoryBound: 0
; FloatMode: 240
; IeeeMode: 1
; LDSByteSize: 0 bytes/workgroup (compile time only)
; SGPRBlocks: 0
; VGPRBlocks: 0
; NumSGPRsForWavesPerEU: 19
; NumVGPRsForWavesPerEU: 10
; NamedBarCnt: 0
; Occupancy: 16
; WaveLimiterHint : 0
; COMPUTE_PGM_RSRC2:SCRATCH_EN: 0
; COMPUTE_PGM_RSRC2:USER_SGPR: 2
; COMPUTE_PGM_RSRC2:TRAP_HANDLER: 0
; COMPUTE_PGM_RSRC2:TGID_X_EN: 1
; COMPUTE_PGM_RSRC2:TGID_Y_EN: 1
; COMPUTE_PGM_RSRC2:TGID_Z_EN: 1
; COMPUTE_PGM_RSRC2:TIDIG_COMP_CNT: 1
	.section	.text._ZN9rocsolver6v33100L8set_diagI19rocblas_complex_numIdEiS3_PS3_TnNSt9enable_ifIXoont18rocblas_is_complexIT_E18rocblas_is_complexIT1_EEiE4typeELi0EEEvPS7_llT2_lT0_lSC_b,"axG",@progbits,_ZN9rocsolver6v33100L8set_diagI19rocblas_complex_numIdEiS3_PS3_TnNSt9enable_ifIXoont18rocblas_is_complexIT_E18rocblas_is_complexIT1_EEiE4typeELi0EEEvPS7_llT2_lT0_lSC_b,comdat
	.globl	_ZN9rocsolver6v33100L8set_diagI19rocblas_complex_numIdEiS3_PS3_TnNSt9enable_ifIXoont18rocblas_is_complexIT_E18rocblas_is_complexIT1_EEiE4typeELi0EEEvPS7_llT2_lT0_lSC_b ; -- Begin function _ZN9rocsolver6v33100L8set_diagI19rocblas_complex_numIdEiS3_PS3_TnNSt9enable_ifIXoont18rocblas_is_complexIT_E18rocblas_is_complexIT1_EEiE4typeELi0EEEvPS7_llT2_lT0_lSC_b
	.p2align	8
	.type	_ZN9rocsolver6v33100L8set_diagI19rocblas_complex_numIdEiS3_PS3_TnNSt9enable_ifIXoont18rocblas_is_complexIT_E18rocblas_is_complexIT1_EEiE4typeELi0EEEvPS7_llT2_lT0_lSC_b,@function
_ZN9rocsolver6v33100L8set_diagI19rocblas_complex_numIdEiS3_PS3_TnNSt9enable_ifIXoont18rocblas_is_complexIT_E18rocblas_is_complexIT1_EEiE4typeELi0EEEvPS7_llT2_lT0_lSC_b: ; @_ZN9rocsolver6v33100L8set_diagI19rocblas_complex_numIdEiS3_PS3_TnNSt9enable_ifIXoont18rocblas_is_complexIT_E18rocblas_is_complexIT1_EEiE4typeELi0EEEvPS7_llT2_lT0_lSC_b
; %bb.0:
	s_load_u16 s4, s[0:1], 0x4e
	s_bfe_u32 s2, ttmp6, 0x40010
	s_bfe_u32 s6, ttmp6, 0x40004
	s_add_co_i32 s5, s2, 1
	s_load_b64 s[2:3], s[0:1], 0x38
	s_mul_i32 s5, ttmp7, s5
	s_getreg_b32 s12, hwreg(HW_REG_IB_STS2, 6, 4)
	s_add_co_i32 s6, s6, s5
	v_bfe_u32 v0, v0, 10, 10
	s_cmp_eq_u32 s12, 0
	s_cselect_b32 s5, ttmp7, s6
	s_wait_kmcnt 0x0
	s_delay_alu instid0(VALU_DEP_1) | instskip(NEXT) | instid1(VALU_DEP_1)
	v_mad_u32 v0, s5, s4, v0
	v_cmp_gt_i32_e32 vcc_lo, s2, v0
	s_and_saveexec_b32 s2, vcc_lo
	s_cbranch_execz .LBB122_5
; %bb.1:
	s_clause 0x2
	s_load_b96 s[16:18], s[0:1], 0x20
	s_load_b64 s[14:15], s[0:1], 0x30
	s_load_b256 s[4:11], s[0:1], 0x0
	s_bitcmp1_b32 s3, 0
	s_cselect_b32 s19, -1, 0
	s_wait_xcnt 0x0
	s_bfe_u32 s0, ttmp6, 0x4000c
	s_and_b32 s1, ttmp6, 15
	s_add_co_i32 s0, s0, 1
	s_delay_alu instid0(SALU_CYCLE_1) | instskip(NEXT) | instid1(SALU_CYCLE_1)
	s_mul_i32 s0, ttmp9, s0
	s_add_co_i32 s1, s1, s0
	s_cmp_eq_u32 s12, 0
	s_cselect_b32 s0, ttmp9, s1
	s_and_b32 vcc_lo, exec_lo, s19
	s_ashr_i32 s1, s0, 31
	s_wait_kmcnt 0x0
	v_mad_u32 v2, v0, s18, v0
	s_mul_u64 s[2:3], s[14:15], s[0:1]
	s_lshl_b64 s[12:13], s[16:17], 4
	s_lshl_b64 s[2:3], s[2:3], 4
	s_mul_u64 s[0:1], s[8:9], s[0:1]
	s_add_nc_u64 s[2:3], s[10:11], s[2:3]
	s_lshl_b64 s[0:1], s[0:1], 4
	s_add_nc_u64 s[2:3], s[2:3], s[12:13]
	s_lshl_b64 s[6:7], s[6:7], 4
	s_add_nc_u64 s[0:1], s[4:5], s[0:1]
	s_delay_alu instid0(SALU_CYCLE_1) | instskip(SKIP_2) | instid1(VALU_DEP_1)
	s_add_nc_u64 s[0:1], s[0:1], s[6:7]
	global_load_b128 v[6:9], v2, s[2:3] scale_offset
	v_ashrrev_i32_e32 v3, 31, v2
	v_lshl_add_u64 v[4:5], v[2:3], 4, s[2:3]
	s_wait_loadcnt 0x0
	global_store_b128 v0, v[6:9], s[0:1] scale_offset
	s_cbranch_vccnz .LBB122_3
; %bb.2:
	global_load_b128 v[0:3], v[4:5], off
	s_branch .LBB122_4
.LBB122_3:
	s_wait_xcnt 0x0
	v_mov_b64_e32 v[0:1], 1.0
	v_mov_b64_e32 v[2:3], 0
.LBB122_4:
	s_wait_loadcnt 0x0
	global_store_b128 v[4:5], v[0:3], off
.LBB122_5:
	s_endpgm
	.section	.rodata,"a",@progbits
	.p2align	6, 0x0
	.amdhsa_kernel _ZN9rocsolver6v33100L8set_diagI19rocblas_complex_numIdEiS3_PS3_TnNSt9enable_ifIXoont18rocblas_is_complexIT_E18rocblas_is_complexIT1_EEiE4typeELi0EEEvPS7_llT2_lT0_lSC_b
		.amdhsa_group_segment_fixed_size 0
		.amdhsa_private_segment_fixed_size 0
		.amdhsa_kernarg_size 320
		.amdhsa_user_sgpr_count 2
		.amdhsa_user_sgpr_dispatch_ptr 0
		.amdhsa_user_sgpr_queue_ptr 0
		.amdhsa_user_sgpr_kernarg_segment_ptr 1
		.amdhsa_user_sgpr_dispatch_id 0
		.amdhsa_user_sgpr_kernarg_preload_length 0
		.amdhsa_user_sgpr_kernarg_preload_offset 0
		.amdhsa_user_sgpr_private_segment_size 0
		.amdhsa_wavefront_size32 1
		.amdhsa_uses_dynamic_stack 0
		.amdhsa_enable_private_segment 0
		.amdhsa_system_sgpr_workgroup_id_x 1
		.amdhsa_system_sgpr_workgroup_id_y 1
		.amdhsa_system_sgpr_workgroup_id_z 0
		.amdhsa_system_sgpr_workgroup_info 0
		.amdhsa_system_vgpr_workitem_id 1
		.amdhsa_next_free_vgpr 10
		.amdhsa_next_free_sgpr 20
		.amdhsa_named_barrier_count 0
		.amdhsa_reserve_vcc 1
		.amdhsa_float_round_mode_32 0
		.amdhsa_float_round_mode_16_64 0
		.amdhsa_float_denorm_mode_32 3
		.amdhsa_float_denorm_mode_16_64 3
		.amdhsa_fp16_overflow 0
		.amdhsa_memory_ordered 1
		.amdhsa_forward_progress 1
		.amdhsa_inst_pref_size 3
		.amdhsa_round_robin_scheduling 0
		.amdhsa_exception_fp_ieee_invalid_op 0
		.amdhsa_exception_fp_denorm_src 0
		.amdhsa_exception_fp_ieee_div_zero 0
		.amdhsa_exception_fp_ieee_overflow 0
		.amdhsa_exception_fp_ieee_underflow 0
		.amdhsa_exception_fp_ieee_inexact 0
		.amdhsa_exception_int_div_zero 0
	.end_amdhsa_kernel
	.section	.text._ZN9rocsolver6v33100L8set_diagI19rocblas_complex_numIdEiS3_PS3_TnNSt9enable_ifIXoont18rocblas_is_complexIT_E18rocblas_is_complexIT1_EEiE4typeELi0EEEvPS7_llT2_lT0_lSC_b,"axG",@progbits,_ZN9rocsolver6v33100L8set_diagI19rocblas_complex_numIdEiS3_PS3_TnNSt9enable_ifIXoont18rocblas_is_complexIT_E18rocblas_is_complexIT1_EEiE4typeELi0EEEvPS7_llT2_lT0_lSC_b,comdat
.Lfunc_end122:
	.size	_ZN9rocsolver6v33100L8set_diagI19rocblas_complex_numIdEiS3_PS3_TnNSt9enable_ifIXoont18rocblas_is_complexIT_E18rocblas_is_complexIT1_EEiE4typeELi0EEEvPS7_llT2_lT0_lSC_b, .Lfunc_end122-_ZN9rocsolver6v33100L8set_diagI19rocblas_complex_numIdEiS3_PS3_TnNSt9enable_ifIXoont18rocblas_is_complexIT_E18rocblas_is_complexIT1_EEiE4typeELi0EEEvPS7_llT2_lT0_lSC_b
                                        ; -- End function
	.set _ZN9rocsolver6v33100L8set_diagI19rocblas_complex_numIdEiS3_PS3_TnNSt9enable_ifIXoont18rocblas_is_complexIT_E18rocblas_is_complexIT1_EEiE4typeELi0EEEvPS7_llT2_lT0_lSC_b.num_vgpr, 10
	.set _ZN9rocsolver6v33100L8set_diagI19rocblas_complex_numIdEiS3_PS3_TnNSt9enable_ifIXoont18rocblas_is_complexIT_E18rocblas_is_complexIT1_EEiE4typeELi0EEEvPS7_llT2_lT0_lSC_b.num_agpr, 0
	.set _ZN9rocsolver6v33100L8set_diagI19rocblas_complex_numIdEiS3_PS3_TnNSt9enable_ifIXoont18rocblas_is_complexIT_E18rocblas_is_complexIT1_EEiE4typeELi0EEEvPS7_llT2_lT0_lSC_b.numbered_sgpr, 20
	.set _ZN9rocsolver6v33100L8set_diagI19rocblas_complex_numIdEiS3_PS3_TnNSt9enable_ifIXoont18rocblas_is_complexIT_E18rocblas_is_complexIT1_EEiE4typeELi0EEEvPS7_llT2_lT0_lSC_b.num_named_barrier, 0
	.set _ZN9rocsolver6v33100L8set_diagI19rocblas_complex_numIdEiS3_PS3_TnNSt9enable_ifIXoont18rocblas_is_complexIT_E18rocblas_is_complexIT1_EEiE4typeELi0EEEvPS7_llT2_lT0_lSC_b.private_seg_size, 0
	.set _ZN9rocsolver6v33100L8set_diagI19rocblas_complex_numIdEiS3_PS3_TnNSt9enable_ifIXoont18rocblas_is_complexIT_E18rocblas_is_complexIT1_EEiE4typeELi0EEEvPS7_llT2_lT0_lSC_b.uses_vcc, 1
	.set _ZN9rocsolver6v33100L8set_diagI19rocblas_complex_numIdEiS3_PS3_TnNSt9enable_ifIXoont18rocblas_is_complexIT_E18rocblas_is_complexIT1_EEiE4typeELi0EEEvPS7_llT2_lT0_lSC_b.uses_flat_scratch, 0
	.set _ZN9rocsolver6v33100L8set_diagI19rocblas_complex_numIdEiS3_PS3_TnNSt9enable_ifIXoont18rocblas_is_complexIT_E18rocblas_is_complexIT1_EEiE4typeELi0EEEvPS7_llT2_lT0_lSC_b.has_dyn_sized_stack, 0
	.set _ZN9rocsolver6v33100L8set_diagI19rocblas_complex_numIdEiS3_PS3_TnNSt9enable_ifIXoont18rocblas_is_complexIT_E18rocblas_is_complexIT1_EEiE4typeELi0EEEvPS7_llT2_lT0_lSC_b.has_recursion, 0
	.set _ZN9rocsolver6v33100L8set_diagI19rocblas_complex_numIdEiS3_PS3_TnNSt9enable_ifIXoont18rocblas_is_complexIT_E18rocblas_is_complexIT1_EEiE4typeELi0EEEvPS7_llT2_lT0_lSC_b.has_indirect_call, 0
	.section	.AMDGPU.csdata,"",@progbits
; Kernel info:
; codeLenInByte = 324
; TotalNumSgprs: 22
; NumVgprs: 10
; ScratchSize: 0
; MemoryBound: 1
; FloatMode: 240
; IeeeMode: 1
; LDSByteSize: 0 bytes/workgroup (compile time only)
; SGPRBlocks: 0
; VGPRBlocks: 0
; NumSGPRsForWavesPerEU: 22
; NumVGPRsForWavesPerEU: 10
; NamedBarCnt: 0
; Occupancy: 16
; WaveLimiterHint : 0
; COMPUTE_PGM_RSRC2:SCRATCH_EN: 0
; COMPUTE_PGM_RSRC2:USER_SGPR: 2
; COMPUTE_PGM_RSRC2:TRAP_HANDLER: 0
; COMPUTE_PGM_RSRC2:TGID_X_EN: 1
; COMPUTE_PGM_RSRC2:TGID_Y_EN: 1
; COMPUTE_PGM_RSRC2:TGID_Z_EN: 0
; COMPUTE_PGM_RSRC2:TIDIG_COMP_CNT: 1
	.section	.text._ZN9rocsolver6v33100L12restore_diagI19rocblas_complex_numIdEiS3_PS3_EEvPT1_llT2_lT0_lS8_,"axG",@progbits,_ZN9rocsolver6v33100L12restore_diagI19rocblas_complex_numIdEiS3_PS3_EEvPT1_llT2_lT0_lS8_,comdat
	.globl	_ZN9rocsolver6v33100L12restore_diagI19rocblas_complex_numIdEiS3_PS3_EEvPT1_llT2_lT0_lS8_ ; -- Begin function _ZN9rocsolver6v33100L12restore_diagI19rocblas_complex_numIdEiS3_PS3_EEvPT1_llT2_lT0_lS8_
	.p2align	8
	.type	_ZN9rocsolver6v33100L12restore_diagI19rocblas_complex_numIdEiS3_PS3_EEvPT1_llT2_lT0_lS8_,@function
_ZN9rocsolver6v33100L12restore_diagI19rocblas_complex_numIdEiS3_PS3_EEvPT1_llT2_lT0_lS8_: ; @_ZN9rocsolver6v33100L12restore_diagI19rocblas_complex_numIdEiS3_PS3_EEvPT1_llT2_lT0_lS8_
; %bb.0:
	s_clause 0x1
	s_load_u16 s3, s[0:1], 0x4e
	s_load_b32 s4, s[0:1], 0x38
	s_bfe_u32 s2, ttmp6, 0x40010
	s_bfe_u32 s5, ttmp6, 0x40004
	s_add_co_i32 s2, s2, 1
	v_bfe_u32 v0, v0, 10, 10
	s_mul_i32 s2, ttmp7, s2
	s_delay_alu instid0(SALU_CYCLE_1) | instskip(SKIP_1) | instid1(SALU_CYCLE_1)
	s_add_co_i32 s5, s5, s2
	s_getreg_b32 s2, hwreg(HW_REG_IB_STS2, 6, 4)
	s_cmp_eq_u32 s2, 0
	s_cselect_b32 s5, ttmp7, s5
	s_wait_kmcnt 0x0
	v_mad_u32 v0, s5, s3, v0
	s_mov_b32 s3, exec_lo
	s_delay_alu instid0(VALU_DEP_1)
	v_cmpx_gt_i32_e64 s4, v0
	s_cbranch_execz .LBB123_2
; %bb.1:
	s_load_b256 s[4:11], s[0:1], 0x0
	s_bfe_u32 s3, ttmp6, 0x4000c
	s_and_b32 s12, ttmp6, 15
	s_add_co_i32 s3, s3, 1
	s_delay_alu instid0(SALU_CYCLE_1) | instskip(NEXT) | instid1(SALU_CYCLE_1)
	s_mul_i32 s3, ttmp9, s3
	s_add_co_i32 s12, s12, s3
	s_cmp_eq_u32 s2, 0
	s_cselect_b32 s2, ttmp9, s12
	s_delay_alu instid0(SALU_CYCLE_1) | instskip(SKIP_4) | instid1(SALU_CYCLE_1)
	s_ashr_i32 s3, s2, 31
	s_wait_kmcnt 0x0
	s_mul_u64 s[8:9], s[8:9], s[2:3]
	s_lshl_b64 s[6:7], s[6:7], 4
	s_lshl_b64 s[8:9], s[8:9], 4
	s_add_nc_u64 s[4:5], s[4:5], s[8:9]
	s_delay_alu instid0(SALU_CYCLE_1)
	s_add_nc_u64 s[4:5], s[4:5], s[6:7]
	global_load_b128 v[2:5], v0, s[4:5] scale_offset
	s_wait_xcnt 0x0
	s_clause 0x1
	s_load_b96 s[4:6], s[0:1], 0x20
	s_load_b64 s[8:9], s[0:1], 0x30
	s_wait_kmcnt 0x0
	v_mad_u32 v0, v0, s6, v0
	s_mul_u64 s[0:1], s[8:9], s[2:3]
	s_lshl_b64 s[2:3], s[4:5], 4
	s_lshl_b64 s[0:1], s[0:1], 4
	s_delay_alu instid0(SALU_CYCLE_1) | instskip(NEXT) | instid1(SALU_CYCLE_1)
	s_add_nc_u64 s[0:1], s[10:11], s[0:1]
	s_add_nc_u64 s[0:1], s[0:1], s[2:3]
	s_wait_loadcnt 0x0
	global_store_b128 v0, v[2:5], s[0:1] scale_offset
.LBB123_2:
	s_endpgm
	.section	.rodata,"a",@progbits
	.p2align	6, 0x0
	.amdhsa_kernel _ZN9rocsolver6v33100L12restore_diagI19rocblas_complex_numIdEiS3_PS3_EEvPT1_llT2_lT0_lS8_
		.amdhsa_group_segment_fixed_size 0
		.amdhsa_private_segment_fixed_size 0
		.amdhsa_kernarg_size 320
		.amdhsa_user_sgpr_count 2
		.amdhsa_user_sgpr_dispatch_ptr 0
		.amdhsa_user_sgpr_queue_ptr 0
		.amdhsa_user_sgpr_kernarg_segment_ptr 1
		.amdhsa_user_sgpr_dispatch_id 0
		.amdhsa_user_sgpr_kernarg_preload_length 0
		.amdhsa_user_sgpr_kernarg_preload_offset 0
		.amdhsa_user_sgpr_private_segment_size 0
		.amdhsa_wavefront_size32 1
		.amdhsa_uses_dynamic_stack 0
		.amdhsa_enable_private_segment 0
		.amdhsa_system_sgpr_workgroup_id_x 1
		.amdhsa_system_sgpr_workgroup_id_y 1
		.amdhsa_system_sgpr_workgroup_id_z 0
		.amdhsa_system_sgpr_workgroup_info 0
		.amdhsa_system_vgpr_workitem_id 1
		.amdhsa_next_free_vgpr 6
		.amdhsa_next_free_sgpr 13
		.amdhsa_named_barrier_count 0
		.amdhsa_reserve_vcc 0
		.amdhsa_float_round_mode_32 0
		.amdhsa_float_round_mode_16_64 0
		.amdhsa_float_denorm_mode_32 3
		.amdhsa_float_denorm_mode_16_64 3
		.amdhsa_fp16_overflow 0
		.amdhsa_memory_ordered 1
		.amdhsa_forward_progress 1
		.amdhsa_inst_pref_size 3
		.amdhsa_round_robin_scheduling 0
		.amdhsa_exception_fp_ieee_invalid_op 0
		.amdhsa_exception_fp_denorm_src 0
		.amdhsa_exception_fp_ieee_div_zero 0
		.amdhsa_exception_fp_ieee_overflow 0
		.amdhsa_exception_fp_ieee_underflow 0
		.amdhsa_exception_fp_ieee_inexact 0
		.amdhsa_exception_int_div_zero 0
	.end_amdhsa_kernel
	.section	.text._ZN9rocsolver6v33100L12restore_diagI19rocblas_complex_numIdEiS3_PS3_EEvPT1_llT2_lT0_lS8_,"axG",@progbits,_ZN9rocsolver6v33100L12restore_diagI19rocblas_complex_numIdEiS3_PS3_EEvPT1_llT2_lT0_lS8_,comdat
.Lfunc_end123:
	.size	_ZN9rocsolver6v33100L12restore_diagI19rocblas_complex_numIdEiS3_PS3_EEvPT1_llT2_lT0_lS8_, .Lfunc_end123-_ZN9rocsolver6v33100L12restore_diagI19rocblas_complex_numIdEiS3_PS3_EEvPT1_llT2_lT0_lS8_
                                        ; -- End function
	.set _ZN9rocsolver6v33100L12restore_diagI19rocblas_complex_numIdEiS3_PS3_EEvPT1_llT2_lT0_lS8_.num_vgpr, 6
	.set _ZN9rocsolver6v33100L12restore_diagI19rocblas_complex_numIdEiS3_PS3_EEvPT1_llT2_lT0_lS8_.num_agpr, 0
	.set _ZN9rocsolver6v33100L12restore_diagI19rocblas_complex_numIdEiS3_PS3_EEvPT1_llT2_lT0_lS8_.numbered_sgpr, 13
	.set _ZN9rocsolver6v33100L12restore_diagI19rocblas_complex_numIdEiS3_PS3_EEvPT1_llT2_lT0_lS8_.num_named_barrier, 0
	.set _ZN9rocsolver6v33100L12restore_diagI19rocblas_complex_numIdEiS3_PS3_EEvPT1_llT2_lT0_lS8_.private_seg_size, 0
	.set _ZN9rocsolver6v33100L12restore_diagI19rocblas_complex_numIdEiS3_PS3_EEvPT1_llT2_lT0_lS8_.uses_vcc, 0
	.set _ZN9rocsolver6v33100L12restore_diagI19rocblas_complex_numIdEiS3_PS3_EEvPT1_llT2_lT0_lS8_.uses_flat_scratch, 0
	.set _ZN9rocsolver6v33100L12restore_diagI19rocblas_complex_numIdEiS3_PS3_EEvPT1_llT2_lT0_lS8_.has_dyn_sized_stack, 0
	.set _ZN9rocsolver6v33100L12restore_diagI19rocblas_complex_numIdEiS3_PS3_EEvPT1_llT2_lT0_lS8_.has_recursion, 0
	.set _ZN9rocsolver6v33100L12restore_diagI19rocblas_complex_numIdEiS3_PS3_EEvPT1_llT2_lT0_lS8_.has_indirect_call, 0
	.section	.AMDGPU.csdata,"",@progbits
; Kernel info:
; codeLenInByte = 276
; TotalNumSgprs: 13
; NumVgprs: 6
; ScratchSize: 0
; MemoryBound: 0
; FloatMode: 240
; IeeeMode: 1
; LDSByteSize: 0 bytes/workgroup (compile time only)
; SGPRBlocks: 0
; VGPRBlocks: 0
; NumSGPRsForWavesPerEU: 13
; NumVGPRsForWavesPerEU: 6
; NamedBarCnt: 0
; Occupancy: 16
; WaveLimiterHint : 0
; COMPUTE_PGM_RSRC2:SCRATCH_EN: 0
; COMPUTE_PGM_RSRC2:USER_SGPR: 2
; COMPUTE_PGM_RSRC2:TRAP_HANDLER: 0
; COMPUTE_PGM_RSRC2:TGID_X_EN: 1
; COMPUTE_PGM_RSRC2:TGID_Y_EN: 1
; COMPUTE_PGM_RSRC2:TGID_Z_EN: 0
; COMPUTE_PGM_RSRC2:TIDIG_COMP_CNT: 1
	.section	.text._ZN9rocsolver6v33100L8set_zeroI19rocblas_complex_numIdEPS3_EEviiT0_iil13rocblas_fill_,"axG",@progbits,_ZN9rocsolver6v33100L8set_zeroI19rocblas_complex_numIdEPS3_EEviiT0_iil13rocblas_fill_,comdat
	.globl	_ZN9rocsolver6v33100L8set_zeroI19rocblas_complex_numIdEPS3_EEviiT0_iil13rocblas_fill_ ; -- Begin function _ZN9rocsolver6v33100L8set_zeroI19rocblas_complex_numIdEPS3_EEviiT0_iil13rocblas_fill_
	.p2align	8
	.type	_ZN9rocsolver6v33100L8set_zeroI19rocblas_complex_numIdEPS3_EEviiT0_iil13rocblas_fill_,@function
_ZN9rocsolver6v33100L8set_zeroI19rocblas_complex_numIdEPS3_EEviiT0_iil13rocblas_fill_: ; @_ZN9rocsolver6v33100L8set_zeroI19rocblas_complex_numIdEPS3_EEviiT0_iil13rocblas_fill_
; %bb.0:
	s_clause 0x1
	s_load_b32 s2, s[0:1], 0x34
	s_load_b64 s[4:5], s[0:1], 0x0
	s_bfe_u32 s7, ttmp6, 0x40010
	s_bfe_u32 s10, ttmp6, 0x4000c
	s_and_b32 s6, ttmp7, 0xffff
	s_add_co_i32 s7, s7, 1
	s_add_co_i32 s10, s10, 1
	s_bfe_u32 s8, ttmp6, 0x40004
	s_and_b32 s9, ttmp6, 15
	s_mul_i32 s7, s6, s7
	s_mul_i32 s10, ttmp9, s10
	s_getreg_b32 s3, hwreg(HW_REG_IB_STS2, 6, 4)
	v_and_b32_e32 v1, 0x3ff, v0
	v_bfe_u32 v2, v0, 10, 10
	s_add_co_i32 s8, s8, s7
	s_add_co_i32 s9, s9, s10
	s_wait_kmcnt 0x0
	s_lshr_b32 s7, s2, 16
	s_and_b32 s2, s2, 0xffff
	s_cmp_eq_u32 s3, 0
	s_cselect_b32 s9, ttmp9, s9
	s_cselect_b32 s6, s6, s8
	v_mad_u32 v0, s9, s2, v1
	v_mad_u32 v1, s6, s7, v2
	s_delay_alu instid0(VALU_DEP_2) | instskip(NEXT) | instid1(VALU_DEP_2)
	v_cmp_gt_u32_e32 vcc_lo, s4, v0
	v_cmp_gt_u32_e64 s2, s5, v1
	s_and_b32 s2, vcc_lo, s2
	s_delay_alu instid0(SALU_CYCLE_1)
	s_and_saveexec_b32 s4, s2
	s_cbranch_execz .LBB124_12
; %bb.1:
	s_load_b32 s4, s[0:1], 0x20
	s_wait_kmcnt 0x0
	s_cmp_lt_i32 s4, 0x7a
	s_cbranch_scc1 .LBB124_4
; %bb.2:
	s_cmp_gt_i32 s4, 0x7a
	s_cbranch_scc0 .LBB124_5
; %bb.3:
	s_cmp_eq_u32 s4, 0x7b
	s_cselect_b32 s2, -1, 0
	s_cbranch_execz .LBB124_6
	s_branch .LBB124_7
.LBB124_4:
	s_mov_b32 s2, 0
	s_cbranch_execnz .LBB124_8
	s_branch .LBB124_10
.LBB124_5:
	s_mov_b32 s2, 0
.LBB124_6:
	v_cmp_gt_u32_e32 vcc_lo, v1, v0
	s_and_not1_b32 s2, s2, exec_lo
	s_and_b32 s5, vcc_lo, exec_lo
	s_delay_alu instid0(SALU_CYCLE_1)
	s_or_b32 s2, s2, s5
.LBB124_7:
	s_branch .LBB124_10
.LBB124_8:
	s_cmp_eq_u32 s4, 0x79
	s_cbranch_scc0 .LBB124_10
; %bb.9:
	v_cmp_gt_u32_e32 vcc_lo, v0, v1
	s_and_not1_b32 s2, s2, exec_lo
	s_and_b32 s4, vcc_lo, exec_lo
	s_delay_alu instid0(SALU_CYCLE_1)
	s_or_b32 s2, s2, s4
.LBB124_10:
	s_delay_alu instid0(SALU_CYCLE_1)
	s_and_b32 exec_lo, exec_lo, s2
	s_cbranch_execz .LBB124_12
; %bb.11:
	s_clause 0x1
	s_load_b128 s[4:7], s[0:1], 0x8
	s_load_b64 s[8:9], s[0:1], 0x18
	s_wait_xcnt 0x0
	s_bfe_u32 s0, ttmp6, 0x40014
	s_lshr_b32 s2, ttmp7, 16
	s_add_co_i32 s0, s0, 1
	s_bfe_u32 s10, ttmp6, 0x40008
	s_mul_i32 s0, s2, s0
	s_mov_b32 s1, 0
	s_add_co_i32 s10, s10, s0
	v_mov_b32_e32 v2, 0
	s_delay_alu instid0(VALU_DEP_1)
	v_dual_mov_b32 v3, v2 :: v_dual_mov_b32 v4, v2
	v_mov_b32_e32 v5, v2
	s_wait_kmcnt 0x0
	s_ashr_i32 s11, s6, 31
	s_cmp_eq_u32 s3, 0
	v_mad_u32 v0, v1, s7, v0
	s_cselect_b32 s0, s2, s10
	s_mov_b32 s10, s6
	s_mul_u64 s[0:1], s[8:9], s[0:1]
	s_lshl_b64 s[2:3], s[10:11], 4
	s_lshl_b64 s[0:1], s[0:1], 4
	s_delay_alu instid0(SALU_CYCLE_1) | instskip(NEXT) | instid1(SALU_CYCLE_1)
	s_add_nc_u64 s[0:1], s[4:5], s[0:1]
	s_add_nc_u64 s[0:1], s[0:1], s[2:3]
	global_store_b128 v0, v[2:5], s[0:1] scale_offset
.LBB124_12:
	s_endpgm
	.section	.rodata,"a",@progbits
	.p2align	6, 0x0
	.amdhsa_kernel _ZN9rocsolver6v33100L8set_zeroI19rocblas_complex_numIdEPS3_EEviiT0_iil13rocblas_fill_
		.amdhsa_group_segment_fixed_size 0
		.amdhsa_private_segment_fixed_size 0
		.amdhsa_kernarg_size 296
		.amdhsa_user_sgpr_count 2
		.amdhsa_user_sgpr_dispatch_ptr 0
		.amdhsa_user_sgpr_queue_ptr 0
		.amdhsa_user_sgpr_kernarg_segment_ptr 1
		.amdhsa_user_sgpr_dispatch_id 0
		.amdhsa_user_sgpr_kernarg_preload_length 0
		.amdhsa_user_sgpr_kernarg_preload_offset 0
		.amdhsa_user_sgpr_private_segment_size 0
		.amdhsa_wavefront_size32 1
		.amdhsa_uses_dynamic_stack 0
		.amdhsa_enable_private_segment 0
		.amdhsa_system_sgpr_workgroup_id_x 1
		.amdhsa_system_sgpr_workgroup_id_y 1
		.amdhsa_system_sgpr_workgroup_id_z 1
		.amdhsa_system_sgpr_workgroup_info 0
		.amdhsa_system_vgpr_workitem_id 1
		.amdhsa_next_free_vgpr 6
		.amdhsa_next_free_sgpr 12
		.amdhsa_named_barrier_count 0
		.amdhsa_reserve_vcc 1
		.amdhsa_float_round_mode_32 0
		.amdhsa_float_round_mode_16_64 0
		.amdhsa_float_denorm_mode_32 3
		.amdhsa_float_denorm_mode_16_64 3
		.amdhsa_fp16_overflow 0
		.amdhsa_memory_ordered 1
		.amdhsa_forward_progress 1
		.amdhsa_inst_pref_size 4
		.amdhsa_round_robin_scheduling 0
		.amdhsa_exception_fp_ieee_invalid_op 0
		.amdhsa_exception_fp_denorm_src 0
		.amdhsa_exception_fp_ieee_div_zero 0
		.amdhsa_exception_fp_ieee_overflow 0
		.amdhsa_exception_fp_ieee_underflow 0
		.amdhsa_exception_fp_ieee_inexact 0
		.amdhsa_exception_int_div_zero 0
	.end_amdhsa_kernel
	.section	.text._ZN9rocsolver6v33100L8set_zeroI19rocblas_complex_numIdEPS3_EEviiT0_iil13rocblas_fill_,"axG",@progbits,_ZN9rocsolver6v33100L8set_zeroI19rocblas_complex_numIdEPS3_EEviiT0_iil13rocblas_fill_,comdat
.Lfunc_end124:
	.size	_ZN9rocsolver6v33100L8set_zeroI19rocblas_complex_numIdEPS3_EEviiT0_iil13rocblas_fill_, .Lfunc_end124-_ZN9rocsolver6v33100L8set_zeroI19rocblas_complex_numIdEPS3_EEviiT0_iil13rocblas_fill_
                                        ; -- End function
	.set _ZN9rocsolver6v33100L8set_zeroI19rocblas_complex_numIdEPS3_EEviiT0_iil13rocblas_fill_.num_vgpr, 6
	.set _ZN9rocsolver6v33100L8set_zeroI19rocblas_complex_numIdEPS3_EEviiT0_iil13rocblas_fill_.num_agpr, 0
	.set _ZN9rocsolver6v33100L8set_zeroI19rocblas_complex_numIdEPS3_EEviiT0_iil13rocblas_fill_.numbered_sgpr, 12
	.set _ZN9rocsolver6v33100L8set_zeroI19rocblas_complex_numIdEPS3_EEviiT0_iil13rocblas_fill_.num_named_barrier, 0
	.set _ZN9rocsolver6v33100L8set_zeroI19rocblas_complex_numIdEPS3_EEviiT0_iil13rocblas_fill_.private_seg_size, 0
	.set _ZN9rocsolver6v33100L8set_zeroI19rocblas_complex_numIdEPS3_EEviiT0_iil13rocblas_fill_.uses_vcc, 1
	.set _ZN9rocsolver6v33100L8set_zeroI19rocblas_complex_numIdEPS3_EEviiT0_iil13rocblas_fill_.uses_flat_scratch, 0
	.set _ZN9rocsolver6v33100L8set_zeroI19rocblas_complex_numIdEPS3_EEviiT0_iil13rocblas_fill_.has_dyn_sized_stack, 0
	.set _ZN9rocsolver6v33100L8set_zeroI19rocblas_complex_numIdEPS3_EEviiT0_iil13rocblas_fill_.has_recursion, 0
	.set _ZN9rocsolver6v33100L8set_zeroI19rocblas_complex_numIdEPS3_EEviiT0_iil13rocblas_fill_.has_indirect_call, 0
	.section	.AMDGPU.csdata,"",@progbits
; Kernel info:
; codeLenInByte = 464
; TotalNumSgprs: 14
; NumVgprs: 6
; ScratchSize: 0
; MemoryBound: 0
; FloatMode: 240
; IeeeMode: 1
; LDSByteSize: 0 bytes/workgroup (compile time only)
; SGPRBlocks: 0
; VGPRBlocks: 0
; NumSGPRsForWavesPerEU: 14
; NumVGPRsForWavesPerEU: 6
; NamedBarCnt: 0
; Occupancy: 16
; WaveLimiterHint : 0
; COMPUTE_PGM_RSRC2:SCRATCH_EN: 0
; COMPUTE_PGM_RSRC2:USER_SGPR: 2
; COMPUTE_PGM_RSRC2:TRAP_HANDLER: 0
; COMPUTE_PGM_RSRC2:TGID_X_EN: 1
; COMPUTE_PGM_RSRC2:TGID_Y_EN: 1
; COMPUTE_PGM_RSRC2:TGID_Z_EN: 1
; COMPUTE_PGM_RSRC2:TIDIG_COMP_CNT: 1
	.section	.text._ZN9rocsolver6v33100L16org2r_init_identI19rocblas_complex_numIdEPS3_EEviiiT0_iil,"axG",@progbits,_ZN9rocsolver6v33100L16org2r_init_identI19rocblas_complex_numIdEPS3_EEviiiT0_iil,comdat
	.globl	_ZN9rocsolver6v33100L16org2r_init_identI19rocblas_complex_numIdEPS3_EEviiiT0_iil ; -- Begin function _ZN9rocsolver6v33100L16org2r_init_identI19rocblas_complex_numIdEPS3_EEviiiT0_iil
	.p2align	8
	.type	_ZN9rocsolver6v33100L16org2r_init_identI19rocblas_complex_numIdEPS3_EEviiiT0_iil,@function
_ZN9rocsolver6v33100L16org2r_init_identI19rocblas_complex_numIdEPS3_EEviiiT0_iil: ; @_ZN9rocsolver6v33100L16org2r_init_identI19rocblas_complex_numIdEPS3_EEviiiT0_iil
; %bb.0:
	s_clause 0x1
	s_load_b32 s2, s[0:1], 0x34
	s_load_b96 s[8:10], s[0:1], 0x0
	s_bfe_u32 s4, ttmp6, 0x4000c
	s_bfe_u32 s6, ttmp6, 0x40010
	s_and_b32 s5, ttmp7, 0xffff
	s_add_co_i32 s4, s4, 1
	s_add_co_i32 s6, s6, 1
	s_and_b32 s3, ttmp6, 15
	s_bfe_u32 s7, ttmp6, 0x40004
	s_mul_i32 s4, ttmp9, s4
	s_mul_i32 s6, s5, s6
	s_getreg_b32 s11, hwreg(HW_REG_IB_STS2, 6, 4)
	v_bfe_u32 v2, v0, 10, 10
	v_and_b32_e32 v0, 0x3ff, v0
	s_add_co_i32 s3, s3, s4
	s_add_co_i32 s7, s7, s6
	s_wait_kmcnt 0x0
	s_lshr_b32 s4, s2, 16
	s_and_b32 s2, s2, 0xffff
	s_cmp_eq_u32 s11, 0
	s_cselect_b32 s3, ttmp9, s3
	s_cselect_b32 s5, s5, s7
	v_mad_u32 v1, s3, s2, v0
	v_mad_u32 v0, s5, s4, v2
	s_mov_b32 s3, 0
	s_delay_alu instid0(VALU_DEP_2) | instskip(NEXT) | instid1(VALU_DEP_2)
	v_cmp_gt_u32_e32 vcc_lo, s8, v1
	v_cmp_gt_u32_e64 s2, s9, v0
	s_and_b32 s2, vcc_lo, s2
	s_delay_alu instid0(SALU_CYCLE_1)
	s_and_saveexec_b32 s4, s2
	s_cbranch_execz .LBB125_11
; %bb.1:
	s_clause 0x1
	s_load_b128 s[4:7], s[0:1], 0x10
	s_load_b64 s[8:9], s[0:1], 0x20
	s_wait_xcnt 0x0
	s_bfe_u32 s0, ttmp6, 0x40014
	s_lshr_b32 s2, ttmp7, 16
	s_add_co_i32 s0, s0, 1
	s_bfe_u32 s1, ttmp6, 0x40008
	s_mul_i32 s0, s2, s0
	s_delay_alu instid0(SALU_CYCLE_1)
	s_add_co_i32 s0, s1, s0
	s_wait_kmcnt 0x0
	s_ashr_i32 s1, s6, 31
	s_cmp_eq_u32 s11, 0
	s_cselect_b32 s2, s2, s0
	s_mov_b32 s0, s6
	s_mul_u64 s[2:3], s[8:9], s[2:3]
	s_lshl_b64 s[0:1], s[0:1], 4
	s_lshl_b64 s[2:3], s[2:3], 4
	s_delay_alu instid0(SALU_CYCLE_1) | instskip(NEXT) | instid1(SALU_CYCLE_1)
	s_add_nc_u64 s[2:3], s[4:5], s[2:3]
	s_add_nc_u64 s[0:1], s[2:3], s[0:1]
	s_mov_b32 s2, exec_lo
	v_cmpx_ne_u32_e64 v1, v0
	s_xor_b32 s2, exec_lo, s2
	s_cbranch_execz .LBB125_9
; %bb.2:
	s_mov_b32 s3, exec_lo
	v_cmpx_le_u32_e64 v0, v1
	s_xor_b32 s3, exec_lo, s3
	s_cbranch_execz .LBB125_6
; %bb.3:
	s_mov_b32 s4, exec_lo
	v_cmpx_le_u32_e64 s10, v0
	s_cbranch_execz .LBB125_5
; %bb.4:
	v_mad_u32 v0, v0, s7, v1
	v_mov_b32_e32 v2, 0
	s_delay_alu instid0(VALU_DEP_1)
	v_dual_mov_b32 v3, v2 :: v_dual_mov_b32 v4, v2
	v_mov_b32_e32 v5, v2
	global_store_b128 v0, v[2:5], s[0:1] scale_offset
.LBB125_5:
	s_wait_xcnt 0x0
	s_or_b32 exec_lo, exec_lo, s4
                                        ; implicit-def: $vgpr0
                                        ; implicit-def: $vgpr1
.LBB125_6:
	s_and_not1_saveexec_b32 s3, s3
	s_cbranch_execz .LBB125_8
; %bb.7:
	v_mad_u32 v0, v0, s7, v1
	v_mov_b32_e32 v2, 0
	s_delay_alu instid0(VALU_DEP_1)
	v_dual_mov_b32 v3, v2 :: v_dual_mov_b32 v4, v2
	v_mov_b32_e32 v5, v2
	global_store_b128 v0, v[2:5], s[0:1] scale_offset
.LBB125_8:
	s_wait_xcnt 0x0
	s_or_b32 exec_lo, exec_lo, s3
                                        ; implicit-def: $vgpr0
.LBB125_9:
	s_and_not1_saveexec_b32 s2, s2
	s_cbranch_execz .LBB125_11
; %bb.10:
	v_mad_u32 v4, v0, s7, v0
	v_dual_mov_b32 v0, 0 :: v_dual_mov_b32 v1, 0x3ff00000
	s_delay_alu instid0(VALU_DEP_1)
	v_dual_mov_b32 v2, v0 :: v_dual_mov_b32 v3, v0
	global_store_b128 v4, v[0:3], s[0:1] scale_offset
.LBB125_11:
	s_endpgm
	.section	.rodata,"a",@progbits
	.p2align	6, 0x0
	.amdhsa_kernel _ZN9rocsolver6v33100L16org2r_init_identI19rocblas_complex_numIdEPS3_EEviiiT0_iil
		.amdhsa_group_segment_fixed_size 0
		.amdhsa_private_segment_fixed_size 0
		.amdhsa_kernarg_size 296
		.amdhsa_user_sgpr_count 2
		.amdhsa_user_sgpr_dispatch_ptr 0
		.amdhsa_user_sgpr_queue_ptr 0
		.amdhsa_user_sgpr_kernarg_segment_ptr 1
		.amdhsa_user_sgpr_dispatch_id 0
		.amdhsa_user_sgpr_kernarg_preload_length 0
		.amdhsa_user_sgpr_kernarg_preload_offset 0
		.amdhsa_user_sgpr_private_segment_size 0
		.amdhsa_wavefront_size32 1
		.amdhsa_uses_dynamic_stack 0
		.amdhsa_enable_private_segment 0
		.amdhsa_system_sgpr_workgroup_id_x 1
		.amdhsa_system_sgpr_workgroup_id_y 1
		.amdhsa_system_sgpr_workgroup_id_z 1
		.amdhsa_system_sgpr_workgroup_info 0
		.amdhsa_system_vgpr_workitem_id 1
		.amdhsa_next_free_vgpr 6
		.amdhsa_next_free_sgpr 12
		.amdhsa_named_barrier_count 0
		.amdhsa_reserve_vcc 1
		.amdhsa_float_round_mode_32 0
		.amdhsa_float_round_mode_16_64 0
		.amdhsa_float_denorm_mode_32 3
		.amdhsa_float_denorm_mode_16_64 3
		.amdhsa_fp16_overflow 0
		.amdhsa_memory_ordered 1
		.amdhsa_forward_progress 1
		.amdhsa_inst_pref_size 4
		.amdhsa_round_robin_scheduling 0
		.amdhsa_exception_fp_ieee_invalid_op 0
		.amdhsa_exception_fp_denorm_src 0
		.amdhsa_exception_fp_ieee_div_zero 0
		.amdhsa_exception_fp_ieee_overflow 0
		.amdhsa_exception_fp_ieee_underflow 0
		.amdhsa_exception_fp_ieee_inexact 0
		.amdhsa_exception_int_div_zero 0
	.end_amdhsa_kernel
	.section	.text._ZN9rocsolver6v33100L16org2r_init_identI19rocblas_complex_numIdEPS3_EEviiiT0_iil,"axG",@progbits,_ZN9rocsolver6v33100L16org2r_init_identI19rocblas_complex_numIdEPS3_EEviiiT0_iil,comdat
.Lfunc_end125:
	.size	_ZN9rocsolver6v33100L16org2r_init_identI19rocblas_complex_numIdEPS3_EEviiiT0_iil, .Lfunc_end125-_ZN9rocsolver6v33100L16org2r_init_identI19rocblas_complex_numIdEPS3_EEviiiT0_iil
                                        ; -- End function
	.set _ZN9rocsolver6v33100L16org2r_init_identI19rocblas_complex_numIdEPS3_EEviiiT0_iil.num_vgpr, 6
	.set _ZN9rocsolver6v33100L16org2r_init_identI19rocblas_complex_numIdEPS3_EEviiiT0_iil.num_agpr, 0
	.set _ZN9rocsolver6v33100L16org2r_init_identI19rocblas_complex_numIdEPS3_EEviiiT0_iil.numbered_sgpr, 12
	.set _ZN9rocsolver6v33100L16org2r_init_identI19rocblas_complex_numIdEPS3_EEviiiT0_iil.num_named_barrier, 0
	.set _ZN9rocsolver6v33100L16org2r_init_identI19rocblas_complex_numIdEPS3_EEviiiT0_iil.private_seg_size, 0
	.set _ZN9rocsolver6v33100L16org2r_init_identI19rocblas_complex_numIdEPS3_EEviiiT0_iil.uses_vcc, 1
	.set _ZN9rocsolver6v33100L16org2r_init_identI19rocblas_complex_numIdEPS3_EEviiiT0_iil.uses_flat_scratch, 0
	.set _ZN9rocsolver6v33100L16org2r_init_identI19rocblas_complex_numIdEPS3_EEviiiT0_iil.has_dyn_sized_stack, 0
	.set _ZN9rocsolver6v33100L16org2r_init_identI19rocblas_complex_numIdEPS3_EEviiiT0_iil.has_recursion, 0
	.set _ZN9rocsolver6v33100L16org2r_init_identI19rocblas_complex_numIdEPS3_EEviiiT0_iil.has_indirect_call, 0
	.section	.AMDGPU.csdata,"",@progbits
; Kernel info:
; codeLenInByte = 500
; TotalNumSgprs: 14
; NumVgprs: 6
; ScratchSize: 0
; MemoryBound: 0
; FloatMode: 240
; IeeeMode: 1
; LDSByteSize: 0 bytes/workgroup (compile time only)
; SGPRBlocks: 0
; VGPRBlocks: 0
; NumSGPRsForWavesPerEU: 14
; NumVGPRsForWavesPerEU: 6
; NamedBarCnt: 0
; Occupancy: 16
; WaveLimiterHint : 0
; COMPUTE_PGM_RSRC2:SCRATCH_EN: 0
; COMPUTE_PGM_RSRC2:USER_SGPR: 2
; COMPUTE_PGM_RSRC2:TRAP_HANDLER: 0
; COMPUTE_PGM_RSRC2:TGID_X_EN: 1
; COMPUTE_PGM_RSRC2:TGID_Y_EN: 1
; COMPUTE_PGM_RSRC2:TGID_Z_EN: 1
; COMPUTE_PGM_RSRC2:TIDIG_COMP_CNT: 1
	.section	.text._ZN9rocsolver6v33100L12subtract_tauI19rocblas_complex_numIdEPS3_EEviiT0_iilPT_l,"axG",@progbits,_ZN9rocsolver6v33100L12subtract_tauI19rocblas_complex_numIdEPS3_EEviiT0_iilPT_l,comdat
	.globl	_ZN9rocsolver6v33100L12subtract_tauI19rocblas_complex_numIdEPS3_EEviiT0_iilPT_l ; -- Begin function _ZN9rocsolver6v33100L12subtract_tauI19rocblas_complex_numIdEPS3_EEviiT0_iilPT_l
	.p2align	8
	.type	_ZN9rocsolver6v33100L12subtract_tauI19rocblas_complex_numIdEPS3_EEviiT0_iilPT_l,@function
_ZN9rocsolver6v33100L12subtract_tauI19rocblas_complex_numIdEPS3_EEviiT0_iilPT_l: ; @_ZN9rocsolver6v33100L12subtract_tauI19rocblas_complex_numIdEPS3_EEviiT0_iilPT_l
; %bb.0:
	s_clause 0x2
	s_load_b64 s[12:13], s[0:1], 0x10
	s_load_b64 s[2:3], s[0:1], 0x28
	s_load_b128 s[4:7], s[0:1], 0x18
	s_bfe_u32 s8, ttmp6, 0x4000c
	s_and_b32 s9, ttmp6, 15
	s_add_co_i32 s8, s8, 1
	s_getreg_b32 s10, hwreg(HW_REG_IB_STS2, 6, 4)
	s_mul_i32 s8, ttmp9, s8
	s_mov_b32 s17, 0
	s_add_co_i32 s9, s9, s8
	s_wait_kmcnt 0x0
	s_ashr_i32 s15, s12, 31
	s_cmp_eq_u32 s10, 0
	s_mov_b32 s14, s12
	s_cselect_b32 s16, ttmp9, s9
	s_delay_alu instid0(SALU_CYCLE_1)
	s_mul_u64 s[2:3], s[2:3], s[16:17]
	s_mul_u64 s[4:5], s[4:5], s[16:17]
	s_lshl_b64 s[2:3], s[2:3], 4
	s_lshl_b64 s[4:5], s[4:5], 4
	s_add_nc_u64 s[2:3], s[6:7], s[2:3]
	s_load_b128 s[8:11], s[2:3], 0x0
	s_wait_kmcnt 0x0
	v_dual_mov_b32 v4, 0 :: v_dual_mov_b32 v0, s8
	s_xor_b32 s6, s9, 0x80000000
	s_xor_b32 s7, s11, 0x80000000
	v_dual_mov_b32 v2, s10 :: v_dual_mov_b32 v1, s6
	v_mov_b32_e32 v3, s7
	global_store_b128 v4, v[0:3], s[2:3]
	s_wait_xcnt 0x0
	v_add_f64_e64 v[0:1], -s[8:9], 1.0
	s_load_b128 s[0:3], s[0:1], 0x0
	s_wait_kmcnt 0x0
	s_mul_i32 s1, s13, s1
	s_delay_alu instid0(SALU_CYCLE_1) | instskip(SKIP_3) | instid1(SALU_CYCLE_1)
	s_add_co_i32 s6, s1, s0
	s_add_nc_u64 s[0:1], s[2:3], s[4:5]
	v_mov_b32_e32 v4, s6
	s_lshl_b64 s[2:3], s[14:15], 4
	s_add_nc_u64 s[0:1], s[0:1], s[2:3]
	global_store_b128 v4, v[0:3], s[0:1] scale_offset
	s_endpgm
	.section	.rodata,"a",@progbits
	.p2align	6, 0x0
	.amdhsa_kernel _ZN9rocsolver6v33100L12subtract_tauI19rocblas_complex_numIdEPS3_EEviiT0_iilPT_l
		.amdhsa_group_segment_fixed_size 0
		.amdhsa_private_segment_fixed_size 0
		.amdhsa_kernarg_size 48
		.amdhsa_user_sgpr_count 2
		.amdhsa_user_sgpr_dispatch_ptr 0
		.amdhsa_user_sgpr_queue_ptr 0
		.amdhsa_user_sgpr_kernarg_segment_ptr 1
		.amdhsa_user_sgpr_dispatch_id 0
		.amdhsa_user_sgpr_kernarg_preload_length 0
		.amdhsa_user_sgpr_kernarg_preload_offset 0
		.amdhsa_user_sgpr_private_segment_size 0
		.amdhsa_wavefront_size32 1
		.amdhsa_uses_dynamic_stack 0
		.amdhsa_enable_private_segment 0
		.amdhsa_system_sgpr_workgroup_id_x 1
		.amdhsa_system_sgpr_workgroup_id_y 0
		.amdhsa_system_sgpr_workgroup_id_z 0
		.amdhsa_system_sgpr_workgroup_info 0
		.amdhsa_system_vgpr_workitem_id 0
		.amdhsa_next_free_vgpr 5
		.amdhsa_next_free_sgpr 18
		.amdhsa_named_barrier_count 0
		.amdhsa_reserve_vcc 0
		.amdhsa_float_round_mode_32 0
		.amdhsa_float_round_mode_16_64 0
		.amdhsa_float_denorm_mode_32 3
		.amdhsa_float_denorm_mode_16_64 3
		.amdhsa_fp16_overflow 0
		.amdhsa_memory_ordered 1
		.amdhsa_forward_progress 1
		.amdhsa_inst_pref_size 2
		.amdhsa_round_robin_scheduling 0
		.amdhsa_exception_fp_ieee_invalid_op 0
		.amdhsa_exception_fp_denorm_src 0
		.amdhsa_exception_fp_ieee_div_zero 0
		.amdhsa_exception_fp_ieee_overflow 0
		.amdhsa_exception_fp_ieee_underflow 0
		.amdhsa_exception_fp_ieee_inexact 0
		.amdhsa_exception_int_div_zero 0
	.end_amdhsa_kernel
	.section	.text._ZN9rocsolver6v33100L12subtract_tauI19rocblas_complex_numIdEPS3_EEviiT0_iilPT_l,"axG",@progbits,_ZN9rocsolver6v33100L12subtract_tauI19rocblas_complex_numIdEPS3_EEviiT0_iilPT_l,comdat
.Lfunc_end126:
	.size	_ZN9rocsolver6v33100L12subtract_tauI19rocblas_complex_numIdEPS3_EEviiT0_iilPT_l, .Lfunc_end126-_ZN9rocsolver6v33100L12subtract_tauI19rocblas_complex_numIdEPS3_EEviiT0_iilPT_l
                                        ; -- End function
	.set _ZN9rocsolver6v33100L12subtract_tauI19rocblas_complex_numIdEPS3_EEviiT0_iilPT_l.num_vgpr, 5
	.set _ZN9rocsolver6v33100L12subtract_tauI19rocblas_complex_numIdEPS3_EEviiT0_iilPT_l.num_agpr, 0
	.set _ZN9rocsolver6v33100L12subtract_tauI19rocblas_complex_numIdEPS3_EEviiT0_iilPT_l.numbered_sgpr, 18
	.set _ZN9rocsolver6v33100L12subtract_tauI19rocblas_complex_numIdEPS3_EEviiT0_iilPT_l.num_named_barrier, 0
	.set _ZN9rocsolver6v33100L12subtract_tauI19rocblas_complex_numIdEPS3_EEviiT0_iilPT_l.private_seg_size, 0
	.set _ZN9rocsolver6v33100L12subtract_tauI19rocblas_complex_numIdEPS3_EEviiT0_iilPT_l.uses_vcc, 0
	.set _ZN9rocsolver6v33100L12subtract_tauI19rocblas_complex_numIdEPS3_EEviiT0_iilPT_l.uses_flat_scratch, 0
	.set _ZN9rocsolver6v33100L12subtract_tauI19rocblas_complex_numIdEPS3_EEviiT0_iilPT_l.has_dyn_sized_stack, 0
	.set _ZN9rocsolver6v33100L12subtract_tauI19rocblas_complex_numIdEPS3_EEviiT0_iilPT_l.has_recursion, 0
	.set _ZN9rocsolver6v33100L12subtract_tauI19rocblas_complex_numIdEPS3_EEviiT0_iilPT_l.has_indirect_call, 0
	.section	.AMDGPU.csdata,"",@progbits
; Kernel info:
; codeLenInByte = 236
; TotalNumSgprs: 18
; NumVgprs: 5
; ScratchSize: 0
; MemoryBound: 0
; FloatMode: 240
; IeeeMode: 1
; LDSByteSize: 0 bytes/workgroup (compile time only)
; SGPRBlocks: 0
; VGPRBlocks: 0
; NumSGPRsForWavesPerEU: 18
; NumVGPRsForWavesPerEU: 5
; NamedBarCnt: 0
; Occupancy: 16
; WaveLimiterHint : 0
; COMPUTE_PGM_RSRC2:SCRATCH_EN: 0
; COMPUTE_PGM_RSRC2:USER_SGPR: 2
; COMPUTE_PGM_RSRC2:TRAP_HANDLER: 0
; COMPUTE_PGM_RSRC2:TGID_X_EN: 1
; COMPUTE_PGM_RSRC2:TGID_Y_EN: 0
; COMPUTE_PGM_RSRC2:TGID_Z_EN: 0
; COMPUTE_PGM_RSRC2:TIDIG_COMP_CNT: 0
	.section	.text._ZN9rocsolver6v33100L6restauI19rocblas_complex_numIdEEEviPT_l,"axG",@progbits,_ZN9rocsolver6v33100L6restauI19rocblas_complex_numIdEEEviPT_l,comdat
	.globl	_ZN9rocsolver6v33100L6restauI19rocblas_complex_numIdEEEviPT_l ; -- Begin function _ZN9rocsolver6v33100L6restauI19rocblas_complex_numIdEEEviPT_l
	.p2align	8
	.type	_ZN9rocsolver6v33100L6restauI19rocblas_complex_numIdEEEviPT_l,@function
_ZN9rocsolver6v33100L6restauI19rocblas_complex_numIdEEEviPT_l: ; @_ZN9rocsolver6v33100L6restauI19rocblas_complex_numIdEEEviPT_l
; %bb.0:
	s_clause 0x1
	s_load_b32 s3, s[0:1], 0x24
	s_load_b32 s4, s[0:1], 0x0
	s_bfe_u32 s2, ttmp6, 0x4000c
	s_and_b32 s5, ttmp6, 15
	s_add_co_i32 s6, s2, 1
	s_getreg_b32 s2, hwreg(HW_REG_IB_STS2, 6, 4)
	s_mul_i32 s6, ttmp9, s6
	s_delay_alu instid0(SALU_CYCLE_1) | instskip(SKIP_4) | instid1(SALU_CYCLE_1)
	s_add_co_i32 s5, s5, s6
	s_wait_kmcnt 0x0
	s_and_b32 s3, s3, 0xffff
	s_cmp_eq_u32 s2, 0
	s_cselect_b32 s5, ttmp9, s5
	v_mad_u32 v0, s5, s3, v0
	s_mov_b32 s3, 0
	s_delay_alu instid0(VALU_DEP_1)
	v_cmp_gt_u32_e32 vcc_lo, s4, v0
	s_and_saveexec_b32 s4, vcc_lo
	s_cbranch_execz .LBB127_2
; %bb.1:
	s_load_b128 s[4:7], s[0:1], 0x8
	s_wait_xcnt 0x0
	s_bfe_u32 s0, ttmp6, 0x40010
	s_bfe_u32 s1, ttmp6, 0x40004
	s_add_co_i32 s0, s0, 1
	s_delay_alu instid0(SALU_CYCLE_1) | instskip(NEXT) | instid1(SALU_CYCLE_1)
	s_mul_i32 s0, ttmp7, s0
	s_add_co_i32 s1, s1, s0
	s_cmp_eq_u32 s2, 0
	s_cselect_b32 s2, ttmp7, s1
	s_wait_kmcnt 0x0
	s_mul_u64 s[0:1], s[6:7], s[2:3]
	s_delay_alu instid0(SALU_CYCLE_1) | instskip(NEXT) | instid1(SALU_CYCLE_1)
	s_lshl_b64 s[0:1], s[0:1], 4
	s_add_nc_u64 s[0:1], s[4:5], s[0:1]
	global_load_b128 v[2:5], v0, s[0:1] scale_offset
	s_wait_loadcnt 0x0
	v_xor_b32_e32 v3, 0x80000000, v3
	v_xor_b32_e32 v5, 0x80000000, v5
	global_store_b128 v0, v[2:5], s[0:1] scale_offset
.LBB127_2:
	s_endpgm
	.section	.rodata,"a",@progbits
	.p2align	6, 0x0
	.amdhsa_kernel _ZN9rocsolver6v33100L6restauI19rocblas_complex_numIdEEEviPT_l
		.amdhsa_group_segment_fixed_size 0
		.amdhsa_private_segment_fixed_size 0
		.amdhsa_kernarg_size 280
		.amdhsa_user_sgpr_count 2
		.amdhsa_user_sgpr_dispatch_ptr 0
		.amdhsa_user_sgpr_queue_ptr 0
		.amdhsa_user_sgpr_kernarg_segment_ptr 1
		.amdhsa_user_sgpr_dispatch_id 0
		.amdhsa_user_sgpr_kernarg_preload_length 0
		.amdhsa_user_sgpr_kernarg_preload_offset 0
		.amdhsa_user_sgpr_private_segment_size 0
		.amdhsa_wavefront_size32 1
		.amdhsa_uses_dynamic_stack 0
		.amdhsa_enable_private_segment 0
		.amdhsa_system_sgpr_workgroup_id_x 1
		.amdhsa_system_sgpr_workgroup_id_y 1
		.amdhsa_system_sgpr_workgroup_id_z 0
		.amdhsa_system_sgpr_workgroup_info 0
		.amdhsa_system_vgpr_workitem_id 0
		.amdhsa_next_free_vgpr 6
		.amdhsa_next_free_sgpr 8
		.amdhsa_named_barrier_count 0
		.amdhsa_reserve_vcc 1
		.amdhsa_float_round_mode_32 0
		.amdhsa_float_round_mode_16_64 0
		.amdhsa_float_denorm_mode_32 3
		.amdhsa_float_denorm_mode_16_64 3
		.amdhsa_fp16_overflow 0
		.amdhsa_memory_ordered 1
		.amdhsa_forward_progress 1
		.amdhsa_inst_pref_size 2
		.amdhsa_round_robin_scheduling 0
		.amdhsa_exception_fp_ieee_invalid_op 0
		.amdhsa_exception_fp_denorm_src 0
		.amdhsa_exception_fp_ieee_div_zero 0
		.amdhsa_exception_fp_ieee_overflow 0
		.amdhsa_exception_fp_ieee_underflow 0
		.amdhsa_exception_fp_ieee_inexact 0
		.amdhsa_exception_int_div_zero 0
	.end_amdhsa_kernel
	.section	.text._ZN9rocsolver6v33100L6restauI19rocblas_complex_numIdEEEviPT_l,"axG",@progbits,_ZN9rocsolver6v33100L6restauI19rocblas_complex_numIdEEEviPT_l,comdat
.Lfunc_end127:
	.size	_ZN9rocsolver6v33100L6restauI19rocblas_complex_numIdEEEviPT_l, .Lfunc_end127-_ZN9rocsolver6v33100L6restauI19rocblas_complex_numIdEEEviPT_l
                                        ; -- End function
	.set _ZN9rocsolver6v33100L6restauI19rocblas_complex_numIdEEEviPT_l.num_vgpr, 6
	.set _ZN9rocsolver6v33100L6restauI19rocblas_complex_numIdEEEviPT_l.num_agpr, 0
	.set _ZN9rocsolver6v33100L6restauI19rocblas_complex_numIdEEEviPT_l.numbered_sgpr, 8
	.set _ZN9rocsolver6v33100L6restauI19rocblas_complex_numIdEEEviPT_l.num_named_barrier, 0
	.set _ZN9rocsolver6v33100L6restauI19rocblas_complex_numIdEEEviPT_l.private_seg_size, 0
	.set _ZN9rocsolver6v33100L6restauI19rocblas_complex_numIdEEEviPT_l.uses_vcc, 1
	.set _ZN9rocsolver6v33100L6restauI19rocblas_complex_numIdEEEviPT_l.uses_flat_scratch, 0
	.set _ZN9rocsolver6v33100L6restauI19rocblas_complex_numIdEEEviPT_l.has_dyn_sized_stack, 0
	.set _ZN9rocsolver6v33100L6restauI19rocblas_complex_numIdEEEviPT_l.has_recursion, 0
	.set _ZN9rocsolver6v33100L6restauI19rocblas_complex_numIdEEEviPT_l.has_indirect_call, 0
	.section	.AMDGPU.csdata,"",@progbits
; Kernel info:
; codeLenInByte = 220
; TotalNumSgprs: 10
; NumVgprs: 6
; ScratchSize: 0
; MemoryBound: 0
; FloatMode: 240
; IeeeMode: 1
; LDSByteSize: 0 bytes/workgroup (compile time only)
; SGPRBlocks: 0
; VGPRBlocks: 0
; NumSGPRsForWavesPerEU: 10
; NumVGPRsForWavesPerEU: 6
; NamedBarCnt: 0
; Occupancy: 16
; WaveLimiterHint : 0
; COMPUTE_PGM_RSRC2:SCRATCH_EN: 0
; COMPUTE_PGM_RSRC2:USER_SGPR: 2
; COMPUTE_PGM_RSRC2:TRAP_HANDLER: 0
; COMPUTE_PGM_RSRC2:TGID_X_EN: 1
; COMPUTE_PGM_RSRC2:TGID_Y_EN: 1
; COMPUTE_PGM_RSRC2:TGID_Z_EN: 0
; COMPUTE_PGM_RSRC2:TIDIG_COMP_CNT: 0
	.section	.text._ZN9rocsolver6v33100L15copyshift_rightI19rocblas_complex_numIdEPS3_EEvbiT0_iilPT_iil,"axG",@progbits,_ZN9rocsolver6v33100L15copyshift_rightI19rocblas_complex_numIdEPS3_EEvbiT0_iilPT_iil,comdat
	.globl	_ZN9rocsolver6v33100L15copyshift_rightI19rocblas_complex_numIdEPS3_EEvbiT0_iilPT_iil ; -- Begin function _ZN9rocsolver6v33100L15copyshift_rightI19rocblas_complex_numIdEPS3_EEvbiT0_iilPT_iil
	.p2align	8
	.type	_ZN9rocsolver6v33100L15copyshift_rightI19rocblas_complex_numIdEPS3_EEvbiT0_iilPT_iil,@function
_ZN9rocsolver6v33100L15copyshift_rightI19rocblas_complex_numIdEPS3_EEvbiT0_iilPT_iil: ; @_ZN9rocsolver6v33100L15copyshift_rightI19rocblas_complex_numIdEPS3_EEvbiT0_iilPT_iil
; %bb.0:
	s_clause 0x3
	s_load_b128 s[8:11], s[0:1], 0x0
	s_load_b32 s12, s[0:1], 0x44
	s_load_b64 s[2:3], s[0:1], 0x10
	s_load_b128 s[4:7], s[0:1], 0x18
	s_getreg_b32 s13, hwreg(HW_REG_IB_STS2, 6, 4)
	v_bfe_u32 v1, v0, 10, 10
	v_and_b32_e32 v0, 0x3ff, v0
	s_wait_kmcnt 0x0
	s_bitcmp1_b32 s8, 0
	s_cselect_b32 s8, -1, 0
	s_bfe_u32 s17, ttmp6, 0x40014
	s_bfe_u32 s20, ttmp6, 0x4000c
	;; [unrolled: 1-line block ×3, first 2 shown]
	s_lshr_b32 s16, ttmp7, 16
	s_and_b32 s21, ttmp7, 0xffff
	s_add_co_i32 s17, s17, 1
	s_add_co_i32 s20, s20, 1
	;; [unrolled: 1-line block ×3, first 2 shown]
	s_bfe_u32 s18, ttmp6, 0x40008
	s_and_b32 s19, ttmp6, 15
	s_bfe_u32 s23, ttmp6, 0x40004
	s_mul_i32 s17, s16, s17
	s_mul_i32 s20, ttmp9, s20
	s_mul_i32 s22, s21, s22
	s_and_b32 s14, s12, 0xffff
	s_lshr_b32 s12, s12, 16
	s_ashr_i32 s15, s2, 31
	s_xor_b32 s8, s8, -1
	s_add_co_i32 s18, s18, s17
	s_add_co_i32 s19, s19, s20
	;; [unrolled: 1-line block ×3, first 2 shown]
	s_cmp_eq_u32 s13, 0
	s_cselect_b32 s13, s21, s23
	s_cselect_b32 s17, ttmp9, s19
	v_mad_u32 v5, s13, s12, v1
	v_mad_u32 v4, s17, s14, v0
	s_mov_b32 s13, 0
	s_cselect_b32 s12, s16, s18
	s_mov_b32 s14, s2
	s_mul_u64 s[4:5], s[4:5], s[12:13]
	s_delay_alu instid0(SALU_CYCLE_1) | instskip(NEXT) | instid1(SALU_CYCLE_1)
	s_lshl_b64 s[4:5], s[4:5], 4
	s_add_nc_u64 s[4:5], s[10:11], s[4:5]
	s_lshl_b64 s[10:11], s[14:15], 4
	s_delay_alu instid0(VALU_DEP_1) | instskip(SKIP_1) | instid1(VALU_DEP_1)
	v_or_b32_e32 v0, v4, v5
	s_add_nc_u64 s[4:5], s[4:5], s[10:11]
	v_cmp_eq_u32_e32 vcc_lo, 0, v0
	s_and_b32 s10, s8, vcc_lo
	s_delay_alu instid0(SALU_CYCLE_1)
	s_and_saveexec_b32 s2, s10
	s_cbranch_execz .LBB128_2
; %bb.1:
	v_dual_mov_b32 v0, 0 :: v_dual_mov_b32 v1, 0x3ff00000
	s_delay_alu instid0(VALU_DEP_1)
	v_dual_mov_b32 v2, v0 :: v_dual_mov_b32 v3, v0
	global_store_b128 v0, v[0:3], s[4:5]
.LBB128_2:
	s_wait_xcnt 0x0
	s_or_b32 exec_lo, exec_lo, s2
	v_max_u32_e32 v0, v5, v4
	v_cmp_le_u32_e64 s2, v5, v4
	s_delay_alu instid0(VALU_DEP_2) | instskip(SKIP_1) | instid1(SALU_CYCLE_1)
	v_cmp_gt_u32_e32 vcc_lo, s9, v0
	s_and_b32 s2, s2, vcc_lo
	s_and_saveexec_b32 s9, s2
	s_cbranch_execz .LBB128_11
; %bb.3:
	s_load_b128 s[16:19], s[0:1], 0x28
	v_mad_u32 v0, v5, v5, v5
	s_and_b32 vcc_lo, exec_lo, s8
	s_mov_b32 s2, -1
	s_delay_alu instid0(VALU_DEP_1)
	v_lshrrev_b32_e32 v0, 1, v0
	s_wait_kmcnt 0x0
	v_mad_u32 v1, v5, s17, v4
	s_mul_u64 s[0:1], s[18:19], s[12:13]
	s_ashr_i32 s11, s16, 31
	s_lshl_b64 s[0:1], s[0:1], 4
	s_mov_b32 s10, s16
	s_add_nc_u64 s[0:1], s[6:7], s[0:1]
	s_lshl_b64 s[6:7], s[10:11], 4
	s_delay_alu instid0(SALU_CYCLE_1) | instskip(NEXT) | instid1(VALU_DEP_1)
	s_add_nc_u64 s[0:1], s[0:1], s[6:7]
	v_sub_nc_u32_e32 v6, v1, v0
	s_cbranch_vccz .LBB128_7
; %bb.4:
	global_load_b128 v[8:11], v6, s[0:1] scale_offset
	v_mul_lo_u32 v0, v5, s3
	s_mov_b32 s2, exec_lo
	s_delay_alu instid0(VALU_DEP_1)
	v_add3_u32 v1, v4, v0, 1
	s_wait_loadcnt 0x0
	global_store_b128 v1, v[8:11], s[4:5] scale_offset
	s_wait_xcnt 0x0
	v_cmpx_eq_u32_e64 v4, v5
	s_cbranch_execz .LBB128_6
; %bb.5:
	v_dual_mov_b32 v8, 0 :: v_dual_add_nc_u32 v0, s3, v0
	s_delay_alu instid0(VALU_DEP_1)
	v_dual_mov_b32 v9, v8 :: v_dual_mov_b32 v10, v8
	v_mov_b32_e32 v11, v8
	global_store_b128 v0, v[8:11], s[4:5] scale_offset
.LBB128_6:
	s_wait_xcnt 0x0
	s_or_b32 exec_lo, exec_lo, s2
	s_mov_b32 s2, 0
.LBB128_7:
	s_delay_alu instid0(SALU_CYCLE_1)
	s_and_not1_b32 vcc_lo, exec_lo, s2
	s_cbranch_vccnz .LBB128_11
; %bb.8:
	v_mov_b64_e32 v[0:1], 0
	v_mov_b64_e32 v[2:3], 0
	s_mov_b32 s2, exec_lo
	v_cmpx_ne_u32_e32 0, v5
	s_cbranch_execz .LBB128_10
; %bb.9:
	v_add_nc_u32_e32 v0, -1, v5
	s_delay_alu instid0(VALU_DEP_1) | instskip(NEXT) | instid1(VALU_DEP_1)
	v_mul_lo_u32 v0, v0, s3
	v_add3_u32 v0, v4, v0, 1
	global_load_b128 v[0:3], v0, s[4:5] scale_offset
.LBB128_10:
	s_wait_xcnt 0x0
	s_or_b32 exec_lo, exec_lo, s2
	s_wait_loadcnt 0x0
	global_store_b128 v6, v[0:3], s[0:1] scale_offset
.LBB128_11:
	s_endpgm
	.section	.rodata,"a",@progbits
	.p2align	6, 0x0
	.amdhsa_kernel _ZN9rocsolver6v33100L15copyshift_rightI19rocblas_complex_numIdEPS3_EEvbiT0_iilPT_iil
		.amdhsa_group_segment_fixed_size 0
		.amdhsa_private_segment_fixed_size 0
		.amdhsa_kernarg_size 312
		.amdhsa_user_sgpr_count 2
		.amdhsa_user_sgpr_dispatch_ptr 0
		.amdhsa_user_sgpr_queue_ptr 0
		.amdhsa_user_sgpr_kernarg_segment_ptr 1
		.amdhsa_user_sgpr_dispatch_id 0
		.amdhsa_user_sgpr_kernarg_preload_length 0
		.amdhsa_user_sgpr_kernarg_preload_offset 0
		.amdhsa_user_sgpr_private_segment_size 0
		.amdhsa_wavefront_size32 1
		.amdhsa_uses_dynamic_stack 0
		.amdhsa_enable_private_segment 0
		.amdhsa_system_sgpr_workgroup_id_x 1
		.amdhsa_system_sgpr_workgroup_id_y 1
		.amdhsa_system_sgpr_workgroup_id_z 1
		.amdhsa_system_sgpr_workgroup_info 0
		.amdhsa_system_vgpr_workitem_id 1
		.amdhsa_next_free_vgpr 12
		.amdhsa_next_free_sgpr 24
		.amdhsa_named_barrier_count 0
		.amdhsa_reserve_vcc 1
		.amdhsa_float_round_mode_32 0
		.amdhsa_float_round_mode_16_64 0
		.amdhsa_float_denorm_mode_32 3
		.amdhsa_float_denorm_mode_16_64 3
		.amdhsa_fp16_overflow 0
		.amdhsa_memory_ordered 1
		.amdhsa_forward_progress 1
		.amdhsa_inst_pref_size 6
		.amdhsa_round_robin_scheduling 0
		.amdhsa_exception_fp_ieee_invalid_op 0
		.amdhsa_exception_fp_denorm_src 0
		.amdhsa_exception_fp_ieee_div_zero 0
		.amdhsa_exception_fp_ieee_overflow 0
		.amdhsa_exception_fp_ieee_underflow 0
		.amdhsa_exception_fp_ieee_inexact 0
		.amdhsa_exception_int_div_zero 0
	.end_amdhsa_kernel
	.section	.text._ZN9rocsolver6v33100L15copyshift_rightI19rocblas_complex_numIdEPS3_EEvbiT0_iilPT_iil,"axG",@progbits,_ZN9rocsolver6v33100L15copyshift_rightI19rocblas_complex_numIdEPS3_EEvbiT0_iilPT_iil,comdat
.Lfunc_end128:
	.size	_ZN9rocsolver6v33100L15copyshift_rightI19rocblas_complex_numIdEPS3_EEvbiT0_iilPT_iil, .Lfunc_end128-_ZN9rocsolver6v33100L15copyshift_rightI19rocblas_complex_numIdEPS3_EEvbiT0_iilPT_iil
                                        ; -- End function
	.set _ZN9rocsolver6v33100L15copyshift_rightI19rocblas_complex_numIdEPS3_EEvbiT0_iilPT_iil.num_vgpr, 12
	.set _ZN9rocsolver6v33100L15copyshift_rightI19rocblas_complex_numIdEPS3_EEvbiT0_iilPT_iil.num_agpr, 0
	.set _ZN9rocsolver6v33100L15copyshift_rightI19rocblas_complex_numIdEPS3_EEvbiT0_iilPT_iil.numbered_sgpr, 24
	.set _ZN9rocsolver6v33100L15copyshift_rightI19rocblas_complex_numIdEPS3_EEvbiT0_iilPT_iil.num_named_barrier, 0
	.set _ZN9rocsolver6v33100L15copyshift_rightI19rocblas_complex_numIdEPS3_EEvbiT0_iilPT_iil.private_seg_size, 0
	.set _ZN9rocsolver6v33100L15copyshift_rightI19rocblas_complex_numIdEPS3_EEvbiT0_iilPT_iil.uses_vcc, 1
	.set _ZN9rocsolver6v33100L15copyshift_rightI19rocblas_complex_numIdEPS3_EEvbiT0_iilPT_iil.uses_flat_scratch, 0
	.set _ZN9rocsolver6v33100L15copyshift_rightI19rocblas_complex_numIdEPS3_EEvbiT0_iilPT_iil.has_dyn_sized_stack, 0
	.set _ZN9rocsolver6v33100L15copyshift_rightI19rocblas_complex_numIdEPS3_EEvbiT0_iilPT_iil.has_recursion, 0
	.set _ZN9rocsolver6v33100L15copyshift_rightI19rocblas_complex_numIdEPS3_EEvbiT0_iilPT_iil.has_indirect_call, 0
	.section	.AMDGPU.csdata,"",@progbits
; Kernel info:
; codeLenInByte = 648
; TotalNumSgprs: 26
; NumVgprs: 12
; ScratchSize: 0
; MemoryBound: 0
; FloatMode: 240
; IeeeMode: 1
; LDSByteSize: 0 bytes/workgroup (compile time only)
; SGPRBlocks: 0
; VGPRBlocks: 0
; NumSGPRsForWavesPerEU: 26
; NumVGPRsForWavesPerEU: 12
; NamedBarCnt: 0
; Occupancy: 16
; WaveLimiterHint : 0
; COMPUTE_PGM_RSRC2:SCRATCH_EN: 0
; COMPUTE_PGM_RSRC2:USER_SGPR: 2
; COMPUTE_PGM_RSRC2:TRAP_HANDLER: 0
; COMPUTE_PGM_RSRC2:TGID_X_EN: 1
; COMPUTE_PGM_RSRC2:TGID_Y_EN: 1
; COMPUTE_PGM_RSRC2:TGID_Z_EN: 1
; COMPUTE_PGM_RSRC2:TIDIG_COMP_CNT: 1
	.section	.text._ZN9rocsolver6v33100L16orgl2_init_identI19rocblas_complex_numIdEPS3_EEviiiT0_iil,"axG",@progbits,_ZN9rocsolver6v33100L16orgl2_init_identI19rocblas_complex_numIdEPS3_EEviiiT0_iil,comdat
	.globl	_ZN9rocsolver6v33100L16orgl2_init_identI19rocblas_complex_numIdEPS3_EEviiiT0_iil ; -- Begin function _ZN9rocsolver6v33100L16orgl2_init_identI19rocblas_complex_numIdEPS3_EEviiiT0_iil
	.p2align	8
	.type	_ZN9rocsolver6v33100L16orgl2_init_identI19rocblas_complex_numIdEPS3_EEviiiT0_iil,@function
_ZN9rocsolver6v33100L16orgl2_init_identI19rocblas_complex_numIdEPS3_EEviiiT0_iil: ; @_ZN9rocsolver6v33100L16orgl2_init_identI19rocblas_complex_numIdEPS3_EEviiiT0_iil
; %bb.0:
	s_clause 0x1
	s_load_b32 s2, s[0:1], 0x34
	s_load_b96 s[8:10], s[0:1], 0x0
	s_bfe_u32 s4, ttmp6, 0x4000c
	s_bfe_u32 s6, ttmp6, 0x40010
	s_and_b32 s5, ttmp7, 0xffff
	s_add_co_i32 s4, s4, 1
	s_add_co_i32 s6, s6, 1
	s_and_b32 s3, ttmp6, 15
	s_bfe_u32 s7, ttmp6, 0x40004
	s_mul_i32 s4, ttmp9, s4
	s_mul_i32 s6, s5, s6
	s_getreg_b32 s11, hwreg(HW_REG_IB_STS2, 6, 4)
	v_bfe_u32 v2, v0, 10, 10
	v_and_b32_e32 v0, 0x3ff, v0
	s_add_co_i32 s3, s3, s4
	s_add_co_i32 s7, s7, s6
	s_wait_kmcnt 0x0
	s_lshr_b32 s4, s2, 16
	s_and_b32 s2, s2, 0xffff
	s_cmp_eq_u32 s11, 0
	s_cselect_b32 s3, ttmp9, s3
	s_cselect_b32 s5, s5, s7
	v_mad_u32 v1, s3, s2, v0
	v_mad_u32 v0, s5, s4, v2
	s_mov_b32 s3, 0
	s_delay_alu instid0(VALU_DEP_2) | instskip(NEXT) | instid1(VALU_DEP_2)
	v_cmp_gt_u32_e32 vcc_lo, s8, v1
	v_cmp_gt_u32_e64 s2, s9, v0
	s_and_b32 s2, vcc_lo, s2
	s_delay_alu instid0(SALU_CYCLE_1)
	s_and_saveexec_b32 s4, s2
	s_cbranch_execz .LBB129_11
; %bb.1:
	s_clause 0x1
	s_load_b128 s[4:7], s[0:1], 0x10
	s_load_b64 s[8:9], s[0:1], 0x20
	s_wait_xcnt 0x0
	s_bfe_u32 s0, ttmp6, 0x40014
	s_lshr_b32 s2, ttmp7, 16
	s_add_co_i32 s0, s0, 1
	s_bfe_u32 s1, ttmp6, 0x40008
	s_mul_i32 s0, s2, s0
	s_delay_alu instid0(SALU_CYCLE_1)
	s_add_co_i32 s0, s1, s0
	s_wait_kmcnt 0x0
	s_ashr_i32 s1, s6, 31
	s_cmp_eq_u32 s11, 0
	s_cselect_b32 s2, s2, s0
	s_mov_b32 s0, s6
	s_mul_u64 s[2:3], s[8:9], s[2:3]
	s_lshl_b64 s[0:1], s[0:1], 4
	s_lshl_b64 s[2:3], s[2:3], 4
	s_delay_alu instid0(SALU_CYCLE_1) | instskip(NEXT) | instid1(SALU_CYCLE_1)
	s_add_nc_u64 s[2:3], s[4:5], s[2:3]
	s_add_nc_u64 s[0:1], s[2:3], s[0:1]
	s_mov_b32 s2, exec_lo
	v_cmpx_ne_u32_e64 v1, v0
	s_xor_b32 s2, exec_lo, s2
	s_cbranch_execz .LBB129_9
; %bb.2:
	s_mov_b32 s3, exec_lo
	v_cmpx_ge_u32_e64 v0, v1
	s_xor_b32 s3, exec_lo, s3
	s_cbranch_execz .LBB129_6
; %bb.3:
	s_mov_b32 s4, exec_lo
	v_cmpx_le_u32_e64 s10, v1
	s_cbranch_execz .LBB129_5
; %bb.4:
	v_mad_u32 v0, v0, s7, v1
	v_mov_b32_e32 v2, 0
	s_delay_alu instid0(VALU_DEP_1)
	v_dual_mov_b32 v3, v2 :: v_dual_mov_b32 v4, v2
	v_mov_b32_e32 v5, v2
	global_store_b128 v0, v[2:5], s[0:1] scale_offset
.LBB129_5:
	s_wait_xcnt 0x0
	s_or_b32 exec_lo, exec_lo, s4
                                        ; implicit-def: $vgpr0
                                        ; implicit-def: $vgpr1
.LBB129_6:
	s_and_not1_saveexec_b32 s3, s3
	s_cbranch_execz .LBB129_8
; %bb.7:
	v_mad_u32 v0, v0, s7, v1
	v_mov_b32_e32 v2, 0
	s_delay_alu instid0(VALU_DEP_1)
	v_dual_mov_b32 v3, v2 :: v_dual_mov_b32 v4, v2
	v_mov_b32_e32 v5, v2
	global_store_b128 v0, v[2:5], s[0:1] scale_offset
.LBB129_8:
	s_wait_xcnt 0x0
	s_or_b32 exec_lo, exec_lo, s3
                                        ; implicit-def: $vgpr0
.LBB129_9:
	s_and_not1_saveexec_b32 s2, s2
	s_cbranch_execz .LBB129_11
; %bb.10:
	v_mad_u32 v4, v0, s7, v0
	v_dual_mov_b32 v0, 0 :: v_dual_mov_b32 v1, 0x3ff00000
	s_delay_alu instid0(VALU_DEP_1)
	v_dual_mov_b32 v2, v0 :: v_dual_mov_b32 v3, v0
	global_store_b128 v4, v[0:3], s[0:1] scale_offset
.LBB129_11:
	s_endpgm
	.section	.rodata,"a",@progbits
	.p2align	6, 0x0
	.amdhsa_kernel _ZN9rocsolver6v33100L16orgl2_init_identI19rocblas_complex_numIdEPS3_EEviiiT0_iil
		.amdhsa_group_segment_fixed_size 0
		.amdhsa_private_segment_fixed_size 0
		.amdhsa_kernarg_size 296
		.amdhsa_user_sgpr_count 2
		.amdhsa_user_sgpr_dispatch_ptr 0
		.amdhsa_user_sgpr_queue_ptr 0
		.amdhsa_user_sgpr_kernarg_segment_ptr 1
		.amdhsa_user_sgpr_dispatch_id 0
		.amdhsa_user_sgpr_kernarg_preload_length 0
		.amdhsa_user_sgpr_kernarg_preload_offset 0
		.amdhsa_user_sgpr_private_segment_size 0
		.amdhsa_wavefront_size32 1
		.amdhsa_uses_dynamic_stack 0
		.amdhsa_enable_private_segment 0
		.amdhsa_system_sgpr_workgroup_id_x 1
		.amdhsa_system_sgpr_workgroup_id_y 1
		.amdhsa_system_sgpr_workgroup_id_z 1
		.amdhsa_system_sgpr_workgroup_info 0
		.amdhsa_system_vgpr_workitem_id 1
		.amdhsa_next_free_vgpr 6
		.amdhsa_next_free_sgpr 12
		.amdhsa_named_barrier_count 0
		.amdhsa_reserve_vcc 1
		.amdhsa_float_round_mode_32 0
		.amdhsa_float_round_mode_16_64 0
		.amdhsa_float_denorm_mode_32 3
		.amdhsa_float_denorm_mode_16_64 3
		.amdhsa_fp16_overflow 0
		.amdhsa_memory_ordered 1
		.amdhsa_forward_progress 1
		.amdhsa_inst_pref_size 4
		.amdhsa_round_robin_scheduling 0
		.amdhsa_exception_fp_ieee_invalid_op 0
		.amdhsa_exception_fp_denorm_src 0
		.amdhsa_exception_fp_ieee_div_zero 0
		.amdhsa_exception_fp_ieee_overflow 0
		.amdhsa_exception_fp_ieee_underflow 0
		.amdhsa_exception_fp_ieee_inexact 0
		.amdhsa_exception_int_div_zero 0
	.end_amdhsa_kernel
	.section	.text._ZN9rocsolver6v33100L16orgl2_init_identI19rocblas_complex_numIdEPS3_EEviiiT0_iil,"axG",@progbits,_ZN9rocsolver6v33100L16orgl2_init_identI19rocblas_complex_numIdEPS3_EEviiiT0_iil,comdat
.Lfunc_end129:
	.size	_ZN9rocsolver6v33100L16orgl2_init_identI19rocblas_complex_numIdEPS3_EEviiiT0_iil, .Lfunc_end129-_ZN9rocsolver6v33100L16orgl2_init_identI19rocblas_complex_numIdEPS3_EEviiiT0_iil
                                        ; -- End function
	.set _ZN9rocsolver6v33100L16orgl2_init_identI19rocblas_complex_numIdEPS3_EEviiiT0_iil.num_vgpr, 6
	.set _ZN9rocsolver6v33100L16orgl2_init_identI19rocblas_complex_numIdEPS3_EEviiiT0_iil.num_agpr, 0
	.set _ZN9rocsolver6v33100L16orgl2_init_identI19rocblas_complex_numIdEPS3_EEviiiT0_iil.numbered_sgpr, 12
	.set _ZN9rocsolver6v33100L16orgl2_init_identI19rocblas_complex_numIdEPS3_EEviiiT0_iil.num_named_barrier, 0
	.set _ZN9rocsolver6v33100L16orgl2_init_identI19rocblas_complex_numIdEPS3_EEviiiT0_iil.private_seg_size, 0
	.set _ZN9rocsolver6v33100L16orgl2_init_identI19rocblas_complex_numIdEPS3_EEviiiT0_iil.uses_vcc, 1
	.set _ZN9rocsolver6v33100L16orgl2_init_identI19rocblas_complex_numIdEPS3_EEviiiT0_iil.uses_flat_scratch, 0
	.set _ZN9rocsolver6v33100L16orgl2_init_identI19rocblas_complex_numIdEPS3_EEviiiT0_iil.has_dyn_sized_stack, 0
	.set _ZN9rocsolver6v33100L16orgl2_init_identI19rocblas_complex_numIdEPS3_EEviiiT0_iil.has_recursion, 0
	.set _ZN9rocsolver6v33100L16orgl2_init_identI19rocblas_complex_numIdEPS3_EEviiiT0_iil.has_indirect_call, 0
	.section	.AMDGPU.csdata,"",@progbits
; Kernel info:
; codeLenInByte = 500
; TotalNumSgprs: 14
; NumVgprs: 6
; ScratchSize: 0
; MemoryBound: 0
; FloatMode: 240
; IeeeMode: 1
; LDSByteSize: 0 bytes/workgroup (compile time only)
; SGPRBlocks: 0
; VGPRBlocks: 0
; NumSGPRsForWavesPerEU: 14
; NumVGPRsForWavesPerEU: 6
; NamedBarCnt: 0
; Occupancy: 16
; WaveLimiterHint : 0
; COMPUTE_PGM_RSRC2:SCRATCH_EN: 0
; COMPUTE_PGM_RSRC2:USER_SGPR: 2
; COMPUTE_PGM_RSRC2:TRAP_HANDLER: 0
; COMPUTE_PGM_RSRC2:TGID_X_EN: 1
; COMPUTE_PGM_RSRC2:TGID_Y_EN: 1
; COMPUTE_PGM_RSRC2:TGID_Z_EN: 1
; COMPUTE_PGM_RSRC2:TIDIG_COMP_CNT: 1
	.section	.text._ZN9rocsolver6v33100L14copyshift_downI19rocblas_complex_numIdEPS3_EEvbiT0_iilPT_iil,"axG",@progbits,_ZN9rocsolver6v33100L14copyshift_downI19rocblas_complex_numIdEPS3_EEvbiT0_iilPT_iil,comdat
	.globl	_ZN9rocsolver6v33100L14copyshift_downI19rocblas_complex_numIdEPS3_EEvbiT0_iilPT_iil ; -- Begin function _ZN9rocsolver6v33100L14copyshift_downI19rocblas_complex_numIdEPS3_EEvbiT0_iilPT_iil
	.p2align	8
	.type	_ZN9rocsolver6v33100L14copyshift_downI19rocblas_complex_numIdEPS3_EEvbiT0_iilPT_iil,@function
_ZN9rocsolver6v33100L14copyshift_downI19rocblas_complex_numIdEPS3_EEvbiT0_iilPT_iil: ; @_ZN9rocsolver6v33100L14copyshift_downI19rocblas_complex_numIdEPS3_EEvbiT0_iilPT_iil
; %bb.0:
	s_clause 0x3
	s_load_b128 s[8:11], s[0:1], 0x0
	s_load_b32 s12, s[0:1], 0x44
	s_load_b64 s[2:3], s[0:1], 0x10
	s_load_b128 s[4:7], s[0:1], 0x18
	s_getreg_b32 s13, hwreg(HW_REG_IB_STS2, 6, 4)
	v_and_b32_e32 v1, 0x3ff, v0
	v_bfe_u32 v0, v0, 10, 10
	s_wait_kmcnt 0x0
	s_bitcmp1_b32 s8, 0
	s_cselect_b32 s8, -1, 0
	s_bfe_u32 s17, ttmp6, 0x40014
	s_bfe_u32 s20, ttmp6, 0x40010
	s_bfe_u32 s23, ttmp6, 0x4000c
	s_lshr_b32 s16, ttmp7, 16
	s_and_b32 s19, ttmp7, 0xffff
	s_add_co_i32 s17, s17, 1
	s_add_co_i32 s20, s20, 1
	;; [unrolled: 1-line block ×3, first 2 shown]
	s_bfe_u32 s18, ttmp6, 0x40008
	s_bfe_u32 s21, ttmp6, 0x40004
	s_and_b32 s22, ttmp6, 15
	s_mul_i32 s17, s16, s17
	s_mul_i32 s20, s19, s20
	s_mul_i32 s23, ttmp9, s23
	s_lshr_b32 s14, s12, 16
	s_and_b32 s12, s12, 0xffff
	s_ashr_i32 s15, s2, 31
	s_xor_b32 s8, s8, -1
	s_add_co_i32 s18, s18, s17
	s_add_co_i32 s21, s21, s20
	;; [unrolled: 1-line block ×3, first 2 shown]
	s_cmp_eq_u32 s13, 0
	s_cselect_b32 s13, ttmp9, s22
	s_cselect_b32 s17, s19, s21
	v_mad_u32 v4, s13, s12, v1
	v_mad_u32 v0, s17, s14, v0
	s_mov_b32 s13, 0
	s_cselect_b32 s12, s16, s18
	s_mov_b32 s14, s2
	s_mul_u64 s[4:5], s[4:5], s[12:13]
	s_delay_alu instid0(SALU_CYCLE_1) | instskip(NEXT) | instid1(SALU_CYCLE_1)
	s_lshl_b64 s[4:5], s[4:5], 4
	s_add_nc_u64 s[4:5], s[10:11], s[4:5]
	s_lshl_b64 s[10:11], s[14:15], 4
	s_delay_alu instid0(VALU_DEP_1) | instskip(SKIP_1) | instid1(VALU_DEP_1)
	v_or_b32_e32 v1, v4, v0
	s_add_nc_u64 s[4:5], s[4:5], s[10:11]
	v_cmp_eq_u32_e32 vcc_lo, 0, v1
	s_and_b32 s10, s8, vcc_lo
	s_delay_alu instid0(SALU_CYCLE_1)
	s_and_saveexec_b32 s2, s10
	s_cbranch_execz .LBB130_2
; %bb.1:
	v_dual_mov_b32 v6, 0 :: v_dual_mov_b32 v7, 0x3ff00000
	s_delay_alu instid0(VALU_DEP_1)
	v_dual_mov_b32 v8, v6 :: v_dual_mov_b32 v9, v6
	global_store_b128 v6, v[6:9], s[4:5]
.LBB130_2:
	s_wait_xcnt 0x0
	s_or_b32 exec_lo, exec_lo, s2
	v_max_u32_e32 v1, v0, v4
	v_cmp_le_u32_e64 s2, v4, v0
	s_delay_alu instid0(VALU_DEP_2) | instskip(SKIP_1) | instid1(SALU_CYCLE_1)
	v_cmp_gt_u32_e32 vcc_lo, s9, v1
	s_and_b32 s2, s2, vcc_lo
	s_and_saveexec_b32 s9, s2
	s_cbranch_execz .LBB130_11
; %bb.3:
	s_clause 0x1
	s_load_b64 s[10:11], s[0:1], 0x30
	s_load_b32 s14, s[0:1], 0x28
	v_add_nc_u32_e32 v6, 1, v0
	s_and_b32 vcc_lo, exec_lo, s8
	s_mov_b32 s2, -1
	s_delay_alu instid0(VALU_DEP_1) | instskip(NEXT) | instid1(VALU_DEP_1)
	v_mul_lo_u32 v1, v6, v0
	v_lshrrev_b32_e32 v1, 1, v1
	s_wait_kmcnt 0x0
	s_mul_u64 s[0:1], s[10:11], s[12:13]
	s_ashr_i32 s15, s14, 31
	s_lshl_b64 s[0:1], s[0:1], 4
	v_add_nc_u32_e32 v5, v4, v1
	s_lshl_b64 s[8:9], s[14:15], 4
	s_add_nc_u64 s[0:1], s[6:7], s[0:1]
	s_delay_alu instid0(SALU_CYCLE_1)
	s_add_nc_u64 s[0:1], s[0:1], s[8:9]
	s_cbranch_vccz .LBB130_7
; %bb.4:
	global_load_b128 v[8:11], v5, s[0:1] scale_offset
	v_mad_u32 v1, v6, s3, v4
	s_mov_b32 s2, exec_lo
	s_wait_loadcnt 0x0
	global_store_b128 v1, v[8:11], s[4:5] scale_offset
	s_wait_xcnt 0x0
	v_cmpx_eq_u32_e64 v4, v0
	s_cbranch_execz .LBB130_6
; %bb.5:
	v_mov_b32_e32 v0, 0
	s_delay_alu instid0(VALU_DEP_1)
	v_dual_mov_b32 v1, v0 :: v_dual_mov_b32 v2, v0
	v_mov_b32_e32 v3, v0
	global_store_b128 v4, v[0:3], s[4:5] offset:16 scale_offset
.LBB130_6:
	s_wait_xcnt 0x0
	s_or_b32 exec_lo, exec_lo, s2
	s_mov_b32 s2, 0
.LBB130_7:
	s_delay_alu instid0(SALU_CYCLE_1)
	s_and_not1_b32 vcc_lo, exec_lo, s2
	s_cbranch_vccnz .LBB130_11
; %bb.8:
	v_mov_b64_e32 v[0:1], 0
	v_mov_b64_e32 v[2:3], 0
	s_mov_b32 s2, exec_lo
	v_cmpx_ne_u32_e32 0, v4
	s_cbranch_execz .LBB130_10
; %bb.9:
	v_mul_lo_u32 v0, v6, s3
	s_delay_alu instid0(VALU_DEP_1)
	v_add3_u32 v0, v4, v0, -1
	global_load_b128 v[0:3], v0, s[4:5] scale_offset
.LBB130_10:
	s_wait_xcnt 0x0
	s_or_b32 exec_lo, exec_lo, s2
	s_wait_loadcnt 0x0
	global_store_b128 v5, v[0:3], s[0:1] scale_offset
.LBB130_11:
	s_endpgm
	.section	.rodata,"a",@progbits
	.p2align	6, 0x0
	.amdhsa_kernel _ZN9rocsolver6v33100L14copyshift_downI19rocblas_complex_numIdEPS3_EEvbiT0_iilPT_iil
		.amdhsa_group_segment_fixed_size 0
		.amdhsa_private_segment_fixed_size 0
		.amdhsa_kernarg_size 312
		.amdhsa_user_sgpr_count 2
		.amdhsa_user_sgpr_dispatch_ptr 0
		.amdhsa_user_sgpr_queue_ptr 0
		.amdhsa_user_sgpr_kernarg_segment_ptr 1
		.amdhsa_user_sgpr_dispatch_id 0
		.amdhsa_user_sgpr_kernarg_preload_length 0
		.amdhsa_user_sgpr_kernarg_preload_offset 0
		.amdhsa_user_sgpr_private_segment_size 0
		.amdhsa_wavefront_size32 1
		.amdhsa_uses_dynamic_stack 0
		.amdhsa_enable_private_segment 0
		.amdhsa_system_sgpr_workgroup_id_x 1
		.amdhsa_system_sgpr_workgroup_id_y 1
		.amdhsa_system_sgpr_workgroup_id_z 1
		.amdhsa_system_sgpr_workgroup_info 0
		.amdhsa_system_vgpr_workitem_id 1
		.amdhsa_next_free_vgpr 12
		.amdhsa_next_free_sgpr 24
		.amdhsa_named_barrier_count 0
		.amdhsa_reserve_vcc 1
		.amdhsa_float_round_mode_32 0
		.amdhsa_float_round_mode_16_64 0
		.amdhsa_float_denorm_mode_32 3
		.amdhsa_float_denorm_mode_16_64 3
		.amdhsa_fp16_overflow 0
		.amdhsa_memory_ordered 1
		.amdhsa_forward_progress 1
		.amdhsa_inst_pref_size 5
		.amdhsa_round_robin_scheduling 0
		.amdhsa_exception_fp_ieee_invalid_op 0
		.amdhsa_exception_fp_denorm_src 0
		.amdhsa_exception_fp_ieee_div_zero 0
		.amdhsa_exception_fp_ieee_overflow 0
		.amdhsa_exception_fp_ieee_underflow 0
		.amdhsa_exception_fp_ieee_inexact 0
		.amdhsa_exception_int_div_zero 0
	.end_amdhsa_kernel
	.section	.text._ZN9rocsolver6v33100L14copyshift_downI19rocblas_complex_numIdEPS3_EEvbiT0_iilPT_iil,"axG",@progbits,_ZN9rocsolver6v33100L14copyshift_downI19rocblas_complex_numIdEPS3_EEvbiT0_iilPT_iil,comdat
.Lfunc_end130:
	.size	_ZN9rocsolver6v33100L14copyshift_downI19rocblas_complex_numIdEPS3_EEvbiT0_iilPT_iil, .Lfunc_end130-_ZN9rocsolver6v33100L14copyshift_downI19rocblas_complex_numIdEPS3_EEvbiT0_iilPT_iil
                                        ; -- End function
	.set _ZN9rocsolver6v33100L14copyshift_downI19rocblas_complex_numIdEPS3_EEvbiT0_iilPT_iil.num_vgpr, 12
	.set _ZN9rocsolver6v33100L14copyshift_downI19rocblas_complex_numIdEPS3_EEvbiT0_iilPT_iil.num_agpr, 0
	.set _ZN9rocsolver6v33100L14copyshift_downI19rocblas_complex_numIdEPS3_EEvbiT0_iilPT_iil.numbered_sgpr, 24
	.set _ZN9rocsolver6v33100L14copyshift_downI19rocblas_complex_numIdEPS3_EEvbiT0_iilPT_iil.num_named_barrier, 0
	.set _ZN9rocsolver6v33100L14copyshift_downI19rocblas_complex_numIdEPS3_EEvbiT0_iilPT_iil.private_seg_size, 0
	.set _ZN9rocsolver6v33100L14copyshift_downI19rocblas_complex_numIdEPS3_EEvbiT0_iilPT_iil.uses_vcc, 1
	.set _ZN9rocsolver6v33100L14copyshift_downI19rocblas_complex_numIdEPS3_EEvbiT0_iilPT_iil.uses_flat_scratch, 0
	.set _ZN9rocsolver6v33100L14copyshift_downI19rocblas_complex_numIdEPS3_EEvbiT0_iilPT_iil.has_dyn_sized_stack, 0
	.set _ZN9rocsolver6v33100L14copyshift_downI19rocblas_complex_numIdEPS3_EEvbiT0_iilPT_iil.has_recursion, 0
	.set _ZN9rocsolver6v33100L14copyshift_downI19rocblas_complex_numIdEPS3_EEvbiT0_iilPT_iil.has_indirect_call, 0
	.section	.AMDGPU.csdata,"",@progbits
; Kernel info:
; codeLenInByte = 628
; TotalNumSgprs: 26
; NumVgprs: 12
; ScratchSize: 0
; MemoryBound: 0
; FloatMode: 240
; IeeeMode: 1
; LDSByteSize: 0 bytes/workgroup (compile time only)
; SGPRBlocks: 0
; VGPRBlocks: 0
; NumSGPRsForWavesPerEU: 26
; NumVGPRsForWavesPerEU: 12
; NamedBarCnt: 0
; Occupancy: 16
; WaveLimiterHint : 0
; COMPUTE_PGM_RSRC2:SCRATCH_EN: 0
; COMPUTE_PGM_RSRC2:USER_SGPR: 2
; COMPUTE_PGM_RSRC2:TRAP_HANDLER: 0
; COMPUTE_PGM_RSRC2:TGID_X_EN: 1
; COMPUTE_PGM_RSRC2:TGID_Y_EN: 1
; COMPUTE_PGM_RSRC2:TGID_Z_EN: 1
; COMPUTE_PGM_RSRC2:TIDIG_COMP_CNT: 1
	.section	.text._ZN9rocsolver6v33100L10bdsqr_initI19rocblas_complex_numIdEdEEviPT0_lS5_lPiiS4_S4_S6_S5_lS6_,"axG",@progbits,_ZN9rocsolver6v33100L10bdsqr_initI19rocblas_complex_numIdEdEEviPT0_lS5_lPiiS4_S4_S6_S5_lS6_,comdat
	.globl	_ZN9rocsolver6v33100L10bdsqr_initI19rocblas_complex_numIdEdEEviPT0_lS5_lPiiS4_S4_S6_S5_lS6_ ; -- Begin function _ZN9rocsolver6v33100L10bdsqr_initI19rocblas_complex_numIdEdEEviPT0_lS5_lPiiS4_S4_S6_S5_lS6_
	.p2align	8
	.type	_ZN9rocsolver6v33100L10bdsqr_initI19rocblas_complex_numIdEdEEviPT0_lS5_lPiiS4_S4_S6_S5_lS6_,@function
_ZN9rocsolver6v33100L10bdsqr_initI19rocblas_complex_numIdEdEEviPT0_lS5_lPiiS4_S4_S6_S5_lS6_: ; @_ZN9rocsolver6v33100L10bdsqr_initI19rocblas_complex_numIdEdEEviPT0_lS5_lPiiS4_S4_S6_S5_lS6_
; %bb.0:
	s_clause 0x1
	s_load_b32 s2, s[0:1], 0x0
	s_load_b256 s[4:11], s[0:1], 0x8
	s_bfe_u32 s3, ttmp6, 0x40010
	s_bfe_u32 s12, ttmp6, 0x40004
	s_add_co_i32 s3, s3, 1
	s_getreg_b32 s13, hwreg(HW_REG_IB_STS2, 6, 4)
	s_mul_i32 s3, ttmp7, s3
	s_load_b64 s[16:17], s[0:1], 0x28
	s_add_co_i32 s12, s12, s3
	s_wait_kmcnt 0x0
	s_ashr_i32 s3, s2, 31
	s_cmp_eq_u32 s13, 0
	v_cmp_gt_i64_e64 s20, s[2:3], 1
	s_cselect_b32 s14, ttmp7, s12
	s_delay_alu instid0(SALU_CYCLE_1) | instskip(NEXT) | instid1(SALU_CYCLE_1)
	s_ashr_i32 s15, s14, 31
	s_mul_u64 s[6:7], s[6:7], s[14:15]
	s_delay_alu instid0(SALU_CYCLE_1) | instskip(NEXT) | instid1(SALU_CYCLE_1)
	s_lshl_b64 s[6:7], s[6:7], 3
	s_add_nc_u64 s[18:19], s[4:5], s[6:7]
	s_lshl_b64 s[4:5], s[2:3], 3
	v_cmp_lt_i64_e64 s7, s[2:3], 2
	s_add_nc_u64 s[12:13], s[18:19], s[4:5]
	s_mov_b32 s3, 1
	s_add_nc_u64 s[4:5], s[12:13], -8
	s_clause 0x1
	s_load_b64 s[22:23], s[18:19], 0x0
	s_load_b64 s[24:25], s[4:5], 0x0
	s_wait_xcnt 0x0
	s_mul_u64 s[4:5], s[10:11], s[14:15]
	s_delay_alu instid0(SALU_CYCLE_1) | instskip(NEXT) | instid1(SALU_CYCLE_1)
	s_lshl_b64 s[10:11], s[4:5], 3
	s_add_nc_u64 s[8:9], s[8:9], s[10:11]
	s_wait_kmcnt 0x0
	v_cmp_ge_f64_e64 s6, s[22:23], s[24:25]
	s_and_b32 s4, s6, exec_lo
	s_cselect_b32 s5, s23, s25
	s_cselect_b32 s4, s22, s24
	s_bitset0_b32 s5, 31
	s_and_b32 vcc_lo, exec_lo, s7
	v_mov_b64_e32 v[0:1], s[4:5]
	s_cbranch_vccnz .LBB131_3
; %bb.1:
	v_mov_b64_e32 v[0:1], s[4:5]
	v_mov_b64_e32 v[2:3], s[4:5]
	s_add_co_i32 s4, s2, -2
.LBB131_2:                              ; =>This Inner Loop Header: Depth=1
	s_and_b32 s5, s6, exec_lo
	s_cselect_b32 s10, s3, s4
	s_add_co_i32 s5, s3, -1
	s_and_b32 s7, s6, exec_lo
	s_cselect_b32 s22, s5, s4
	s_ashr_i32 s11, s10, 31
	s_ashr_i32 s23, s22, 31
	s_lshl_b64 s[10:11], s[10:11], 3
	s_lshl_b64 s[22:23], s[22:23], 3
	s_add_nc_u64 s[10:11], s[18:19], s[10:11]
	s_add_nc_u64 s[22:23], s[8:9], s[22:23]
	s_load_b64 s[10:11], s[10:11], 0x0
	s_add_co_i32 s3, s3, 1
	s_load_b64 s[22:23], s[22:23], 0x0
	s_add_co_i32 s4, s4, -1
	s_cmp_lg_u32 s3, s2
	s_wait_kmcnt 0x0
	v_add_f64_e64 v[4:5], v[2:3], |s[22:23]|
	s_delay_alu instid0(VALU_DEP_1) | instskip(SKIP_1) | instid1(VALU_DEP_2)
	v_div_scale_f64 v[6:7], null, v[4:5], v[4:5], v[2:3]
	v_div_scale_f64 v[12:13], vcc_lo, v[2:3], v[4:5], v[2:3]
	v_rcp_f64_e32 v[8:9], v[6:7]
	v_nop
	s_delay_alu instid0(TRANS32_DEP_1) | instskip(NEXT) | instid1(VALU_DEP_1)
	v_fma_f64 v[10:11], -v[6:7], v[8:9], 1.0
	v_fmac_f64_e32 v[8:9], v[8:9], v[10:11]
	s_delay_alu instid0(VALU_DEP_1) | instskip(NEXT) | instid1(VALU_DEP_1)
	v_fma_f64 v[10:11], -v[6:7], v[8:9], 1.0
	v_fmac_f64_e32 v[8:9], v[8:9], v[10:11]
	s_delay_alu instid0(VALU_DEP_1) | instskip(NEXT) | instid1(VALU_DEP_1)
	v_mul_f64_e32 v[10:11], v[12:13], v[8:9]
	v_fma_f64 v[6:7], -v[6:7], v[10:11], v[12:13]
	s_delay_alu instid0(VALU_DEP_1) | instskip(NEXT) | instid1(VALU_DEP_1)
	v_div_fmas_f64 v[6:7], v[6:7], v[8:9], v[10:11]
	v_div_fixup_f64 v[2:3], v[6:7], v[4:5], v[2:3]
	s_delay_alu instid0(VALU_DEP_1) | instskip(NEXT) | instid1(VALU_DEP_1)
	v_mul_f64_e64 v[2:3], |s[10:11]|, v[2:3]
	v_cmp_lt_f64_e32 vcc_lo, v[2:3], v[0:1]
	v_dual_cndmask_b32 v1, v1, v3 :: v_dual_cndmask_b32 v0, v0, v2
	s_cbranch_scc1 .LBB131_2
.LBB131_3:
	v_cvt_f64_i32_e32 v[2:3], s2
	s_load_b128 s[4:7], s[0:1], 0x58
	s_lshl_b32 s25, s2, 1
	s_add_co_i32 s3, s2, -1
	s_mul_i32 s10, s25, s14
	s_load_b256 s[36:43], s[0:1], 0x38
	s_ashr_i32 s11, s10, 31
	s_wait_xcnt 0x0
	s_load_b32 s0, s[0:1], 0x30
	s_lshl_b64 s[10:11], s[10:11], 2
	s_mov_b32 s26, 0
	s_mov_b32 s24, 0
	s_wait_kmcnt 0x0
	s_mul_u64 s[4:5], s[4:5], s[14:15]
	s_delay_alu instid0(SALU_CYCLE_1) | instskip(NEXT) | instid1(VALU_DEP_1)
	s_lshl_b64 s[22:23], s[4:5], 3
	v_cmp_gt_f64_e32 vcc_lo, 0x10000000, v[2:3]
	s_and_b32 s4, vcc_lo, exec_lo
	s_cselect_b32 s4, 0x100, 0
	s_delay_alu instid0(SALU_CYCLE_1) | instskip(SKIP_1) | instid1(VALU_DEP_1)
	v_ldexp_f64 v[2:3], v[2:3], s4
	s_cselect_b32 s4, 0xffffff80, 0
	v_rsq_f64_e32 v[4:5], v[2:3]
	v_cmp_class_f64_e64 vcc_lo, v[2:3], 0x260
	s_delay_alu instid0(TRANS32_DEP_1) | instskip(SKIP_1) | instid1(VALU_DEP_1)
	v_mul_f64_e32 v[6:7], v[2:3], v[4:5]
	v_mul_f64_e32 v[4:5], 0.5, v[4:5]
	v_fma_f64 v[8:9], -v[4:5], v[6:7], 0.5
	s_delay_alu instid0(VALU_DEP_1) | instskip(SKIP_1) | instid1(VALU_DEP_2)
	v_fmac_f64_e32 v[6:7], v[6:7], v[8:9]
	v_fmac_f64_e32 v[4:5], v[4:5], v[8:9]
	v_fma_f64 v[8:9], -v[6:7], v[6:7], v[2:3]
	s_delay_alu instid0(VALU_DEP_1) | instskip(NEXT) | instid1(VALU_DEP_1)
	v_fmac_f64_e32 v[6:7], v[8:9], v[4:5]
	v_fma_f64 v[8:9], -v[6:7], v[6:7], v[2:3]
	s_delay_alu instid0(VALU_DEP_1) | instskip(NEXT) | instid1(VALU_DEP_1)
	v_fmac_f64_e32 v[6:7], v[8:9], v[4:5]
	v_ldexp_f64 v[4:5], v[6:7], s4
	v_mul_f64_e32 v[6:7], s[38:39], v[0:1]
	s_add_nc_u64 s[4:5], s[40:41], s[10:11]
	s_mov_b32 s10, 0
	s_delay_alu instid0(VALU_DEP_2) | instskip(NEXT) | instid1(VALU_DEP_1)
	v_dual_cndmask_b32 v3, v5, v3 :: v_dual_cndmask_b32 v2, v4, v2
	v_div_scale_f64 v[4:5], null, v[2:3], v[2:3], v[6:7]
	v_div_scale_f64 v[12:13], vcc_lo, v[6:7], v[2:3], v[6:7]
	s_delay_alu instid0(VALU_DEP_2) | instskip(SKIP_1) | instid1(TRANS32_DEP_1)
	v_rcp_f64_e32 v[8:9], v[4:5]
	v_nop
	v_fma_f64 v[10:11], -v[4:5], v[8:9], 1.0
	s_delay_alu instid0(VALU_DEP_1) | instskip(NEXT) | instid1(VALU_DEP_1)
	v_fmac_f64_e32 v[8:9], v[8:9], v[10:11]
	v_fma_f64 v[10:11], -v[4:5], v[8:9], 1.0
	s_delay_alu instid0(VALU_DEP_1) | instskip(NEXT) | instid1(VALU_DEP_1)
	v_fmac_f64_e32 v[8:9], v[8:9], v[10:11]
	v_mul_f64_e32 v[10:11], v[12:13], v[8:9]
	s_delay_alu instid0(VALU_DEP_1) | instskip(NEXT) | instid1(VALU_DEP_1)
	v_fma_f64 v[4:5], -v[4:5], v[10:11], v[12:13]
	v_div_fmas_f64 v[4:5], v[4:5], v[8:9], v[10:11]
	v_cvt_f64_i32_e32 v[8:9], s0
	v_cndmask_b32_e64 v10, 0, 1, s20
	s_add_nc_u64 s[0:1], s[42:43], s[22:23]
	s_delay_alu instid0(VALU_DEP_3) | instskip(NEXT) | instid1(VALU_DEP_3)
	v_div_fixup_f64 v[2:3], v[4:5], v[2:3], v[6:7]
	v_dual_mul_f64 v[6:7], s[36:37], v[8:9] :: v_dual_mov_b32 v4, 0
	s_delay_alu instid0(VALU_DEP_1)
	v_cmp_lt_f64_e32 vcc_lo, v[2:3], v[6:7]
	v_dual_cndmask_b32 v3, v3, v7 :: v_dual_cndmask_b32 v2, v2, v6
	s_and_not1_b32 vcc_lo, exec_lo, s20
	global_store_b128 v4, v[0:3], s[0:1]
	s_cbranch_vccnz .LBB131_15
; %bb.4:
	s_wait_xcnt 0x0
	v_mov_b64_e32 v[0:1], 0
	s_mov_b32 s21, 0
	s_delay_alu instid0(SALU_CYCLE_1)
	s_mov_b32 s10, s21
	s_mov_b32 s20, s21
	s_branch .LBB131_7
.LBB131_5:                              ;   in Loop: Header=BB131_7 Depth=1
	s_mov_b32 s20, s11
.LBB131_6:                              ;   in Loop: Header=BB131_7 Depth=1
	v_and_b32_e32 v7, 0x7fffffff, v7
	s_wait_loadcnt 0x0
	v_cmp_nlg_f64_e64 s11, 0x7ff00000, |v[8:9]|
	s_delay_alu instid0(VALU_DEP_2) | instskip(SKIP_1) | instid1(SALU_CYCLE_1)
	v_cmp_nlg_f64_e32 vcc_lo, 0x7ff00000, v[6:7]
	s_or_b32 s11, s11, vcc_lo
	s_or_b32 s26, s11, s26
	s_cmp_eq_u32 s20, s3
	s_cbranch_scc1 .LBB131_15
.LBB131_7:                              ; =>This Inner Loop Header: Depth=1
	s_lshl_b32 s22, s20, 2
	s_delay_alu instid0(SALU_CYCLE_1) | instskip(NEXT) | instid1(SALU_CYCLE_1)
	s_or_b32 s11, s22, 3
	s_cmp_ge_i32 s11, s25
	s_cbranch_scc1 .LBB131_9
; %bb.8:                                ;   in Loop: Header=BB131_7 Depth=1
	s_mov_b32 s23, s21
	s_wait_xcnt 0x0
	v_dual_mov_b32 v5, v4 :: v_dual_mov_b32 v6, v4
	v_mov_b32_e32 v7, v4
	s_lshl_b64 s[22:23], s[22:23], 2
	s_delay_alu instid0(SALU_CYCLE_1)
	s_add_nc_u64 s[22:23], s[4:5], s[22:23]
	global_store_b128 v4, v[4:7], s[22:23]
	global_wb scope:SCOPE_DEV
	s_wait_storecnt 0x0
	global_inv scope:SCOPE_DEV
.LBB131_9:                              ;   in Loop: Header=BB131_7 Depth=1
	s_wait_xcnt 0x0
	v_mov_b32_e32 v5, s20
	s_mov_b32 s22, -1
	s_clause 0x1
	global_load_b64 v[6:7], v5, s[8:9] scale_offset
	global_load_b64 v[8:9], v5, s[18:19] scale_offset
	s_wait_loadcnt 0x1
	v_cmp_lt_f64_e64 s11, |v[6:7]|, v[2:3]
	s_and_b32 vcc_lo, exec_lo, s11
                                        ; implicit-def: $sgpr11
	s_cbranch_vccnz .LBB131_11
; %bb.10:                               ;   in Loop: Header=BB131_7 Depth=1
	s_add_co_i32 s11, s20, 1
	s_mov_b32 s22, 0
.LBB131_11:                             ;   in Loop: Header=BB131_7 Depth=1
	s_delay_alu instid0(SALU_CYCLE_1)
	s_and_not1_b32 vcc_lo, exec_lo, s22
	s_cbranch_vccnz .LBB131_5
; %bb.12:                               ;   in Loop: Header=BB131_7 Depth=1
	s_lshl_b64 s[22:23], s[20:21], 3
	s_cmp_ge_i32 s10, s20
	s_add_nc_u64 s[22:23], s[8:9], s[22:23]
	global_store_b64 v4, v[0:1], s[22:23]
	s_cbranch_scc1 .LBB131_14
; %bb.13:                               ;   in Loop: Header=BB131_7 Depth=1
	s_mov_b32 s11, s20
	s_wait_xcnt 0x0
	s_lshl_b32 s22, s24, 2
	v_mov_b64_e32 v[12:13], s[10:11]
	s_ashr_i32 s23, s22, 31
	s_add_co_i32 s24, s24, 1
	s_lshl_b64 s[10:11], s[22:23], 2
	s_delay_alu instid0(SALU_CYCLE_1)
	s_add_nc_u64 s[10:11], s[4:5], s[10:11]
	global_store_b64 v4, v[12:13], s[10:11] offset:4
.LBB131_14:                             ;   in Loop: Header=BB131_7 Depth=1
	s_add_co_i32 s20, s20, 1
	s_wait_xcnt 0x0
	s_mov_b32 s10, s20
	s_branch .LBB131_6
.LBB131_15:
	s_wait_xcnt 0x0
	v_mov_b32_e32 v2, 0
	s_cmp_lt_i32 s10, s3
	global_load_b64 v[0:1], v2, s[12:13] offset:-8
	s_cbranch_scc0 .LBB131_17
; %bb.16:
	s_lshl_b32 s20, s24, 2
	v_dual_mov_b32 v4, s10 :: v_dual_mov_b32 v5, s3
	s_ashr_i32 s21, s20, 31
	s_delay_alu instid0(SALU_CYCLE_1) | instskip(NEXT) | instid1(SALU_CYCLE_1)
	s_lshl_b64 s[10:11], s[20:21], 2
	s_add_nc_u64 s[4:5], s[4:5], s[10:11]
	global_store_b64 v2, v[4:5], s[4:5] offset:4
.LBB131_17:
	s_wait_loadcnt 0x0
	v_cmp_nlg_f64_e64 s4, 0x7ff00000, |v[0:1]|
	s_or_b32 s4, s4, s26
	s_delay_alu instid0(SALU_CYCLE_1)
	s_and_not1_b32 vcc_lo, exec_lo, s4
	s_mov_b32 s4, -1
	s_cbranch_vccz .LBB131_22
; %bb.18:
	s_add_co_i32 s5, s24, 1
	v_mov_b32_e32 v2, 0
	v_cvt_f64_i32_e32 v[0:1], s5
	s_lshl_b64 s[10:11], s[14:15], 2
	s_mov_b32 s4, 0
	s_cmp_lt_i32 s24, 0
	v_mov_b32_e32 v3, v2
	s_add_nc_u64 s[10:11], s[16:17], s[10:11]
	s_clause 0x1
	global_store_b128 v2, v[0:3], s[0:1] offset:16
	global_store_b32 v2, v2, s[10:11]
	s_cbranch_scc1 .LBB131_22
; %bb.19:
	s_wait_xcnt 0x1
	v_mov_b32_e32 v1, 0
	s_mov_b32 s0, 0
.LBB131_20:                             ; =>This Inner Loop Header: Depth=1
	v_mov_b32_e32 v0, s5
	s_wait_xcnt 0x0
	global_atomic_cmpswap_b32 v1, v2, v[0:1], s[6:7] offset:4 th:TH_ATOMIC_RETURN scope:SCOPE_DEV
	s_wait_loadcnt 0x0
	v_cmp_lt_i32_e32 vcc_lo, s24, v1
	s_or_b32 s0, vcc_lo, s0
	s_wait_xcnt 0x0
	s_and_not1_b32 exec_lo, exec_lo, s0
	s_cbranch_execnz .LBB131_20
; %bb.21:
	s_or_b32 exec_lo, exec_lo, s0
.LBB131_22:
	s_delay_alu instid0(SALU_CYCLE_1)
	s_and_not1_b32 vcc_lo, exec_lo, s4
	s_cbranch_vccnz .LBB131_28
; %bb.23:
	v_cmp_ne_u32_e32 vcc_lo, 1, v10
	s_cbranch_vccnz .LBB131_26
; %bb.24:
	s_wait_xcnt 0x1
	v_mov_b64_e32 v[0:1], 0x7ff8000000000000
	s_wait_xcnt 0x0
	v_mov_b32_e32 v2, 0
.LBB131_25:                             ; =>This Inner Loop Header: Depth=1
	s_add_co_i32 s3, s3, -1
	s_clause 0x1
	global_store_b64 v2, v[0:1], s[18:19]
	global_store_b64 v2, v[0:1], s[8:9]
	s_wait_xcnt 0x1
	s_add_nc_u64 s[18:19], s[18:19], 8
	s_cmp_eq_u32 s3, 0
	s_wait_xcnt 0x0
	s_add_nc_u64 s[8:9], s[8:9], 8
	s_cbranch_scc0 .LBB131_25
.LBB131_26:
	s_wait_xcnt 0x1
	s_mov_b32 s0, exec_lo
	s_wait_xcnt 0x0
	v_mov_b64_e32 v[2:3], 0x7ff8000000000000
	v_mbcnt_lo_u32_b32 v1, s0, 0
	v_dual_mov_b32 v0, 0 :: v_dual_mov_b32 v4, s2
	s_lshl_b64 s[4:5], s[14:15], 2
	v_mov_b32_e32 v5, 2
	s_add_nc_u64 s[8:9], s[16:17], s[4:5]
	s_add_nc_u64 s[2:3], s[6:7], s[4:5]
	s_clause 0x2
	global_store_b64 v0, v[2:3], s[12:13] offset:-8
	global_store_b32 v0, v4, s[8:9]
	global_store_b32 v0, v5, s[2:3] offset:8
	s_mov_b32 s1, exec_lo
	s_wait_xcnt 0x0
	v_cmpx_eq_u32_e32 0, v1
	s_cbranch_execz .LBB131_28
; %bb.27:
	s_bcnt1_i32_b32 s0, s0
	s_delay_alu instid0(SALU_CYCLE_1)
	v_mov_b32_e32 v1, s0
	global_atomic_add_u32 v0, v1, s[6:7] scope:SCOPE_DEV
.LBB131_28:
	s_endpgm
	.section	.rodata,"a",@progbits
	.p2align	6, 0x0
	.amdhsa_kernel _ZN9rocsolver6v33100L10bdsqr_initI19rocblas_complex_numIdEdEEviPT0_lS5_lPiiS4_S4_S6_S5_lS6_
		.amdhsa_group_segment_fixed_size 0
		.amdhsa_private_segment_fixed_size 0
		.amdhsa_kernarg_size 104
		.amdhsa_user_sgpr_count 2
		.amdhsa_user_sgpr_dispatch_ptr 0
		.amdhsa_user_sgpr_queue_ptr 0
		.amdhsa_user_sgpr_kernarg_segment_ptr 1
		.amdhsa_user_sgpr_dispatch_id 0
		.amdhsa_user_sgpr_kernarg_preload_length 0
		.amdhsa_user_sgpr_kernarg_preload_offset 0
		.amdhsa_user_sgpr_private_segment_size 0
		.amdhsa_wavefront_size32 1
		.amdhsa_uses_dynamic_stack 0
		.amdhsa_enable_private_segment 0
		.amdhsa_system_sgpr_workgroup_id_x 1
		.amdhsa_system_sgpr_workgroup_id_y 1
		.amdhsa_system_sgpr_workgroup_id_z 0
		.amdhsa_system_sgpr_workgroup_info 0
		.amdhsa_system_vgpr_workitem_id 0
		.amdhsa_next_free_vgpr 14
		.amdhsa_next_free_sgpr 44
		.amdhsa_named_barrier_count 0
		.amdhsa_reserve_vcc 1
		.amdhsa_float_round_mode_32 0
		.amdhsa_float_round_mode_16_64 0
		.amdhsa_float_denorm_mode_32 3
		.amdhsa_float_denorm_mode_16_64 3
		.amdhsa_fp16_overflow 0
		.amdhsa_memory_ordered 1
		.amdhsa_forward_progress 1
		.amdhsa_inst_pref_size 13
		.amdhsa_round_robin_scheduling 0
		.amdhsa_exception_fp_ieee_invalid_op 0
		.amdhsa_exception_fp_denorm_src 0
		.amdhsa_exception_fp_ieee_div_zero 0
		.amdhsa_exception_fp_ieee_overflow 0
		.amdhsa_exception_fp_ieee_underflow 0
		.amdhsa_exception_fp_ieee_inexact 0
		.amdhsa_exception_int_div_zero 0
	.end_amdhsa_kernel
	.section	.text._ZN9rocsolver6v33100L10bdsqr_initI19rocblas_complex_numIdEdEEviPT0_lS5_lPiiS4_S4_S6_S5_lS6_,"axG",@progbits,_ZN9rocsolver6v33100L10bdsqr_initI19rocblas_complex_numIdEdEEviPT0_lS5_lPiiS4_S4_S6_S5_lS6_,comdat
.Lfunc_end131:
	.size	_ZN9rocsolver6v33100L10bdsqr_initI19rocblas_complex_numIdEdEEviPT0_lS5_lPiiS4_S4_S6_S5_lS6_, .Lfunc_end131-_ZN9rocsolver6v33100L10bdsqr_initI19rocblas_complex_numIdEdEEviPT0_lS5_lPiiS4_S4_S6_S5_lS6_
                                        ; -- End function
	.set _ZN9rocsolver6v33100L10bdsqr_initI19rocblas_complex_numIdEdEEviPT0_lS5_lPiiS4_S4_S6_S5_lS6_.num_vgpr, 14
	.set _ZN9rocsolver6v33100L10bdsqr_initI19rocblas_complex_numIdEdEEviPT0_lS5_lPiiS4_S4_S6_S5_lS6_.num_agpr, 0
	.set _ZN9rocsolver6v33100L10bdsqr_initI19rocblas_complex_numIdEdEEviPT0_lS5_lPiiS4_S4_S6_S5_lS6_.numbered_sgpr, 44
	.set _ZN9rocsolver6v33100L10bdsqr_initI19rocblas_complex_numIdEdEEviPT0_lS5_lPiiS4_S4_S6_S5_lS6_.num_named_barrier, 0
	.set _ZN9rocsolver6v33100L10bdsqr_initI19rocblas_complex_numIdEdEEviPT0_lS5_lPiiS4_S4_S6_S5_lS6_.private_seg_size, 0
	.set _ZN9rocsolver6v33100L10bdsqr_initI19rocblas_complex_numIdEdEEviPT0_lS5_lPiiS4_S4_S6_S5_lS6_.uses_vcc, 1
	.set _ZN9rocsolver6v33100L10bdsqr_initI19rocblas_complex_numIdEdEEviPT0_lS5_lPiiS4_S4_S6_S5_lS6_.uses_flat_scratch, 0
	.set _ZN9rocsolver6v33100L10bdsqr_initI19rocblas_complex_numIdEdEEviPT0_lS5_lPiiS4_S4_S6_S5_lS6_.has_dyn_sized_stack, 0
	.set _ZN9rocsolver6v33100L10bdsqr_initI19rocblas_complex_numIdEdEEviPT0_lS5_lPiiS4_S4_S6_S5_lS6_.has_recursion, 0
	.set _ZN9rocsolver6v33100L10bdsqr_initI19rocblas_complex_numIdEdEEviPT0_lS5_lPiiS4_S4_S6_S5_lS6_.has_indirect_call, 0
	.section	.AMDGPU.csdata,"",@progbits
; Kernel info:
; codeLenInByte = 1640
; TotalNumSgprs: 46
; NumVgprs: 14
; ScratchSize: 0
; MemoryBound: 0
; FloatMode: 240
; IeeeMode: 1
; LDSByteSize: 0 bytes/workgroup (compile time only)
; SGPRBlocks: 0
; VGPRBlocks: 0
; NumSGPRsForWavesPerEU: 46
; NumVGPRsForWavesPerEU: 14
; NamedBarCnt: 0
; Occupancy: 16
; WaveLimiterHint : 0
; COMPUTE_PGM_RSRC2:SCRATCH_EN: 0
; COMPUTE_PGM_RSRC2:USER_SGPR: 2
; COMPUTE_PGM_RSRC2:TRAP_HANDLER: 0
; COMPUTE_PGM_RSRC2:TGID_X_EN: 1
; COMPUTE_PGM_RSRC2:TGID_Y_EN: 1
; COMPUTE_PGM_RSRC2:TGID_Z_EN: 0
; COMPUTE_PGM_RSRC2:TIDIG_COMP_CNT: 0
	.section	.text._ZN9rocsolver6v33100L11swap_kernelI19rocblas_complex_numIdEiEEvT0_PT_S4_S6_S4_,"axG",@progbits,_ZN9rocsolver6v33100L11swap_kernelI19rocblas_complex_numIdEiEEvT0_PT_S4_S6_S4_,comdat
	.globl	_ZN9rocsolver6v33100L11swap_kernelI19rocblas_complex_numIdEiEEvT0_PT_S4_S6_S4_ ; -- Begin function _ZN9rocsolver6v33100L11swap_kernelI19rocblas_complex_numIdEiEEvT0_PT_S4_S6_S4_
	.p2align	8
	.type	_ZN9rocsolver6v33100L11swap_kernelI19rocblas_complex_numIdEiEEvT0_PT_S4_S6_S4_,@function
_ZN9rocsolver6v33100L11swap_kernelI19rocblas_complex_numIdEiEEvT0_PT_S4_S6_S4_: ; @_ZN9rocsolver6v33100L11swap_kernelI19rocblas_complex_numIdEiEEvT0_PT_S4_S6_S4_
; %bb.0:
	s_load_b32 s12, s[2:3], 0x0
	s_wait_kmcnt 0x0
	s_cmp_lt_i32 s12, 1
	s_cbranch_scc1 .LBB132_10
; %bb.1:
	s_load_b64 s[14:15], s[0:1], 0x4
	s_clause 0x3
	s_load_b32 s7, s[2:3], 0x34
	s_load_b96 s[4:6], s[2:3], 0x8
	s_load_b32 s11, s[2:3], 0x28
	s_load_b96 s[8:10], s[2:3], 0x18
	s_wait_xcnt 0x0
	s_bfe_u32 s0, ttmp6, 0x4000c
	s_and_b32 s1, ttmp6, 15
	s_add_co_i32 s0, s0, 1
	s_getreg_b32 s2, hwreg(HW_REG_IB_STS2, 6, 4)
	s_mul_i32 s0, ttmp9, s0
	v_and_b32_e32 v1, 0x3ff, v0
	s_add_co_i32 s1, s1, s0
	v_bfe_u32 v3, v0, 10, 10
	v_bfe_u32 v0, v0, 20, 10
	s_wait_kmcnt 0x0
	s_lshr_b32 s0, s14, 16
	s_and_b32 s3, s7, 0xffff
	s_cmp_eq_u32 s2, 0
	s_mul_i32 s0, s0, s15
	s_cselect_b32 s1, ttmp9, s1
	v_mul_lo_u32 v4, s0, v1
	v_mad_u32 v2, s1, s3, v1
	s_cmp_eq_u32 s6, 1
	v_mul_u32_u24_e32 v1, s15, v3
	s_cselect_b32 s0, -1, 0
	s_cmp_eq_u32 s10, 1
	s_mul_i32 s2, s11, s3
	s_cselect_b32 s1, -1, 0
	s_delay_alu instid0(SALU_CYCLE_1) | instskip(NEXT) | instid1(VALU_DEP_3)
	s_and_b32 s1, s0, s1
	v_add3_u32 v6, v4, v1, v0
	s_delay_alu instid0(VALU_DEP_3)
	v_cmp_gt_i32_e64 s0, s12, v2
	s_and_b32 vcc_lo, exec_lo, s1
	s_mov_b32 s1, -1
	s_cbranch_vccnz .LBB132_6
; %bb.2:
	s_and_saveexec_b32 s1, s0
	s_cbranch_execz .LBB132_5
; %bb.3:
	v_dual_ashrrev_i32 v3, 31, v2 :: v_dual_mov_b32 v7, v2
	s_ashr_i32 s7, s6, 31
	s_ashr_i32 s11, s10, 31
	;; [unrolled: 1-line block ×3, first 2 shown]
	s_delay_alu instid0(VALU_DEP_1)
	v_mul_u64_e32 v[0:1], s[10:11], v[2:3]
	v_mul_u64_e32 v[4:5], s[6:7], v[2:3]
	v_lshlrev_b32_e32 v3, 4, v6
	s_mul_u64 s[10:11], s[10:11], s[2:3]
	s_mul_u64 s[14:15], s[6:7], s[2:3]
	s_lshl_b64 s[6:7], s[10:11], 4
	s_lshl_b64 s[10:11], s[14:15], 4
	s_mov_b32 s3, 0
	s_delay_alu instid0(VALU_DEP_3) | instskip(NEXT) | instid1(VALU_DEP_3)
	v_lshl_add_u64 v[0:1], v[0:1], 4, s[8:9]
	v_lshl_add_u64 v[4:5], v[4:5], 4, s[4:5]
.LBB132_4:                              ; =>This Inner Loop Header: Depth=1
	global_load_b128 v[8:11], v[4:5], off
	global_load_b128 v[12:15], v[0:1], off
	v_add_nc_u32_e32 v7, s2, v7
	s_wait_loadcnt 0x1
	global_store_b128 v[0:1], v[8:11], off
	s_wait_loadcnt 0x0
	global_store_b128 v[4:5], v[12:15], off
	v_cmp_le_i32_e32 vcc_lo, s12, v7
	s_wait_xcnt 0x1
	v_add_nc_u64_e32 v[0:1], s[6:7], v[0:1]
	s_wait_xcnt 0x0
	v_add_nc_u64_e32 v[4:5], s[10:11], v[4:5]
	ds_store_2addr_b64 v3, v[12:13], v[14:15] offset1:1
	s_or_b32 s3, vcc_lo, s3
	s_delay_alu instid0(SALU_CYCLE_1)
	s_and_not1_b32 exec_lo, exec_lo, s3
	s_cbranch_execnz .LBB132_4
.LBB132_5:
	s_or_b32 exec_lo, exec_lo, s1
	s_mov_b32 s1, 0
.LBB132_6:
	s_delay_alu instid0(SALU_CYCLE_1)
	s_and_not1_b32 vcc_lo, exec_lo, s1
	s_cbranch_vccnz .LBB132_10
; %bb.7:
	s_and_saveexec_b32 s1, s0
	s_cbranch_execz .LBB132_10
; %bb.8:
	v_ashrrev_i32_e32 v3, 31, v2
	s_ashr_i32 s3, s2, 31
	s_delay_alu instid0(SALU_CYCLE_1) | instskip(SKIP_1) | instid1(VALU_DEP_1)
	s_lshl_b64 s[0:1], s[2:3], 4
	s_mov_b32 s3, 0
	v_lshlrev_b64_e32 v[0:1], 4, v[2:3]
	v_lshl_add_u32 v3, v6, 4, 0x4000
.LBB132_9:                              ; =>This Inner Loop Header: Depth=1
	s_delay_alu instid0(VALU_DEP_2)
	v_add_nc_u64_e32 v[12:13], s[8:9], v[0:1]
	v_add_nc_u64_e32 v[14:15], s[4:5], v[0:1]
	v_add_nc_u32_e32 v2, s2, v2
	v_add_nc_u64_e32 v[0:1], s[0:1], v[0:1]
	global_load_b128 v[4:7], v[12:13], off
	global_load_b128 v[8:11], v[14:15], off
	v_cmp_le_i32_e32 vcc_lo, s12, v2
	s_or_b32 s3, vcc_lo, s3
	s_wait_loadcnt 0x1
	ds_store_2addr_b64 v3, v[4:5], v[6:7] offset1:1
	s_wait_loadcnt 0x0
	global_store_b128 v[12:13], v[8:11], off
	global_store_b128 v[14:15], v[4:7], off
	s_wait_xcnt 0x0
	s_and_not1_b32 exec_lo, exec_lo, s3
	s_cbranch_execnz .LBB132_9
.LBB132_10:
	s_endpgm
	.section	.rodata,"a",@progbits
	.p2align	6, 0x0
	.amdhsa_kernel _ZN9rocsolver6v33100L11swap_kernelI19rocblas_complex_numIdEiEEvT0_PT_S4_S6_S4_
		.amdhsa_group_segment_fixed_size 32768
		.amdhsa_private_segment_fixed_size 0
		.amdhsa_kernarg_size 296
		.amdhsa_user_sgpr_count 4
		.amdhsa_user_sgpr_dispatch_ptr 1
		.amdhsa_user_sgpr_queue_ptr 0
		.amdhsa_user_sgpr_kernarg_segment_ptr 1
		.amdhsa_user_sgpr_dispatch_id 0
		.amdhsa_user_sgpr_kernarg_preload_length 0
		.amdhsa_user_sgpr_kernarg_preload_offset 0
		.amdhsa_user_sgpr_private_segment_size 0
		.amdhsa_wavefront_size32 1
		.amdhsa_uses_dynamic_stack 0
		.amdhsa_enable_private_segment 0
		.amdhsa_system_sgpr_workgroup_id_x 1
		.amdhsa_system_sgpr_workgroup_id_y 0
		.amdhsa_system_sgpr_workgroup_id_z 0
		.amdhsa_system_sgpr_workgroup_info 0
		.amdhsa_system_vgpr_workitem_id 2
		.amdhsa_next_free_vgpr 16
		.amdhsa_next_free_sgpr 16
		.amdhsa_named_barrier_count 0
		.amdhsa_reserve_vcc 1
		.amdhsa_float_round_mode_32 0
		.amdhsa_float_round_mode_16_64 0
		.amdhsa_float_denorm_mode_32 3
		.amdhsa_float_denorm_mode_16_64 3
		.amdhsa_fp16_overflow 0
		.amdhsa_memory_ordered 1
		.amdhsa_forward_progress 1
		.amdhsa_inst_pref_size 5
		.amdhsa_round_robin_scheduling 0
		.amdhsa_exception_fp_ieee_invalid_op 0
		.amdhsa_exception_fp_denorm_src 0
		.amdhsa_exception_fp_ieee_div_zero 0
		.amdhsa_exception_fp_ieee_overflow 0
		.amdhsa_exception_fp_ieee_underflow 0
		.amdhsa_exception_fp_ieee_inexact 0
		.amdhsa_exception_int_div_zero 0
	.end_amdhsa_kernel
	.section	.text._ZN9rocsolver6v33100L11swap_kernelI19rocblas_complex_numIdEiEEvT0_PT_S4_S6_S4_,"axG",@progbits,_ZN9rocsolver6v33100L11swap_kernelI19rocblas_complex_numIdEiEEvT0_PT_S4_S6_S4_,comdat
.Lfunc_end132:
	.size	_ZN9rocsolver6v33100L11swap_kernelI19rocblas_complex_numIdEiEEvT0_PT_S4_S6_S4_, .Lfunc_end132-_ZN9rocsolver6v33100L11swap_kernelI19rocblas_complex_numIdEiEEvT0_PT_S4_S6_S4_
                                        ; -- End function
	.set _ZN9rocsolver6v33100L11swap_kernelI19rocblas_complex_numIdEiEEvT0_PT_S4_S6_S4_.num_vgpr, 16
	.set _ZN9rocsolver6v33100L11swap_kernelI19rocblas_complex_numIdEiEEvT0_PT_S4_S6_S4_.num_agpr, 0
	.set _ZN9rocsolver6v33100L11swap_kernelI19rocblas_complex_numIdEiEEvT0_PT_S4_S6_S4_.numbered_sgpr, 16
	.set _ZN9rocsolver6v33100L11swap_kernelI19rocblas_complex_numIdEiEEvT0_PT_S4_S6_S4_.num_named_barrier, 0
	.set _ZN9rocsolver6v33100L11swap_kernelI19rocblas_complex_numIdEiEEvT0_PT_S4_S6_S4_.private_seg_size, 0
	.set _ZN9rocsolver6v33100L11swap_kernelI19rocblas_complex_numIdEiEEvT0_PT_S4_S6_S4_.uses_vcc, 1
	.set _ZN9rocsolver6v33100L11swap_kernelI19rocblas_complex_numIdEiEEvT0_PT_S4_S6_S4_.uses_flat_scratch, 0
	.set _ZN9rocsolver6v33100L11swap_kernelI19rocblas_complex_numIdEiEEvT0_PT_S4_S6_S4_.has_dyn_sized_stack, 0
	.set _ZN9rocsolver6v33100L11swap_kernelI19rocblas_complex_numIdEiEEvT0_PT_S4_S6_S4_.has_recursion, 0
	.set _ZN9rocsolver6v33100L11swap_kernelI19rocblas_complex_numIdEiEEvT0_PT_S4_S6_S4_.has_indirect_call, 0
	.section	.AMDGPU.csdata,"",@progbits
; Kernel info:
; codeLenInByte = 592
; TotalNumSgprs: 18
; NumVgprs: 16
; ScratchSize: 0
; MemoryBound: 0
; FloatMode: 240
; IeeeMode: 1
; LDSByteSize: 32768 bytes/workgroup (compile time only)
; SGPRBlocks: 0
; VGPRBlocks: 0
; NumSGPRsForWavesPerEU: 18
; NumVGPRsForWavesPerEU: 16
; NamedBarCnt: 0
; Occupancy: 16
; WaveLimiterHint : 0
; COMPUTE_PGM_RSRC2:SCRATCH_EN: 0
; COMPUTE_PGM_RSRC2:USER_SGPR: 4
; COMPUTE_PGM_RSRC2:TRAP_HANDLER: 0
; COMPUTE_PGM_RSRC2:TGID_X_EN: 1
; COMPUTE_PGM_RSRC2:TGID_Y_EN: 0
; COMPUTE_PGM_RSRC2:TGID_Z_EN: 0
; COMPUTE_PGM_RSRC2:TIDIG_COMP_CNT: 2
	.section	.text._ZN9rocsolver6v33100L10rot_kernelId19rocblas_complex_numIdEiEEvT1_PT0_S4_S6_S4_T_S7_,"axG",@progbits,_ZN9rocsolver6v33100L10rot_kernelId19rocblas_complex_numIdEiEEvT1_PT0_S4_S6_S4_T_S7_,comdat
	.globl	_ZN9rocsolver6v33100L10rot_kernelId19rocblas_complex_numIdEiEEvT1_PT0_S4_S6_S4_T_S7_ ; -- Begin function _ZN9rocsolver6v33100L10rot_kernelId19rocblas_complex_numIdEiEEvT1_PT0_S4_S6_S4_T_S7_
	.p2align	8
	.type	_ZN9rocsolver6v33100L10rot_kernelId19rocblas_complex_numIdEiEEvT1_PT0_S4_S6_S4_T_S7_,@function
_ZN9rocsolver6v33100L10rot_kernelId19rocblas_complex_numIdEiEEvT1_PT0_S4_S6_S4_T_S7_: ; @_ZN9rocsolver6v33100L10rot_kernelId19rocblas_complex_numIdEiEEvT1_PT0_S4_S6_S4_T_S7_
; %bb.0:
	s_load_b32 s16, s[0:1], 0x0
	s_wait_kmcnt 0x0
	s_cmp_lt_i32 s16, 1
	s_cbranch_scc1 .LBB133_10
; %bb.1:
	s_clause 0x2
	s_load_b32 s2, s[0:1], 0x44
	s_load_b96 s[8:10], s[0:1], 0x8
	s_load_b96 s[12:14], s[0:1], 0x18
	s_bfe_u32 s3, ttmp6, 0x4000c
	s_and_b32 s4, ttmp6, 15
	s_add_co_i32 s3, s3, 1
	s_load_b32 s11, s[0:1], 0x38
	s_mul_i32 s3, ttmp9, s3
	s_getreg_b32 s5, hwreg(HW_REG_IB_STS2, 6, 4)
	s_add_co_i32 s3, s4, s3
	s_wait_kmcnt 0x0
	s_and_b32 s2, s2, 0xffff
	s_cmp_eq_u32 s5, 0
	s_load_b128 s[4:7], s[0:1], 0x28
	s_wait_xcnt 0x0
	s_cselect_b32 s0, ttmp9, s3
	s_cmp_eq_u32 s10, 1
	v_mad_u32 v0, s0, s2, v0
	s_cselect_b32 s0, -1, 0
	s_cmp_eq_u32 s14, 1
	s_mul_i32 s2, s11, s2
	s_cselect_b32 s1, -1, 0
	s_delay_alu instid0(SALU_CYCLE_1) | instskip(NEXT) | instid1(SALU_CYCLE_1)
	s_and_b32 s1, s0, s1
	s_and_b32 vcc_lo, exec_lo, s1
	s_mov_b32 s1, -1
	s_delay_alu instid0(VALU_DEP_1)
	v_cmp_gt_i32_e64 s0, s16, v0
	s_cbranch_vccnz .LBB133_6
; %bb.2:
	s_and_saveexec_b32 s1, s0
	s_cbranch_execz .LBB133_5
; %bb.3:
	v_ashrrev_i32_e32 v1, 31, v0
	s_ashr_i32 s11, s10, 31
	s_ashr_i32 s15, s14, 31
	;; [unrolled: 1-line block ×3, first 2 shown]
	s_delay_alu instid0(SALU_CYCLE_1)
	s_mul_u64 s[18:19], s[10:11], s[2:3]
	v_mul_u64_e32 v[2:3], s[14:15], v[0:1]
	v_mul_u64_e32 v[4:5], s[10:11], v[0:1]
	v_mov_b32_e32 v1, v0
	s_mul_u64 s[14:15], s[14:15], s[2:3]
	s_mov_b32 s3, 0
	s_lshl_b64 s[10:11], s[14:15], 4
	s_lshl_b64 s[14:15], s[18:19], 4
	s_delay_alu instid0(VALU_DEP_3) | instskip(NEXT) | instid1(VALU_DEP_3)
	v_lshl_add_u64 v[2:3], v[2:3], 4, s[12:13]
	v_lshl_add_u64 v[4:5], v[4:5], 4, s[8:9]
	s_delay_alu instid0(VALU_DEP_2) | instskip(NEXT) | instid1(VALU_DEP_2)
	v_add_nc_u64_e32 v[2:3], 8, v[2:3]
	v_add_nc_u64_e32 v[4:5], 8, v[4:5]
.LBB133_4:                              ; =>This Inner Loop Header: Depth=1
	global_load_b128 v[6:9], v[2:3], off offset:-8
	global_load_b128 v[10:13], v[4:5], off offset:-8
	v_add_nc_u32_e32 v1, s2, v1
	s_delay_alu instid0(VALU_DEP_1)
	v_cmp_le_i32_e32 vcc_lo, s16, v1
	s_or_b32 s3, vcc_lo, s3
	s_wait_loadcnt 0x1
	s_wait_kmcnt 0x0
	v_mul_f64_e32 v[14:15], s[6:7], v[6:7]
	s_wait_loadcnt 0x0
	v_mul_f64_e32 v[18:19], s[6:7], v[10:11]
	v_mul_f64_e32 v[20:21], s[6:7], v[12:13]
	;; [unrolled: 1-line block ×3, first 2 shown]
	s_delay_alu instid0(VALU_DEP_4) | instskip(NEXT) | instid1(VALU_DEP_4)
	v_fmac_f64_e32 v[14:15], s[4:5], v[10:11]
	v_fma_f64 v[6:7], s[4:5], v[6:7], -v[18:19]
	s_delay_alu instid0(VALU_DEP_4) | instskip(NEXT) | instid1(VALU_DEP_4)
	v_fma_f64 v[8:9], s[4:5], v[8:9], -v[20:21]
	v_fmac_f64_e32 v[16:17], s[4:5], v[12:13]
	global_store_b128 v[2:3], v[6:9], off offset:-8
	global_store_b128 v[4:5], v[14:17], off offset:-8
	s_wait_xcnt 0x1
	v_add_nc_u64_e32 v[2:3], s[10:11], v[2:3]
	s_wait_xcnt 0x0
	v_add_nc_u64_e32 v[4:5], s[14:15], v[4:5]
	s_and_not1_b32 exec_lo, exec_lo, s3
	s_cbranch_execnz .LBB133_4
.LBB133_5:
	s_or_b32 exec_lo, exec_lo, s1
	s_mov_b32 s1, 0
.LBB133_6:
	s_delay_alu instid0(SALU_CYCLE_1)
	s_and_not1_b32 vcc_lo, exec_lo, s1
	s_cbranch_vccnz .LBB133_10
; %bb.7:
	s_and_saveexec_b32 s1, s0
	s_cbranch_execz .LBB133_10
; %bb.8:
	v_ashrrev_i32_e32 v1, 31, v0
	s_ashr_i32 s3, s2, 31
	s_delay_alu instid0(SALU_CYCLE_1) | instskip(SKIP_1) | instid1(VALU_DEP_1)
	s_lshl_b64 s[0:1], s[2:3], 4
	s_mov_b32 s3, 0
	v_lshlrev_b64_e32 v[2:3], 4, v[0:1]
.LBB133_9:                              ; =>This Inner Loop Header: Depth=1
	s_delay_alu instid0(VALU_DEP_1)
	v_add_nc_u64_e32 v[16:17], s[12:13], v[2:3]
	v_add_nc_u64_e32 v[18:19], s[8:9], v[2:3]
	;; [unrolled: 1-line block ×3, first 2 shown]
	global_load_b128 v[4:7], v[16:17], off
	global_load_b128 v[8:11], v[18:19], off
	v_add_nc_u32_e32 v0, s2, v0
	s_delay_alu instid0(VALU_DEP_1)
	v_cmp_le_i32_e32 vcc_lo, s16, v0
	s_or_b32 s3, vcc_lo, s3
	s_wait_loadcnt 0x1
	s_wait_kmcnt 0x0
	v_mul_f64_e32 v[12:13], s[6:7], v[4:5]
	s_wait_loadcnt 0x0
	v_mul_f64_e32 v[20:21], s[6:7], v[8:9]
	v_mul_f64_e32 v[22:23], s[6:7], v[10:11]
	;; [unrolled: 1-line block ×3, first 2 shown]
	s_delay_alu instid0(VALU_DEP_4) | instskip(NEXT) | instid1(VALU_DEP_4)
	v_fmac_f64_e32 v[12:13], s[4:5], v[8:9]
	v_fma_f64 v[4:5], s[4:5], v[4:5], -v[20:21]
	s_delay_alu instid0(VALU_DEP_4) | instskip(NEXT) | instid1(VALU_DEP_4)
	v_fma_f64 v[6:7], s[4:5], v[6:7], -v[22:23]
	v_fmac_f64_e32 v[14:15], s[4:5], v[10:11]
	global_store_b128 v[16:17], v[4:7], off
	global_store_b128 v[18:19], v[12:15], off
	s_wait_xcnt 0x0
	s_and_not1_b32 exec_lo, exec_lo, s3
	s_cbranch_execnz .LBB133_9
.LBB133_10:
	s_endpgm
	.section	.rodata,"a",@progbits
	.p2align	6, 0x0
	.amdhsa_kernel _ZN9rocsolver6v33100L10rot_kernelId19rocblas_complex_numIdEiEEvT1_PT0_S4_S6_S4_T_S7_
		.amdhsa_group_segment_fixed_size 0
		.amdhsa_private_segment_fixed_size 0
		.amdhsa_kernarg_size 312
		.amdhsa_user_sgpr_count 2
		.amdhsa_user_sgpr_dispatch_ptr 0
		.amdhsa_user_sgpr_queue_ptr 0
		.amdhsa_user_sgpr_kernarg_segment_ptr 1
		.amdhsa_user_sgpr_dispatch_id 0
		.amdhsa_user_sgpr_kernarg_preload_length 0
		.amdhsa_user_sgpr_kernarg_preload_offset 0
		.amdhsa_user_sgpr_private_segment_size 0
		.amdhsa_wavefront_size32 1
		.amdhsa_uses_dynamic_stack 0
		.amdhsa_enable_private_segment 0
		.amdhsa_system_sgpr_workgroup_id_x 1
		.amdhsa_system_sgpr_workgroup_id_y 0
		.amdhsa_system_sgpr_workgroup_id_z 0
		.amdhsa_system_sgpr_workgroup_info 0
		.amdhsa_system_vgpr_workitem_id 0
		.amdhsa_next_free_vgpr 24
		.amdhsa_next_free_sgpr 20
		.amdhsa_named_barrier_count 0
		.amdhsa_reserve_vcc 1
		.amdhsa_float_round_mode_32 0
		.amdhsa_float_round_mode_16_64 0
		.amdhsa_float_denorm_mode_32 3
		.amdhsa_float_denorm_mode_16_64 3
		.amdhsa_fp16_overflow 0
		.amdhsa_memory_ordered 1
		.amdhsa_forward_progress 1
		.amdhsa_inst_pref_size 5
		.amdhsa_round_robin_scheduling 0
		.amdhsa_exception_fp_ieee_invalid_op 0
		.amdhsa_exception_fp_denorm_src 0
		.amdhsa_exception_fp_ieee_div_zero 0
		.amdhsa_exception_fp_ieee_overflow 0
		.amdhsa_exception_fp_ieee_underflow 0
		.amdhsa_exception_fp_ieee_inexact 0
		.amdhsa_exception_int_div_zero 0
	.end_amdhsa_kernel
	.section	.text._ZN9rocsolver6v33100L10rot_kernelId19rocblas_complex_numIdEiEEvT1_PT0_S4_S6_S4_T_S7_,"axG",@progbits,_ZN9rocsolver6v33100L10rot_kernelId19rocblas_complex_numIdEiEEvT1_PT0_S4_S6_S4_T_S7_,comdat
.Lfunc_end133:
	.size	_ZN9rocsolver6v33100L10rot_kernelId19rocblas_complex_numIdEiEEvT1_PT0_S4_S6_S4_T_S7_, .Lfunc_end133-_ZN9rocsolver6v33100L10rot_kernelId19rocblas_complex_numIdEiEEvT1_PT0_S4_S6_S4_T_S7_
                                        ; -- End function
	.set _ZN9rocsolver6v33100L10rot_kernelId19rocblas_complex_numIdEiEEvT1_PT0_S4_S6_S4_T_S7_.num_vgpr, 24
	.set _ZN9rocsolver6v33100L10rot_kernelId19rocblas_complex_numIdEiEEvT1_PT0_S4_S6_S4_T_S7_.num_agpr, 0
	.set _ZN9rocsolver6v33100L10rot_kernelId19rocblas_complex_numIdEiEEvT1_PT0_S4_S6_S4_T_S7_.numbered_sgpr, 20
	.set _ZN9rocsolver6v33100L10rot_kernelId19rocblas_complex_numIdEiEEvT1_PT0_S4_S6_S4_T_S7_.num_named_barrier, 0
	.set _ZN9rocsolver6v33100L10rot_kernelId19rocblas_complex_numIdEiEEvT1_PT0_S4_S6_S4_T_S7_.private_seg_size, 0
	.set _ZN9rocsolver6v33100L10rot_kernelId19rocblas_complex_numIdEiEEvT1_PT0_S4_S6_S4_T_S7_.uses_vcc, 1
	.set _ZN9rocsolver6v33100L10rot_kernelId19rocblas_complex_numIdEiEEvT1_PT0_S4_S6_S4_T_S7_.uses_flat_scratch, 0
	.set _ZN9rocsolver6v33100L10rot_kernelId19rocblas_complex_numIdEiEEvT1_PT0_S4_S6_S4_T_S7_.has_dyn_sized_stack, 0
	.set _ZN9rocsolver6v33100L10rot_kernelId19rocblas_complex_numIdEiEEvT1_PT0_S4_S6_S4_T_S7_.has_recursion, 0
	.set _ZN9rocsolver6v33100L10rot_kernelId19rocblas_complex_numIdEiEEvT1_PT0_S4_S6_S4_T_S7_.has_indirect_call, 0
	.section	.AMDGPU.csdata,"",@progbits
; Kernel info:
; codeLenInByte = 624
; TotalNumSgprs: 22
; NumVgprs: 24
; ScratchSize: 0
; MemoryBound: 0
; FloatMode: 240
; IeeeMode: 1
; LDSByteSize: 0 bytes/workgroup (compile time only)
; SGPRBlocks: 0
; VGPRBlocks: 1
; NumSGPRsForWavesPerEU: 22
; NumVGPRsForWavesPerEU: 24
; NamedBarCnt: 0
; Occupancy: 16
; WaveLimiterHint : 0
; COMPUTE_PGM_RSRC2:SCRATCH_EN: 0
; COMPUTE_PGM_RSRC2:USER_SGPR: 2
; COMPUTE_PGM_RSRC2:TRAP_HANDLER: 0
; COMPUTE_PGM_RSRC2:TGID_X_EN: 1
; COMPUTE_PGM_RSRC2:TGID_Y_EN: 0
; COMPUTE_PGM_RSRC2:TGID_Z_EN: 0
; COMPUTE_PGM_RSRC2:TIDIG_COMP_CNT: 0
	.section	.text._ZN9rocsolver6v33100L11lasr_kernelI19rocblas_complex_numIdEdPS3_iEEv13rocblas_side_14rocblas_pivot_15rocblas_direct_T2_S8_PT0_lSA_lT1_lS8_lS8_,"axG",@progbits,_ZN9rocsolver6v33100L11lasr_kernelI19rocblas_complex_numIdEdPS3_iEEv13rocblas_side_14rocblas_pivot_15rocblas_direct_T2_S8_PT0_lSA_lT1_lS8_lS8_,comdat
	.globl	_ZN9rocsolver6v33100L11lasr_kernelI19rocblas_complex_numIdEdPS3_iEEv13rocblas_side_14rocblas_pivot_15rocblas_direct_T2_S8_PT0_lSA_lT1_lS8_lS8_ ; -- Begin function _ZN9rocsolver6v33100L11lasr_kernelI19rocblas_complex_numIdEdPS3_iEEv13rocblas_side_14rocblas_pivot_15rocblas_direct_T2_S8_PT0_lSA_lT1_lS8_lS8_
	.p2align	8
	.type	_ZN9rocsolver6v33100L11lasr_kernelI19rocblas_complex_numIdEdPS3_iEEv13rocblas_side_14rocblas_pivot_15rocblas_direct_T2_S8_PT0_lSA_lT1_lS8_lS8_,@function
_ZN9rocsolver6v33100L11lasr_kernelI19rocblas_complex_numIdEdPS3_iEEv13rocblas_side_14rocblas_pivot_15rocblas_direct_T2_S8_PT0_lSA_lT1_lS8_lS8_: ; @_ZN9rocsolver6v33100L11lasr_kernelI19rocblas_complex_numIdEdPS3_iEEv13rocblas_side_14rocblas_pivot_15rocblas_direct_T2_S8_PT0_lSA_lT1_lS8_lS8_
; %bb.0:
	s_load_b32 s33, s[0:1], 0x58
	s_bfe_u32 s2, ttmp6, 0x40014
	s_lshr_b32 s3, ttmp7, 16
	s_add_co_i32 s2, s2, 1
	s_bfe_u32 s5, ttmp6, 0x40008
	s_mul_i32 s2, s3, s2
	s_getreg_b32 s4, hwreg(HW_REG_IB_STS2, 6, 4)
	s_add_co_i32 s5, s5, s2
	s_cmp_eq_u32 s4, 0
	s_cselect_b32 s2, s3, s5
	s_mov_b32 s3, 0
	s_wait_kmcnt 0x0
	s_cmp_ge_u32 s2, s33
	s_cbranch_scc1 .LBB134_108
; %bb.1:
	s_clause 0x3
	s_load_b32 s20, s[0:1], 0x48
	s_load_b64 s[22:23], s[0:1], 0x68
	s_load_b128 s[16:19], s[0:1], 0x38
	s_load_b128 s[12:15], s[0:1], 0x0
	s_bfe_u32 s5, ttmp6, 0x4000c
	s_and_b32 s6, ttmp6, 15
	s_add_co_i32 s5, s5, 1
	s_load_b32 s24, s[0:1], 0x60
	s_mul_i32 s5, ttmp9, s5
	s_mov_b32 s51, s3
	s_add_co_i32 s6, s6, s5
	s_wait_kmcnt 0x0
	s_ashr_i32 s21, s20, 31
	s_and_b32 s25, s23, 0xffff
	s_cmp_eq_u32 s4, 0
	s_load_b32 s23, s[0:1], 0x10
	s_cselect_b32 s26, ttmp9, s6
	s_lshl_b64 s[48:49], s[18:19], 4
	v_mad_u32 v4, s26, s25, v0
	s_cmp_eq_u32 s12, 0x8d
	s_load_b64 s[18:19], s[0:1], 0x50
	s_cselect_b32 s27, -1, 0
	s_cmp_eq_u32 s12, 0x8e
	s_load_b256 s[4:11], s[0:1], 0x18
	s_cselect_b32 s28, -1, 0
	s_cmp_eq_u32 s13, 0x119
	s_mul_i32 s12, s24, s25
	s_cselect_b32 s29, -1, 0
	s_cmp_eq_u32 s13, 0x11b
	v_ashrrev_i32_e32 v5, 31, v4
	s_wait_xcnt 0x0
	s_cselect_b32 s0, -1, 0
	s_cmp_eq_u32 s13, 0x11a
	s_add_nc_u64 s[24:25], s[16:17], s[48:49]
	s_cselect_b32 s1, -1, 0
	s_cmp_eq_u32 s14, 0xab
	v_mul_u64_e32 v[2:3], s[20:21], v[4:5]
	s_cselect_b32 s13, -1, 0
	s_cmp_eq_u32 s14, 0xac
	v_lshlrev_b64_e32 v[0:1], 4, v[4:5]
	s_cselect_b32 s26, -1, 0
	s_and_b32 s14, s27, s29
	s_and_b32 s30, s27, s1
	;; [unrolled: 1-line block ×5, first 2 shown]
	s_xor_b32 s14, s31, -1
	s_and_b32 s31, s27, s13
	s_and_b32 s29, s28, s29
	;; [unrolled: 1-line block ×4, first 2 shown]
	s_xor_b32 s80, s27, -1
	s_and_b32 s27, s29, s26
	s_and_b32 s30, s30, s26
	s_xor_b32 s82, s27, -1
	s_and_b32 s27, s28, s0
	v_cmp_gt_i32_e64 s0, s15, v4
	s_and_b32 s1, s28, s1
	s_xor_b32 s78, s30, -1
	s_and_b32 s30, s29, s13
	s_and_b32 s29, s1, s13
	;; [unrolled: 1-line block ×4, first 2 shown]
	s_xor_b32 s84, s1, -1
	s_and_b32 s1, s26, s0
	s_wait_kmcnt 0x0
	s_add_co_i32 s26, s23, -1
	s_xor_b32 s76, s34, -1
	s_xor_b32 s77, s35, -1
	;; [unrolled: 1-line block ×6, first 2 shown]
	s_and_b32 s86, s27, s1
	s_ashr_i32 s27, s26, 31
	s_add_co_i32 s34, s23, -2
	s_cmp_gt_i32 s23, 1
	s_mul_u64 s[28:29], s[20:21], s[26:27]
	s_mov_b32 s27, s3
	s_cselect_b32 s87, -1, 0
	s_ashr_i32 s31, s15, 31
	s_add_co_i32 s50, s15, -2
	s_cmp_gt_i32 s15, 1
	s_mul_u64 s[40:41], s[20:21], s[26:27]
	s_mov_b32 s35, s3
	s_cselect_b32 s88, -1, 0
	s_lshl_b64 s[40:41], s[40:41], 4
	s_mul_u64 s[36:37], s[20:21], s[34:35]
	s_add_nc_u64 s[40:41], s[40:41], s[48:49]
	s_lshl_b64 s[36:37], s[36:37], 4
	s_add_nc_u64 s[42:43], s[16:17], s[40:41]
	s_lshl_b64 s[40:41], s[20:21], 4
	s_add_nc_u64 s[36:37], s[36:37], s[48:49]
	s_add_nc_u64 s[46:47], s[48:49], s[40:41]
	;; [unrolled: 1-line block ×4, first 2 shown]
	v_lshl_add_u64 v[2:3], v[2:3], 4, s[48:49]
	v_add_nc_u64_e32 v[6:7], s[36:37], v[0:1]
	v_add_nc_u64_e32 v[10:11], s[24:25], v[0:1]
	;; [unrolled: 1-line block ×4, first 2 shown]
	s_add_co_i32 s46, s15, -1
	s_lshl_b64 s[48:49], s[50:51], 4
	s_mov_b32 s47, s3
	s_add_nc_u64 s[48:49], s[16:17], s[48:49]
	s_lshl_b64 s[52:53], s[46:47], 4
	v_add_nc_u64_e32 v[14:15], s[48:49], v[2:3]
	s_add_nc_u64 s[48:49], s[16:17], s[52:53]
	v_add_nc_u64_e32 v[26:27], s[16:17], v[2:3]
	v_add_nc_u64_e32 v[2:3], s[48:49], v[2:3]
	;; [unrolled: 1-line block ×11, first 2 shown]
	s_ashr_i32 s13, s12, 31
	v_cmp_gt_i32_e64 s1, s23, v4
	v_mov_b32_e32 v5, 0
	s_lshl_b64 s[38:39], s[34:35], 3
	s_lshl_b64 s[48:49], s[50:51], 3
	s_mul_u64 s[50:51], s[20:21], s[12:13]
	s_mov_b32 s30, s15
	s_add_nc_u64 s[34:35], s[4:5], s[38:39]
	s_lshl_b64 s[6:7], s[6:7], 3
	s_add_nc_u64 s[36:37], s[8:9], s[38:39]
	s_lshl_b64 s[10:11], s[10:11], 3
	s_lshl_b64 s[38:39], s[18:19], 4
	;; [unrolled: 1-line block ×3, first 2 shown]
	s_sub_nc_u64 s[44:45], 0, s[40:41]
	s_add_co_i32 s27, s23, 1
	s_add_nc_u64 s[16:17], s[4:5], s[48:49]
	s_add_nc_u64 s[48:49], s[8:9], s[48:49]
	s_lshl_b64 s[50:51], s[50:51], 4
	s_add_co_i32 s13, s15, 1
	s_branch .LBB134_4
.LBB134_2:                              ;   in Loop: Header=BB134_4 Depth=1
	s_or_b32 exec_lo, exec_lo, s47
.LBB134_3:                              ;   in Loop: Header=BB134_4 Depth=1
	s_add_co_i32 s2, s2, s22
	s_delay_alu instid0(SALU_CYCLE_1)
	s_cmp_ge_u32 s2, s33
	s_cbranch_scc1 .LBB134_108
.LBB134_4:                              ; =>This Loop Header: Depth=1
                                        ;     Child Loop BB134_19 Depth 2
                                        ;       Child Loop BB134_20 Depth 3
                                        ;     Child Loop BB134_26 Depth 2
                                        ;       Child Loop BB134_27 Depth 3
	;; [unrolled: 2-line block ×12, first 2 shown]
	s_mul_u64 s[56:57], s[18:19], s[2:3]
	s_mul_u64 s[66:67], s[10:11], s[2:3]
	;; [unrolled: 1-line block ×3, first 2 shown]
	s_lshl_b64 s[56:57], s[56:57], 4
	s_add_nc_u64 s[52:53], s[8:9], s[66:67]
	s_add_nc_u64 s[54:55], s[4:5], s[64:65]
	s_mul_u64 s[58:59], s[38:39], s[2:3]
	s_add_nc_u64 s[56:57], s[24:25], s[56:57]
	s_and_b32 vcc_lo, exec_lo, s14
	s_mov_b32 s47, -1
	s_cbranch_vccnz .LBB134_6
; %bb.5:                                ;   in Loop: Header=BB134_4 Depth=1
	s_and_not1_b32 vcc_lo, exec_lo, s47
	s_cbranch_vccnz .LBB134_3
	s_branch .LBB134_103
.LBB134_6:                              ;   in Loop: Header=BB134_4 Depth=1
	s_add_nc_u64 s[60:61], s[16:17], s[64:65]
	s_add_nc_u64 s[62:63], s[48:49], s[66:67]
	s_and_b32 vcc_lo, exec_lo, s76
	s_cbranch_vccz .LBB134_95
; %bb.7:                                ;   in Loop: Header=BB134_4 Depth=1
	s_and_b32 vcc_lo, exec_lo, s77
	s_cbranch_vccz .LBB134_87
; %bb.8:                                ;   in Loop: Header=BB134_4 Depth=1
	;; [unrolled: 3-line block ×3, first 2 shown]
	s_and_b32 vcc_lo, exec_lo, s79
	s_cbranch_vccz .LBB134_71
; %bb.10:                               ;   in Loop: Header=BB134_4 Depth=1
	s_and_b32 vcc_lo, exec_lo, s80
	s_cbranch_vccz .LBB134_63
; %bb.11:                               ;   in Loop: Header=BB134_4 Depth=1
	v_add_nc_u64_e32 v[28:29], s[58:59], v[10:11]
	s_and_b32 vcc_lo, exec_lo, s81
	s_cbranch_vccz .LBB134_55
; %bb.12:                               ;   in Loop: Header=BB134_4 Depth=1
	v_add_nc_u64_e32 v[30:31], s[58:59], v[12:13]
	s_add_nc_u64 s[64:65], s[34:35], s[64:65]
	s_add_nc_u64 s[66:67], s[36:37], s[66:67]
	s_and_b32 vcc_lo, exec_lo, s82
	s_cbranch_vccz .LBB134_46
; %bb.13:                               ;   in Loop: Header=BB134_4 Depth=1
	s_and_b32 vcc_lo, exec_lo, s83
	s_cbranch_vccz .LBB134_38
; %bb.14:                               ;   in Loop: Header=BB134_4 Depth=1
	;; [unrolled: 3-line block ×4, first 2 shown]
	s_and_saveexec_b32 s47, s86
	s_cbranch_execz .LBB134_21
; %bb.17:                               ;   in Loop: Header=BB134_4 Depth=1
	v_add_nc_u64_e32 v[32:33], s[58:59], v[8:9]
	v_mov_b32_e32 v34, v4
	s_lshl_b64 s[68:69], s[28:29], 4
	s_mov_b32 s74, 0
	s_add_nc_u64 s[68:69], s[56:57], s[68:69]
	s_branch .LBB134_19
.LBB134_18:                             ;   in Loop: Header=BB134_19 Depth=2
	v_ashrrev_i32_e32 v35, 31, v34
	v_add_nc_u64_e32 v[32:33], s[42:43], v[32:33]
	s_delay_alu instid0(VALU_DEP_2)
	v_lshl_add_u64 v[36:37], v[34:35], 4, s[68:69]
	s_wait_xcnt 0x0
	v_add_nc_u32_e32 v34, s12, v34
	s_wait_loadcnt 0x0
	global_store_b128 v[36:37], v[0:3], off
	v_cmp_le_i32_e32 vcc_lo, s15, v34
	s_or_b32 s74, vcc_lo, s74
	s_wait_xcnt 0x0
	s_and_not1_b32 exec_lo, exec_lo, s74
	s_cbranch_execz .LBB134_21
.LBB134_19:                             ;   Parent Loop BB134_4 Depth=1
                                        ; =>  This Loop Header: Depth=2
                                        ;       Child Loop BB134_20 Depth 3
	global_load_b128 v[0:3], v34, s[68:69] scale_offset
	v_mov_b64_e32 v[36:37], v[32:33]
	s_and_not1_b32 vcc_lo, exec_lo, s87
	s_mov_b64 s[70:71], s[66:67]
	s_mov_b64 s[72:73], s[64:65]
	s_mov_b32 s75, s26
	s_cbranch_vccnz .LBB134_18
.LBB134_20:                             ;   Parent Loop BB134_4 Depth=1
                                        ;     Parent Loop BB134_19 Depth=2
                                        ; =>    This Inner Loop Header: Depth=3
	global_load_b128 v[38:41], v[36:37], off offset:-8
	s_clause 0x1
	global_load_b64 v[46:47], v5, s[72:73]
	global_load_b64 v[48:49], v5, s[70:71]
	s_add_co_i32 s75, s75, -1
	s_wait_xcnt 0x1
	s_add_nc_u64 s[72:73], s[72:73], -8
	s_cmp_eq_u32 s75, 0
	s_wait_xcnt 0x0
	s_add_nc_u64 s[70:71], s[70:71], -8
	s_wait_loadcnt 0x1
	v_mul_f64_e32 v[42:43], v[46:47], v[38:39]
	v_mul_f64_e32 v[44:45], v[46:47], v[40:41]
	s_wait_loadcnt 0x0
	v_mul_f64_e32 v[38:39], v[48:49], v[38:39]
	v_mul_f64_e32 v[40:41], v[48:49], v[40:41]
	s_delay_alu instid0(VALU_DEP_4) | instskip(NEXT) | instid1(VALU_DEP_4)
	v_fmac_f64_e32 v[42:43], v[0:1], v[48:49]
	v_fmac_f64_e32 v[44:45], v[2:3], v[48:49]
	s_delay_alu instid0(VALU_DEP_4) | instskip(NEXT) | instid1(VALU_DEP_4)
	v_fma_f64 v[0:1], v[0:1], v[46:47], -v[38:39]
	v_fma_f64 v[2:3], v[2:3], v[46:47], -v[40:41]
	global_store_b128 v[36:37], v[42:45], off offset:-8
	s_wait_xcnt 0x0
	v_add_nc_u64_e32 v[36:37], s[44:45], v[36:37]
	s_cbranch_scc0 .LBB134_20
	s_branch .LBB134_18
.LBB134_21:                             ;   in Loop: Header=BB134_4 Depth=1
	s_or_b32 exec_lo, exec_lo, s47
	s_mov_b32 s47, 0
.LBB134_22:                             ;   in Loop: Header=BB134_4 Depth=1
	s_delay_alu instid0(SALU_CYCLE_1)
	s_and_not1_b32 vcc_lo, exec_lo, s47
	s_cbranch_vccnz .LBB134_29
; %bb.23:                               ;   in Loop: Header=BB134_4 Depth=1
	s_and_saveexec_b32 s47, s0
	s_cbranch_execz .LBB134_28
; %bb.24:                               ;   in Loop: Header=BB134_4 Depth=1
	v_mov_b64_e32 v[32:33], v[28:29]
	v_mov_b32_e32 v34, v4
	s_lshl_b64 s[68:69], s[28:29], 4
	s_mov_b32 s74, 0
	s_add_nc_u64 s[68:69], s[56:57], s[68:69]
	s_branch .LBB134_26
.LBB134_25:                             ;   in Loop: Header=BB134_26 Depth=2
	v_ashrrev_i32_e32 v35, 31, v34
	v_add_nc_u64_e32 v[32:33], s[42:43], v[32:33]
	s_delay_alu instid0(VALU_DEP_2)
	v_lshl_add_u64 v[36:37], v[34:35], 4, s[68:69]
	s_wait_xcnt 0x0
	v_add_nc_u32_e32 v34, s12, v34
	s_wait_loadcnt 0x0
	global_store_b128 v[36:37], v[0:3], off
	v_cmp_le_i32_e32 vcc_lo, s15, v34
	s_or_b32 s74, vcc_lo, s74
	s_wait_xcnt 0x0
	s_and_not1_b32 exec_lo, exec_lo, s74
	s_cbranch_execz .LBB134_28
.LBB134_26:                             ;   Parent Loop BB134_4 Depth=1
                                        ; =>  This Loop Header: Depth=2
                                        ;       Child Loop BB134_27 Depth 3
	global_load_b128 v[0:3], v34, s[68:69] scale_offset
	v_mov_b64_e32 v[36:37], v[32:33]
	s_and_not1_b32 vcc_lo, exec_lo, s87
	s_mov_b64 s[70:71], s[52:53]
	s_mov_b64 s[72:73], s[54:55]
	s_mov_b32 s75, s26
	s_cbranch_vccnz .LBB134_25
.LBB134_27:                             ;   Parent Loop BB134_4 Depth=1
                                        ;     Parent Loop BB134_26 Depth=2
                                        ; =>    This Inner Loop Header: Depth=3
	global_load_b128 v[38:41], v[36:37], off offset:-8
	s_clause 0x1
	global_load_b64 v[46:47], v5, s[72:73]
	global_load_b64 v[48:49], v5, s[70:71]
	s_add_co_i32 s75, s75, -1
	s_wait_xcnt 0x1
	s_add_nc_u64 s[72:73], s[72:73], 8
	s_cmp_eq_u32 s75, 0
	s_wait_xcnt 0x0
	s_add_nc_u64 s[70:71], s[70:71], 8
	s_wait_loadcnt 0x1
	v_mul_f64_e32 v[42:43], v[46:47], v[38:39]
	v_mul_f64_e32 v[44:45], v[46:47], v[40:41]
	s_wait_loadcnt 0x0
	v_mul_f64_e32 v[38:39], v[48:49], v[38:39]
	v_mul_f64_e32 v[40:41], v[48:49], v[40:41]
	s_delay_alu instid0(VALU_DEP_4) | instskip(NEXT) | instid1(VALU_DEP_4)
	v_fmac_f64_e32 v[42:43], v[0:1], v[48:49]
	v_fmac_f64_e32 v[44:45], v[2:3], v[48:49]
	s_delay_alu instid0(VALU_DEP_4) | instskip(NEXT) | instid1(VALU_DEP_4)
	v_fma_f64 v[0:1], v[0:1], v[46:47], -v[38:39]
	v_fma_f64 v[2:3], v[2:3], v[46:47], -v[40:41]
	global_store_b128 v[36:37], v[42:45], off offset:-8
	s_wait_xcnt 0x0
	v_add_nc_u64_e32 v[36:37], s[40:41], v[36:37]
	s_cbranch_scc0 .LBB134_27
	s_branch .LBB134_25
.LBB134_28:                             ;   in Loop: Header=BB134_4 Depth=1
	s_or_b32 exec_lo, exec_lo, s47
.LBB134_29:                             ;   in Loop: Header=BB134_4 Depth=1
	s_mov_b32 s47, 0
.LBB134_30:                             ;   in Loop: Header=BB134_4 Depth=1
	s_delay_alu instid0(SALU_CYCLE_1)
	s_and_not1_b32 vcc_lo, exec_lo, s47
	s_cbranch_vccnz .LBB134_37
; %bb.31:                               ;   in Loop: Header=BB134_4 Depth=1
	s_and_saveexec_b32 s47, s0
	s_cbranch_execz .LBB134_36
; %bb.32:                               ;   in Loop: Header=BB134_4 Depth=1
	v_mov_b64_e32 v[32:33], v[30:31]
	v_mov_b32_e32 v34, v4
	s_mov_b32 s72, 0
	s_branch .LBB134_34
.LBB134_33:                             ;   in Loop: Header=BB134_34 Depth=2
	v_ashrrev_i32_e32 v35, 31, v34
	v_add_nc_u64_e32 v[32:33], s[42:43], v[32:33]
	s_delay_alu instid0(VALU_DEP_2)
	v_lshl_add_u64 v[36:37], v[34:35], 4, s[56:57]
	s_wait_xcnt 0x0
	v_add_nc_u32_e32 v34, s12, v34
	s_wait_loadcnt 0x0
	global_store_b128 v[36:37], v[0:3], off
	v_cmp_le_i32_e32 vcc_lo, s15, v34
	s_or_b32 s72, vcc_lo, s72
	s_wait_xcnt 0x0
	s_and_not1_b32 exec_lo, exec_lo, s72
	s_cbranch_execz .LBB134_36
.LBB134_34:                             ;   Parent Loop BB134_4 Depth=1
                                        ; =>  This Loop Header: Depth=2
                                        ;       Child Loop BB134_35 Depth 3
	global_load_b128 v[0:3], v34, s[56:57] scale_offset
	v_mov_b64_e32 v[36:37], v[32:33]
	s_and_not1_b32 vcc_lo, exec_lo, s87
	s_mov_b64 s[68:69], s[66:67]
	s_mov_b64 s[70:71], s[64:65]
	s_mov_b32 s73, s27
	s_cbranch_vccnz .LBB134_33
.LBB134_35:                             ;   Parent Loop BB134_4 Depth=1
                                        ;     Parent Loop BB134_34 Depth=2
                                        ; =>    This Inner Loop Header: Depth=3
	s_clause 0x1
	global_load_b64 v[42:43], v5, s[68:69]
	global_load_b64 v[44:45], v5, s[70:71]
	global_load_b128 v[38:41], v[36:37], off offset:-8
	s_wait_loadcnt 0x3
	v_mov_b64_e32 v[46:47], v[0:1]
	v_mov_b64_e32 v[48:49], v[2:3]
	s_add_co_i32 s73, s73, -1
	s_wait_xcnt 0x1
	s_add_nc_u64 s[70:71], s[70:71], -8
	s_cmp_lt_u32 s73, 3
	s_add_nc_u64 s[68:69], s[68:69], -8
	s_wait_loadcnt 0x2
	v_mul_f64_e32 v[50:51], v[46:47], v[42:43]
	v_mul_f64_e32 v[52:53], v[48:49], v[42:43]
	s_wait_loadcnt 0x0
	v_mul_f64_e32 v[0:1], v[42:43], v[38:39]
	v_mul_f64_e32 v[2:3], v[42:43], v[40:41]
	s_delay_alu instid0(VALU_DEP_4) | instskip(NEXT) | instid1(VALU_DEP_4)
	v_fma_f64 v[38:39], v[44:45], v[38:39], -v[50:51]
	v_fma_f64 v[40:41], v[44:45], v[40:41], -v[52:53]
	s_delay_alu instid0(VALU_DEP_4) | instskip(NEXT) | instid1(VALU_DEP_4)
	v_fmac_f64_e32 v[0:1], v[46:47], v[44:45]
	v_fmac_f64_e32 v[2:3], v[48:49], v[44:45]
	global_store_b128 v[36:37], v[38:41], off offset:-8
	s_wait_xcnt 0x0
	v_add_nc_u64_e32 v[36:37], s[44:45], v[36:37]
	s_cbranch_scc0 .LBB134_35
	s_branch .LBB134_33
.LBB134_36:                             ;   in Loop: Header=BB134_4 Depth=1
	s_or_b32 exec_lo, exec_lo, s47
.LBB134_37:                             ;   in Loop: Header=BB134_4 Depth=1
	s_mov_b32 s47, 0
.LBB134_38:                             ;   in Loop: Header=BB134_4 Depth=1
	s_delay_alu instid0(SALU_CYCLE_1)
	s_and_not1_b32 vcc_lo, exec_lo, s47
	s_cbranch_vccnz .LBB134_45
; %bb.39:                               ;   in Loop: Header=BB134_4 Depth=1
	s_and_saveexec_b32 s47, s0
	s_cbranch_execz .LBB134_44
; %bb.40:                               ;   in Loop: Header=BB134_4 Depth=1
	v_add_nc_u64_e32 v[32:33], s[58:59], v[16:17]
	v_mov_b32_e32 v34, v4
	s_mov_b32 s72, 0
	s_branch .LBB134_42
.LBB134_41:                             ;   in Loop: Header=BB134_42 Depth=2
	v_ashrrev_i32_e32 v35, 31, v34
	v_add_nc_u64_e32 v[32:33], s[42:43], v[32:33]
	s_delay_alu instid0(VALU_DEP_2)
	v_lshl_add_u64 v[36:37], v[34:35], 4, s[56:57]
	s_wait_xcnt 0x0
	v_add_nc_u32_e32 v34, s12, v34
	s_wait_loadcnt 0x0
	global_store_b128 v[36:37], v[0:3], off
	v_cmp_le_i32_e32 vcc_lo, s15, v34
	s_or_b32 s72, vcc_lo, s72
	s_wait_xcnt 0x0
	s_and_not1_b32 exec_lo, exec_lo, s72
	s_cbranch_execz .LBB134_44
.LBB134_42:                             ;   Parent Loop BB134_4 Depth=1
                                        ; =>  This Loop Header: Depth=2
                                        ;       Child Loop BB134_43 Depth 3
	global_load_b128 v[0:3], v34, s[56:57] scale_offset
	v_mov_b64_e32 v[36:37], v[32:33]
	s_and_not1_b32 vcc_lo, exec_lo, s87
	s_mov_b32 s73, s26
	s_mov_b64 s[68:69], s[54:55]
	s_mov_b64 s[70:71], s[52:53]
	s_cbranch_vccnz .LBB134_41
.LBB134_43:                             ;   Parent Loop BB134_4 Depth=1
                                        ;     Parent Loop BB134_42 Depth=2
                                        ; =>    This Inner Loop Header: Depth=3
	s_clause 0x1
	global_load_b64 v[42:43], v5, s[70:71]
	global_load_b64 v[44:45], v5, s[68:69]
	global_load_b128 v[38:41], v[36:37], off offset:-8
	s_wait_loadcnt 0x3
	v_mov_b64_e32 v[46:47], v[0:1]
	v_mov_b64_e32 v[48:49], v[2:3]
	s_add_co_i32 s73, s73, -1
	s_wait_xcnt 0x2
	s_add_nc_u64 s[70:71], s[70:71], 8
	s_cmp_eq_u32 s73, 0
	s_wait_xcnt 0x1
	s_add_nc_u64 s[68:69], s[68:69], 8
	s_wait_loadcnt 0x2
	v_mul_f64_e32 v[50:51], v[46:47], v[42:43]
	v_mul_f64_e32 v[52:53], v[48:49], v[42:43]
	s_wait_loadcnt 0x0
	v_mul_f64_e32 v[0:1], v[42:43], v[38:39]
	v_mul_f64_e32 v[2:3], v[42:43], v[40:41]
	s_delay_alu instid0(VALU_DEP_4) | instskip(NEXT) | instid1(VALU_DEP_4)
	v_fma_f64 v[38:39], v[44:45], v[38:39], -v[50:51]
	v_fma_f64 v[40:41], v[44:45], v[40:41], -v[52:53]
	s_delay_alu instid0(VALU_DEP_4) | instskip(NEXT) | instid1(VALU_DEP_4)
	v_fmac_f64_e32 v[0:1], v[46:47], v[44:45]
	v_fmac_f64_e32 v[2:3], v[48:49], v[44:45]
	global_store_b128 v[36:37], v[38:41], off offset:-8
	s_wait_xcnt 0x0
	v_add_nc_u64_e32 v[36:37], s[40:41], v[36:37]
	s_cbranch_scc0 .LBB134_43
	s_branch .LBB134_41
.LBB134_44:                             ;   in Loop: Header=BB134_4 Depth=1
	s_or_b32 exec_lo, exec_lo, s47
.LBB134_45:                             ;   in Loop: Header=BB134_4 Depth=1
	s_mov_b32 s47, 0
.LBB134_46:                             ;   in Loop: Header=BB134_4 Depth=1
	s_delay_alu instid0(SALU_CYCLE_1)
	s_and_not1_b32 vcc_lo, exec_lo, s47
	s_cbranch_vccnz .LBB134_54
; %bb.47:                               ;   in Loop: Header=BB134_4 Depth=1
	s_and_saveexec_b32 s47, s0
	s_cbranch_execz .LBB134_53
; %bb.48:                               ;   in Loop: Header=BB134_4 Depth=1
	v_add_nc_u64_e32 v[32:33], s[58:59], v[6:7]
	v_mov_b32_e32 v34, v4
	s_lshl_b64 s[68:69], s[28:29], 4
	s_mov_b32 s89, 0
	s_add_nc_u64 s[68:69], s[56:57], s[68:69]
	s_branch .LBB134_50
.LBB134_49:                             ;   in Loop: Header=BB134_50 Depth=2
	v_ashrrev_i32_e32 v35, 31, v34
	v_add_nc_u64_e32 v[32:33], s[42:43], v[32:33]
	v_add_nc_u64_e32 v[30:31], s[42:43], v[30:31]
	s_wait_xcnt 0x0
	s_delay_alu instid0(VALU_DEP_3)
	v_lshl_add_u64 v[36:37], v[34:35], 4, s[56:57]
	v_add_nc_u32_e32 v34, s12, v34
	s_wait_loadcnt 0x0
	global_store_b128 v[36:37], v[0:3], off
	v_cmp_le_i32_e32 vcc_lo, s15, v34
	s_or_b32 s89, vcc_lo, s89
	s_wait_xcnt 0x0
	s_and_not1_b32 exec_lo, exec_lo, s89
	s_cbranch_execz .LBB134_53
.LBB134_50:                             ;   Parent Loop BB134_4 Depth=1
                                        ; =>  This Loop Header: Depth=2
                                        ;       Child Loop BB134_52 Depth 3
	global_load_b128 v[0:3], v34, s[68:69] scale_offset
	s_and_not1_b32 vcc_lo, exec_lo, s87
	s_cbranch_vccnz .LBB134_49
; %bb.51:                               ;   in Loop: Header=BB134_50 Depth=2
	s_mov_b64 s[70:71], 0
	s_mov_b64 s[72:73], s[66:67]
	;; [unrolled: 1-line block ×3, first 2 shown]
	s_mov_b32 s90, s26
.LBB134_52:                             ;   Parent Loop BB134_4 Depth=1
                                        ;     Parent Loop BB134_50 Depth=2
                                        ; =>    This Inner Loop Header: Depth=3
	s_wait_xcnt 0x0
	v_add_nc_u64_e32 v[36:37], s[70:71], v[32:33]
	s_wait_loadcnt 0x0
	v_mov_b64_e32 v[44:45], v[2:3]
	v_mov_b64_e32 v[46:47], v[0:1]
	s_add_co_i32 s90, s90, -1
	s_clause 0x1
	global_load_b64 v[40:41], v5, s[74:75]
	global_load_b64 v[42:43], v5, s[72:73]
	global_load_b128 v[36:39], v[36:37], off
	s_wait_xcnt 0x2
	s_add_nc_u64 s[74:75], s[74:75], -8
	s_cmp_eq_u32 s90, 0
	s_wait_xcnt 0x1
	s_add_nc_u64 s[72:73], s[72:73], -8
	s_wait_loadcnt 0x0
	v_mul_f64_e32 v[48:49], v[42:43], v[36:37]
	v_mul_f64_e32 v[50:51], v[42:43], v[38:39]
	;; [unrolled: 1-line block ×4, first 2 shown]
	s_wait_xcnt 0x0
	s_delay_alu instid0(VALU_DEP_4) | instskip(NEXT) | instid1(VALU_DEP_4)
	v_fma_f64 v[36:37], v[46:47], v[40:41], -v[48:49]
	v_fma_f64 v[38:39], v[44:45], v[40:41], -v[50:51]
	s_delay_alu instid0(VALU_DEP_4) | instskip(NEXT) | instid1(VALU_DEP_4)
	v_fmac_f64_e32 v[0:1], v[46:47], v[42:43]
	v_fmac_f64_e32 v[2:3], v[44:45], v[42:43]
	v_add_nc_u64_e32 v[40:41], s[70:71], v[30:31]
	s_sub_nc_u64 s[70:71], s[70:71], s[40:41]
	global_store_b128 v[40:41], v[36:39], off offset:-8
	s_cbranch_scc0 .LBB134_52
	s_branch .LBB134_49
.LBB134_53:                             ;   in Loop: Header=BB134_4 Depth=1
	s_or_b32 exec_lo, exec_lo, s47
.LBB134_54:                             ;   in Loop: Header=BB134_4 Depth=1
	s_mov_b32 s47, 0
.LBB134_55:                             ;   in Loop: Header=BB134_4 Depth=1
	s_delay_alu instid0(SALU_CYCLE_1)
	s_and_not1_b32 vcc_lo, exec_lo, s47
	s_cbranch_vccnz .LBB134_62
; %bb.56:                               ;   in Loop: Header=BB134_4 Depth=1
	s_and_saveexec_b32 s47, s0
	s_cbranch_execz .LBB134_61
; %bb.57:                               ;   in Loop: Header=BB134_4 Depth=1
	v_mov_b32_e32 v30, v4
	s_lshl_b64 s[64:65], s[28:29], 4
	s_mov_b32 s70, 0
	s_add_nc_u64 s[64:65], s[56:57], s[64:65]
	s_branch .LBB134_59
.LBB134_58:                             ;   in Loop: Header=BB134_59 Depth=2
	v_ashrrev_i32_e32 v31, 31, v30
	v_add_nc_u64_e32 v[28:29], s[42:43], v[28:29]
	s_delay_alu instid0(VALU_DEP_2)
	v_lshl_add_u64 v[32:33], v[30:31], 4, s[64:65]
	s_wait_xcnt 0x0
	v_add_nc_u32_e32 v30, s12, v30
	s_wait_loadcnt 0x0
	global_store_b128 v[32:33], v[0:3], off
	v_cmp_le_i32_e32 vcc_lo, s15, v30
	s_or_b32 s70, vcc_lo, s70
	s_wait_xcnt 0x0
	s_and_not1_b32 exec_lo, exec_lo, s70
	s_cbranch_execz .LBB134_61
.LBB134_59:                             ;   Parent Loop BB134_4 Depth=1
                                        ; =>  This Loop Header: Depth=2
                                        ;       Child Loop BB134_60 Depth 3
	global_load_b128 v[0:3], v30, s[56:57] scale_offset
	v_mov_b64_e32 v[32:33], v[28:29]
	s_and_not1_b32 vcc_lo, exec_lo, s87
	s_mov_b64 s[66:67], s[52:53]
	s_mov_b64 s[68:69], s[54:55]
	s_mov_b32 s71, s26
	s_cbranch_vccnz .LBB134_58
.LBB134_60:                             ;   Parent Loop BB134_4 Depth=1
                                        ;     Parent Loop BB134_59 Depth=2
                                        ; =>    This Inner Loop Header: Depth=3
	s_delay_alu instid0(VALU_DEP_1)
	v_add_nc_u64_e32 v[42:43], s[40:41], v[32:33]
	s_add_co_i32 s71, s71, -1
	global_load_b128 v[34:37], v[42:43], off offset:-8
	s_clause 0x1
	global_load_b64 v[44:45], v5, s[66:67]
	global_load_b64 v[46:47], v5, s[68:69]
	s_wait_xcnt 0x0
	s_add_nc_u64 s[68:69], s[68:69], 8
	s_cmp_eq_u32 s71, 0
	s_add_nc_u64 s[66:67], s[66:67], 8
	s_wait_loadcnt 0x1
	v_mul_f64_e32 v[38:39], v[44:45], v[34:35]
	v_mul_f64_e32 v[40:41], v[44:45], v[36:37]
	;; [unrolled: 1-line block ×4, first 2 shown]
	s_wait_loadcnt 0x0
	s_delay_alu instid0(VALU_DEP_4) | instskip(NEXT) | instid1(VALU_DEP_4)
	v_fmac_f64_e32 v[38:39], v[0:1], v[46:47]
	v_fmac_f64_e32 v[40:41], v[2:3], v[46:47]
	s_delay_alu instid0(VALU_DEP_4) | instskip(NEXT) | instid1(VALU_DEP_4)
	v_fma_f64 v[0:1], v[46:47], v[34:35], -v[48:49]
	v_fma_f64 v[2:3], v[46:47], v[36:37], -v[44:45]
	global_store_b128 v[32:33], v[38:41], off offset:-8
	s_wait_xcnt 0x0
	v_mov_b64_e32 v[32:33], v[42:43]
	s_cbranch_scc0 .LBB134_60
	s_branch .LBB134_58
.LBB134_61:                             ;   in Loop: Header=BB134_4 Depth=1
	s_or_b32 exec_lo, exec_lo, s47
.LBB134_62:                             ;   in Loop: Header=BB134_4 Depth=1
	s_mov_b32 s47, 0
.LBB134_63:                             ;   in Loop: Header=BB134_4 Depth=1
	s_delay_alu instid0(SALU_CYCLE_1)
	s_and_not1_b32 vcc_lo, exec_lo, s47
	s_cbranch_vccnz .LBB134_70
; %bb.64:                               ;   in Loop: Header=BB134_4 Depth=1
	s_and_saveexec_b32 s47, s1
	s_cbranch_execz .LBB134_69
; %bb.65:                               ;   in Loop: Header=BB134_4 Depth=1
	v_add_nc_u64_e32 v[28:29], s[58:59], v[18:19]
	v_mov_b32_e32 v30, v4
	s_lshl_b64 s[64:65], s[30:31], 4
	s_mov_b32 s70, 0
	s_add_nc_u64 s[64:65], s[56:57], s[64:65]
	s_branch .LBB134_67
.LBB134_66:                             ;   in Loop: Header=BB134_67 Depth=2
	v_add_nc_u32_e32 v30, s12, v30
	v_add_nc_u64_e32 v[28:29], s[50:51], v[28:29]
	s_wait_loadcnt 0x0
	global_store_b128 v[32:33], v[0:3], off offset:-16
	v_cmp_le_i32_e32 vcc_lo, s23, v30
	s_or_b32 s70, vcc_lo, s70
	s_wait_xcnt 0x0
	s_and_not1_b32 exec_lo, exec_lo, s70
	s_cbranch_execz .LBB134_69
.LBB134_67:                             ;   Parent Loop BB134_4 Depth=1
                                        ; =>  This Loop Header: Depth=2
                                        ;       Child Loop BB134_68 Depth 3
	v_ashrrev_i32_e32 v31, 31, v30
	v_mov_b64_e32 v[34:35], v[28:29]
	s_and_not1_b32 vcc_lo, exec_lo, s88
	s_mov_b64 s[66:67], s[62:63]
	s_mov_b64 s[68:69], s[60:61]
	v_mul_u64_e32 v[0:1], s[20:21], v[30:31]
	s_mov_b32 s71, s46
	s_delay_alu instid0(VALU_DEP_1)
	v_lshl_add_u64 v[32:33], v[0:1], 4, s[64:65]
	global_load_b128 v[0:3], v[32:33], off offset:-16
	s_cbranch_vccnz .LBB134_66
.LBB134_68:                             ;   Parent Loop BB134_4 Depth=1
                                        ;     Parent Loop BB134_67 Depth=2
                                        ; =>    This Inner Loop Header: Depth=3
	global_load_b128 v[36:39], v[34:35], off offset:-8
	s_clause 0x1
	global_load_b64 v[44:45], v5, s[68:69]
	global_load_b64 v[46:47], v5, s[66:67]
	s_add_co_i32 s71, s71, -1
	s_wait_xcnt 0x1
	s_add_nc_u64 s[68:69], s[68:69], -8
	s_cmp_eq_u32 s71, 0
	s_wait_xcnt 0x0
	s_add_nc_u64 s[66:67], s[66:67], -8
	s_wait_loadcnt 0x1
	v_mul_f64_e32 v[40:41], v[44:45], v[36:37]
	v_mul_f64_e32 v[42:43], v[44:45], v[38:39]
	s_wait_loadcnt 0x0
	v_mul_f64_e32 v[36:37], v[46:47], v[36:37]
	v_mul_f64_e32 v[38:39], v[46:47], v[38:39]
	s_delay_alu instid0(VALU_DEP_4) | instskip(NEXT) | instid1(VALU_DEP_4)
	v_fmac_f64_e32 v[40:41], v[0:1], v[46:47]
	v_fmac_f64_e32 v[42:43], v[2:3], v[46:47]
	s_delay_alu instid0(VALU_DEP_4) | instskip(NEXT) | instid1(VALU_DEP_4)
	v_fma_f64 v[0:1], v[0:1], v[44:45], -v[36:37]
	v_fma_f64 v[2:3], v[2:3], v[44:45], -v[38:39]
	global_store_b128 v[34:35], v[40:43], off offset:-8
	s_wait_xcnt 0x0
	v_add_nc_u64_e32 v[34:35], -16, v[34:35]
	s_cbranch_scc0 .LBB134_68
	s_branch .LBB134_66
.LBB134_69:                             ;   in Loop: Header=BB134_4 Depth=1
	s_or_b32 exec_lo, exec_lo, s47
.LBB134_70:                             ;   in Loop: Header=BB134_4 Depth=1
	s_mov_b32 s47, 0
.LBB134_71:                             ;   in Loop: Header=BB134_4 Depth=1
	s_delay_alu instid0(SALU_CYCLE_1)
	s_and_not1_b32 vcc_lo, exec_lo, s47
	s_cbranch_vccnz .LBB134_78
; %bb.72:                               ;   in Loop: Header=BB134_4 Depth=1
	s_and_saveexec_b32 s47, s1
	s_cbranch_execz .LBB134_77
; %bb.73:                               ;   in Loop: Header=BB134_4 Depth=1
	v_add_nc_u64_e32 v[28:29], s[58:59], v[20:21]
	v_mov_b32_e32 v30, v4
	s_lshl_b64 s[64:65], s[30:31], 4
	s_mov_b32 s70, 0
	s_add_nc_u64 s[64:65], s[56:57], s[64:65]
	s_branch .LBB134_75
.LBB134_74:                             ;   in Loop: Header=BB134_75 Depth=2
	v_add_nc_u32_e32 v30, s12, v30
	v_add_nc_u64_e32 v[28:29], s[50:51], v[28:29]
	s_wait_loadcnt 0x0
	global_store_b128 v[32:33], v[0:3], off offset:-16
	v_cmp_le_i32_e32 vcc_lo, s23, v30
	s_or_b32 s70, vcc_lo, s70
	s_wait_xcnt 0x0
	s_and_not1_b32 exec_lo, exec_lo, s70
	s_cbranch_execz .LBB134_77
.LBB134_75:                             ;   Parent Loop BB134_4 Depth=1
                                        ; =>  This Loop Header: Depth=2
                                        ;       Child Loop BB134_76 Depth 3
	v_ashrrev_i32_e32 v31, 31, v30
	v_mov_b64_e32 v[34:35], v[28:29]
	s_and_not1_b32 vcc_lo, exec_lo, s88
	s_mov_b64 s[66:67], s[52:53]
	s_mov_b64 s[68:69], s[54:55]
	v_mul_u64_e32 v[0:1], s[20:21], v[30:31]
	s_mov_b32 s71, s46
	s_delay_alu instid0(VALU_DEP_1)
	v_lshl_add_u64 v[32:33], v[0:1], 4, s[64:65]
	global_load_b128 v[0:3], v[32:33], off offset:-16
	s_cbranch_vccnz .LBB134_74
.LBB134_76:                             ;   Parent Loop BB134_4 Depth=1
                                        ;     Parent Loop BB134_75 Depth=2
                                        ; =>    This Inner Loop Header: Depth=3
	global_load_b128 v[36:39], v[34:35], off offset:-8
	s_clause 0x1
	global_load_b64 v[44:45], v5, s[68:69]
	global_load_b64 v[46:47], v5, s[66:67]
	s_add_co_i32 s71, s71, -1
	s_wait_xcnt 0x1
	s_add_nc_u64 s[68:69], s[68:69], 8
	s_cmp_eq_u32 s71, 0
	s_wait_xcnt 0x0
	s_add_nc_u64 s[66:67], s[66:67], 8
	s_wait_loadcnt 0x1
	v_mul_f64_e32 v[40:41], v[44:45], v[36:37]
	v_mul_f64_e32 v[42:43], v[44:45], v[38:39]
	s_wait_loadcnt 0x0
	v_mul_f64_e32 v[36:37], v[46:47], v[36:37]
	v_mul_f64_e32 v[38:39], v[46:47], v[38:39]
	s_delay_alu instid0(VALU_DEP_4) | instskip(NEXT) | instid1(VALU_DEP_4)
	v_fmac_f64_e32 v[40:41], v[0:1], v[46:47]
	v_fmac_f64_e32 v[42:43], v[2:3], v[46:47]
	s_delay_alu instid0(VALU_DEP_4) | instskip(NEXT) | instid1(VALU_DEP_4)
	v_fma_f64 v[0:1], v[0:1], v[44:45], -v[36:37]
	v_fma_f64 v[2:3], v[2:3], v[44:45], -v[38:39]
	global_store_b128 v[34:35], v[40:43], off offset:-8
	s_wait_xcnt 0x0
	v_add_nc_u64_e32 v[34:35], 16, v[34:35]
	s_cbranch_scc0 .LBB134_76
	s_branch .LBB134_74
.LBB134_77:                             ;   in Loop: Header=BB134_4 Depth=1
	s_or_b32 exec_lo, exec_lo, s47
.LBB134_78:                             ;   in Loop: Header=BB134_4 Depth=1
	s_mov_b32 s47, 0
.LBB134_79:                             ;   in Loop: Header=BB134_4 Depth=1
	s_delay_alu instid0(SALU_CYCLE_1)
	s_and_not1_b32 vcc_lo, exec_lo, s47
	s_cbranch_vccnz .LBB134_86
; %bb.80:                               ;   in Loop: Header=BB134_4 Depth=1
	s_and_saveexec_b32 s47, s1
	s_cbranch_execz .LBB134_85
; %bb.81:                               ;   in Loop: Header=BB134_4 Depth=1
	v_add_nc_u64_e32 v[28:29], s[58:59], v[22:23]
	v_mov_b32_e32 v30, v4
	s_mov_b32 s68, 0
	s_branch .LBB134_83
.LBB134_82:                             ;   in Loop: Header=BB134_83 Depth=2
	v_add_nc_u32_e32 v30, s12, v30
	v_add_nc_u64_e32 v[28:29], s[50:51], v[28:29]
	s_wait_loadcnt 0x0
	global_store_b128 v[32:33], v[0:3], off
	v_cmp_le_i32_e32 vcc_lo, s23, v30
	s_or_b32 s68, vcc_lo, s68
	s_wait_xcnt 0x0
	s_and_not1_b32 exec_lo, exec_lo, s68
	s_cbranch_execz .LBB134_85
.LBB134_83:                             ;   Parent Loop BB134_4 Depth=1
                                        ; =>  This Loop Header: Depth=2
                                        ;       Child Loop BB134_84 Depth 3
	s_delay_alu instid0(VALU_DEP_1) | instskip(NEXT) | instid1(VALU_DEP_3)
	v_ashrrev_i32_e32 v31, 31, v30
	v_mov_b64_e32 v[34:35], v[28:29]
	s_and_not1_b32 vcc_lo, exec_lo, s88
	s_mov_b64 s[64:65], s[62:63]
	s_mov_b64 s[66:67], s[60:61]
	v_mul_u64_e32 v[0:1], s[20:21], v[30:31]
	s_mov_b32 s69, s13
	s_delay_alu instid0(VALU_DEP_1)
	v_lshl_add_u64 v[32:33], v[0:1], 4, s[56:57]
	global_load_b128 v[0:3], v[32:33], off
	s_cbranch_vccnz .LBB134_82
.LBB134_84:                             ;   Parent Loop BB134_4 Depth=1
                                        ;     Parent Loop BB134_83 Depth=2
                                        ; =>    This Inner Loop Header: Depth=3
	s_clause 0x1
	global_load_b64 v[40:41], v5, s[64:65]
	global_load_b64 v[42:43], v5, s[66:67]
	global_load_b128 v[36:39], v[34:35], off offset:-8
	s_wait_loadcnt 0x3
	v_mov_b64_e32 v[44:45], v[0:1]
	v_mov_b64_e32 v[46:47], v[2:3]
	s_add_co_i32 s69, s69, -1
	s_wait_xcnt 0x1
	s_add_nc_u64 s[66:67], s[66:67], -8
	s_cmp_lt_u32 s69, 3
	s_add_nc_u64 s[64:65], s[64:65], -8
	s_wait_loadcnt 0x2
	v_mul_f64_e32 v[48:49], v[44:45], v[40:41]
	v_mul_f64_e32 v[50:51], v[46:47], v[40:41]
	s_wait_loadcnt 0x0
	v_mul_f64_e32 v[0:1], v[40:41], v[36:37]
	v_mul_f64_e32 v[2:3], v[40:41], v[38:39]
	s_delay_alu instid0(VALU_DEP_4) | instskip(NEXT) | instid1(VALU_DEP_4)
	v_fma_f64 v[36:37], v[42:43], v[36:37], -v[48:49]
	v_fma_f64 v[38:39], v[42:43], v[38:39], -v[50:51]
	s_delay_alu instid0(VALU_DEP_4) | instskip(NEXT) | instid1(VALU_DEP_4)
	v_fmac_f64_e32 v[0:1], v[44:45], v[42:43]
	v_fmac_f64_e32 v[2:3], v[46:47], v[42:43]
	global_store_b128 v[34:35], v[36:39], off offset:-8
	s_wait_xcnt 0x0
	v_add_nc_u64_e32 v[34:35], -16, v[34:35]
	s_cbranch_scc0 .LBB134_84
	s_branch .LBB134_82
.LBB134_85:                             ;   in Loop: Header=BB134_4 Depth=1
	s_or_b32 exec_lo, exec_lo, s47
.LBB134_86:                             ;   in Loop: Header=BB134_4 Depth=1
	s_mov_b32 s47, 0
.LBB134_87:                             ;   in Loop: Header=BB134_4 Depth=1
	s_delay_alu instid0(SALU_CYCLE_1)
	s_and_not1_b32 vcc_lo, exec_lo, s47
	s_cbranch_vccnz .LBB134_94
; %bb.88:                               ;   in Loop: Header=BB134_4 Depth=1
	s_and_saveexec_b32 s47, s1
	s_cbranch_execz .LBB134_93
; %bb.89:                               ;   in Loop: Header=BB134_4 Depth=1
	v_add_nc_u64_e32 v[28:29], s[58:59], v[24:25]
	v_mov_b32_e32 v30, v4
	s_mov_b32 s68, 0
	s_branch .LBB134_91
.LBB134_90:                             ;   in Loop: Header=BB134_91 Depth=2
	v_add_nc_u32_e32 v30, s12, v30
	v_add_nc_u64_e32 v[28:29], s[50:51], v[28:29]
	s_wait_loadcnt 0x0
	global_store_b128 v[32:33], v[0:3], off
	v_cmp_le_i32_e32 vcc_lo, s23, v30
	s_or_b32 s68, vcc_lo, s68
	s_wait_xcnt 0x0
	s_and_not1_b32 exec_lo, exec_lo, s68
	s_cbranch_execz .LBB134_93
.LBB134_91:                             ;   Parent Loop BB134_4 Depth=1
                                        ; =>  This Loop Header: Depth=2
                                        ;       Child Loop BB134_92 Depth 3
	s_delay_alu instid0(VALU_DEP_1) | instskip(NEXT) | instid1(VALU_DEP_3)
	v_ashrrev_i32_e32 v31, 31, v30
	v_mov_b64_e32 v[34:35], v[28:29]
	s_and_not1_b32 vcc_lo, exec_lo, s88
	s_mov_b32 s69, s46
	s_mov_b64 s[64:65], s[54:55]
	v_mul_u64_e32 v[0:1], s[20:21], v[30:31]
	s_mov_b64 s[66:67], s[52:53]
	s_delay_alu instid0(VALU_DEP_1)
	v_lshl_add_u64 v[32:33], v[0:1], 4, s[56:57]
	global_load_b128 v[0:3], v[32:33], off
	s_cbranch_vccnz .LBB134_90
.LBB134_92:                             ;   Parent Loop BB134_4 Depth=1
                                        ;     Parent Loop BB134_91 Depth=2
                                        ; =>    This Inner Loop Header: Depth=3
	s_clause 0x1
	global_load_b64 v[40:41], v5, s[66:67]
	global_load_b64 v[42:43], v5, s[64:65]
	global_load_b128 v[36:39], v[34:35], off
	s_wait_loadcnt 0x3
	v_mov_b64_e32 v[44:45], v[0:1]
	v_mov_b64_e32 v[46:47], v[2:3]
	s_add_co_i32 s69, s69, -1
	s_wait_xcnt 0x2
	s_add_nc_u64 s[66:67], s[66:67], 8
	s_cmp_eq_u32 s69, 0
	s_wait_xcnt 0x1
	s_add_nc_u64 s[64:65], s[64:65], 8
	s_wait_loadcnt 0x2
	v_mul_f64_e32 v[48:49], v[44:45], v[40:41]
	v_mul_f64_e32 v[50:51], v[46:47], v[40:41]
	s_wait_loadcnt 0x0
	v_mul_f64_e32 v[0:1], v[40:41], v[36:37]
	v_mul_f64_e32 v[2:3], v[40:41], v[38:39]
	s_delay_alu instid0(VALU_DEP_4) | instskip(NEXT) | instid1(VALU_DEP_4)
	v_fma_f64 v[36:37], v[42:43], v[36:37], -v[48:49]
	v_fma_f64 v[38:39], v[42:43], v[38:39], -v[50:51]
	s_delay_alu instid0(VALU_DEP_4) | instskip(NEXT) | instid1(VALU_DEP_4)
	v_fmac_f64_e32 v[0:1], v[44:45], v[42:43]
	v_fmac_f64_e32 v[2:3], v[46:47], v[42:43]
	global_store_b128 v[34:35], v[36:39], off
	s_wait_xcnt 0x0
	v_add_nc_u64_e32 v[34:35], 16, v[34:35]
	s_cbranch_scc0 .LBB134_92
	s_branch .LBB134_90
.LBB134_93:                             ;   in Loop: Header=BB134_4 Depth=1
	s_or_b32 exec_lo, exec_lo, s47
.LBB134_94:                             ;   in Loop: Header=BB134_4 Depth=1
	s_mov_b32 s47, 0
.LBB134_95:                             ;   in Loop: Header=BB134_4 Depth=1
	s_delay_alu instid0(SALU_CYCLE_1)
	s_and_not1_b32 vcc_lo, exec_lo, s47
	s_cbranch_vccnz .LBB134_102
; %bb.96:                               ;   in Loop: Header=BB134_4 Depth=1
	s_and_saveexec_b32 s47, s1
	s_cbranch_execz .LBB134_101
; %bb.97:                               ;   in Loop: Header=BB134_4 Depth=1
	v_add_nc_u64_e32 v[28:29], s[58:59], v[14:15]
	v_mov_b32_e32 v30, v4
	s_lshl_b64 s[64:65], s[30:31], 4
	s_mov_b32 s70, 0
	s_add_nc_u64 s[64:65], s[56:57], s[64:65]
	s_branch .LBB134_99
.LBB134_98:                             ;   in Loop: Header=BB134_99 Depth=2
	v_add_nc_u32_e32 v30, s12, v30
	v_add_nc_u64_e32 v[28:29], s[50:51], v[28:29]
	v_lshl_add_u64 v[32:33], v[32:33], 4, s[56:57]
	s_delay_alu instid0(VALU_DEP_3)
	v_cmp_le_i32_e32 vcc_lo, s23, v30
	s_wait_loadcnt 0x0
	global_store_b128 v[32:33], v[0:3], off
	s_or_b32 s70, vcc_lo, s70
	s_wait_xcnt 0x0
	s_and_not1_b32 exec_lo, exec_lo, s70
	s_cbranch_execz .LBB134_101
.LBB134_99:                             ;   Parent Loop BB134_4 Depth=1
                                        ; =>  This Loop Header: Depth=2
                                        ;       Child Loop BB134_100 Depth 3
	v_ashrrev_i32_e32 v31, 31, v30
	v_mov_b64_e32 v[34:35], v[28:29]
	s_and_not1_b32 vcc_lo, exec_lo, s88
	s_mov_b64 s[66:67], s[62:63]
	s_mov_b64 s[68:69], s[60:61]
	v_mul_u64_e32 v[32:33], s[20:21], v[30:31]
	s_mov_b32 s71, s46
	s_delay_alu instid0(VALU_DEP_1)
	v_lshl_add_u64 v[0:1], v[32:33], 4, s[64:65]
	global_load_b128 v[0:3], v[0:1], off offset:-16
	s_cbranch_vccnz .LBB134_98
.LBB134_100:                            ;   Parent Loop BB134_4 Depth=1
                                        ;     Parent Loop BB134_99 Depth=2
                                        ; =>    This Inner Loop Header: Depth=3
	global_load_b128 v[36:39], v[34:35], off
	s_clause 0x1
	global_load_b64 v[40:41], v5, s[66:67]
	global_load_b64 v[42:43], v5, s[68:69]
	s_wait_loadcnt 0x3
	v_mov_b64_e32 v[48:49], v[2:3]
	v_mov_b64_e32 v[50:51], v[0:1]
	s_add_co_i32 s71, s71, -1
	s_wait_xcnt 0x0
	s_add_nc_u64 s[68:69], s[68:69], -8
	s_cmp_eq_u32 s71, 0
	s_add_nc_u64 s[66:67], s[66:67], -8
	s_wait_loadcnt 0x1
	v_mul_f64_e32 v[44:45], v[40:41], v[36:37]
	v_mul_f64_e32 v[46:47], v[40:41], v[38:39]
	s_wait_loadcnt 0x0
	v_mul_f64_e32 v[0:1], v[42:43], v[36:37]
	v_mul_f64_e32 v[2:3], v[42:43], v[38:39]
	s_delay_alu instid0(VALU_DEP_4) | instskip(NEXT) | instid1(VALU_DEP_4)
	v_fma_f64 v[36:37], v[50:51], v[42:43], -v[44:45]
	v_fma_f64 v[38:39], v[48:49], v[42:43], -v[46:47]
	s_delay_alu instid0(VALU_DEP_4) | instskip(NEXT) | instid1(VALU_DEP_4)
	v_fmac_f64_e32 v[0:1], v[50:51], v[40:41]
	v_fmac_f64_e32 v[2:3], v[48:49], v[40:41]
	global_store_b128 v[34:35], v[36:39], off offset:16
	s_wait_xcnt 0x0
	v_add_nc_u64_e32 v[34:35], -16, v[34:35]
	s_cbranch_scc0 .LBB134_100
	s_branch .LBB134_98
.LBB134_101:                            ;   in Loop: Header=BB134_4 Depth=1
	s_or_b32 exec_lo, exec_lo, s47
.LBB134_102:                            ;   in Loop: Header=BB134_4 Depth=1
	s_cbranch_execnz .LBB134_3
.LBB134_103:                            ;   in Loop: Header=BB134_4 Depth=1
	s_and_saveexec_b32 s47, s1
	s_cbranch_execz .LBB134_2
; %bb.104:                              ;   in Loop: Header=BB134_4 Depth=1
	v_add_nc_u64_e32 v[28:29], s[58:59], v[26:27]
	v_mov_b32_e32 v30, v4
	s_lshl_b64 s[58:59], s[30:31], 4
	s_mov_b32 s64, 0
	s_add_nc_u64 s[58:59], s[56:57], s[58:59]
	s_branch .LBB134_106
.LBB134_105:                            ;   in Loop: Header=BB134_106 Depth=2
	v_add_nc_u32_e32 v30, s12, v30
	v_add_nc_u64_e32 v[28:29], s[50:51], v[28:29]
	v_lshl_add_u64 v[32:33], v[32:33], 4, s[58:59]
	s_delay_alu instid0(VALU_DEP_3)
	v_cmp_le_i32_e32 vcc_lo, s23, v30
	s_wait_loadcnt 0x0
	global_store_b128 v[32:33], v[0:3], off offset:-16
	s_or_b32 s64, vcc_lo, s64
	s_wait_xcnt 0x0
	s_and_not1_b32 exec_lo, exec_lo, s64
	s_cbranch_execz .LBB134_2
.LBB134_106:                            ;   Parent Loop BB134_4 Depth=1
                                        ; =>  This Loop Header: Depth=2
                                        ;       Child Loop BB134_107 Depth 3
	v_ashrrev_i32_e32 v31, 31, v30
	v_mov_b64_e32 v[34:35], v[28:29]
	s_and_not1_b32 vcc_lo, exec_lo, s88
	s_mov_b64 s[60:61], s[54:55]
	s_mov_b64 s[62:63], s[52:53]
	v_mul_u64_e32 v[32:33], s[20:21], v[30:31]
	s_mov_b32 s65, s46
	s_delay_alu instid0(VALU_DEP_1)
	v_lshl_add_u64 v[0:1], v[32:33], 4, s[56:57]
	global_load_b128 v[0:3], v[0:1], off
	s_cbranch_vccnz .LBB134_105
.LBB134_107:                            ;   Parent Loop BB134_4 Depth=1
                                        ;     Parent Loop BB134_106 Depth=2
                                        ; =>    This Inner Loop Header: Depth=3
	global_load_b128 v[36:39], v[34:35], off offset:-8
	s_clause 0x1
	global_load_b64 v[44:45], v5, s[62:63]
	global_load_b64 v[46:47], v5, s[60:61]
	s_add_co_i32 s65, s65, -1
	s_wait_xcnt 0x1
	s_add_nc_u64 s[62:63], s[62:63], 8
	s_cmp_eq_u32 s65, 0
	s_wait_xcnt 0x0
	s_add_nc_u64 s[60:61], s[60:61], 8
	s_wait_loadcnt 0x1
	v_mul_f64_e32 v[40:41], v[44:45], v[36:37]
	v_mul_f64_e32 v[42:43], v[44:45], v[38:39]
	;; [unrolled: 1-line block ×4, first 2 shown]
	s_wait_loadcnt 0x0
	s_delay_alu instid0(VALU_DEP_4) | instskip(NEXT) | instid1(VALU_DEP_4)
	v_fmac_f64_e32 v[40:41], v[0:1], v[46:47]
	v_fmac_f64_e32 v[42:43], v[2:3], v[46:47]
	s_delay_alu instid0(VALU_DEP_4) | instskip(NEXT) | instid1(VALU_DEP_4)
	v_fma_f64 v[0:1], v[46:47], v[36:37], -v[48:49]
	v_fma_f64 v[2:3], v[46:47], v[38:39], -v[44:45]
	global_store_b128 v[34:35], v[40:43], off offset:-24
	s_wait_xcnt 0x0
	v_add_nc_u64_e32 v[34:35], 16, v[34:35]
	s_cbranch_scc0 .LBB134_107
	s_branch .LBB134_105
.LBB134_108:
	s_endpgm
	.section	.rodata,"a",@progbits
	.p2align	6, 0x0
	.amdhsa_kernel _ZN9rocsolver6v33100L11lasr_kernelI19rocblas_complex_numIdEdPS3_iEEv13rocblas_side_14rocblas_pivot_15rocblas_direct_T2_S8_PT0_lSA_lT1_lS8_lS8_
		.amdhsa_group_segment_fixed_size 0
		.amdhsa_private_segment_fixed_size 0
		.amdhsa_kernarg_size 352
		.amdhsa_user_sgpr_count 2
		.amdhsa_user_sgpr_dispatch_ptr 0
		.amdhsa_user_sgpr_queue_ptr 0
		.amdhsa_user_sgpr_kernarg_segment_ptr 1
		.amdhsa_user_sgpr_dispatch_id 0
		.amdhsa_user_sgpr_kernarg_preload_length 0
		.amdhsa_user_sgpr_kernarg_preload_offset 0
		.amdhsa_user_sgpr_private_segment_size 0
		.amdhsa_wavefront_size32 1
		.amdhsa_uses_dynamic_stack 0
		.amdhsa_enable_private_segment 0
		.amdhsa_system_sgpr_workgroup_id_x 1
		.amdhsa_system_sgpr_workgroup_id_y 0
		.amdhsa_system_sgpr_workgroup_id_z 1
		.amdhsa_system_sgpr_workgroup_info 0
		.amdhsa_system_vgpr_workitem_id 0
		.amdhsa_next_free_vgpr 54
		.amdhsa_next_free_sgpr 91
		.amdhsa_named_barrier_count 0
		.amdhsa_reserve_vcc 1
		.amdhsa_float_round_mode_32 0
		.amdhsa_float_round_mode_16_64 0
		.amdhsa_float_denorm_mode_32 3
		.amdhsa_float_denorm_mode_16_64 3
		.amdhsa_fp16_overflow 0
		.amdhsa_memory_ordered 1
		.amdhsa_forward_progress 1
		.amdhsa_inst_pref_size 36
		.amdhsa_round_robin_scheduling 0
		.amdhsa_exception_fp_ieee_invalid_op 0
		.amdhsa_exception_fp_denorm_src 0
		.amdhsa_exception_fp_ieee_div_zero 0
		.amdhsa_exception_fp_ieee_overflow 0
		.amdhsa_exception_fp_ieee_underflow 0
		.amdhsa_exception_fp_ieee_inexact 0
		.amdhsa_exception_int_div_zero 0
	.end_amdhsa_kernel
	.section	.text._ZN9rocsolver6v33100L11lasr_kernelI19rocblas_complex_numIdEdPS3_iEEv13rocblas_side_14rocblas_pivot_15rocblas_direct_T2_S8_PT0_lSA_lT1_lS8_lS8_,"axG",@progbits,_ZN9rocsolver6v33100L11lasr_kernelI19rocblas_complex_numIdEdPS3_iEEv13rocblas_side_14rocblas_pivot_15rocblas_direct_T2_S8_PT0_lSA_lT1_lS8_lS8_,comdat
.Lfunc_end134:
	.size	_ZN9rocsolver6v33100L11lasr_kernelI19rocblas_complex_numIdEdPS3_iEEv13rocblas_side_14rocblas_pivot_15rocblas_direct_T2_S8_PT0_lSA_lT1_lS8_lS8_, .Lfunc_end134-_ZN9rocsolver6v33100L11lasr_kernelI19rocblas_complex_numIdEdPS3_iEEv13rocblas_side_14rocblas_pivot_15rocblas_direct_T2_S8_PT0_lSA_lT1_lS8_lS8_
                                        ; -- End function
	.set _ZN9rocsolver6v33100L11lasr_kernelI19rocblas_complex_numIdEdPS3_iEEv13rocblas_side_14rocblas_pivot_15rocblas_direct_T2_S8_PT0_lSA_lT1_lS8_lS8_.num_vgpr, 54
	.set _ZN9rocsolver6v33100L11lasr_kernelI19rocblas_complex_numIdEdPS3_iEEv13rocblas_side_14rocblas_pivot_15rocblas_direct_T2_S8_PT0_lSA_lT1_lS8_lS8_.num_agpr, 0
	.set _ZN9rocsolver6v33100L11lasr_kernelI19rocblas_complex_numIdEdPS3_iEEv13rocblas_side_14rocblas_pivot_15rocblas_direct_T2_S8_PT0_lSA_lT1_lS8_lS8_.numbered_sgpr, 91
	.set _ZN9rocsolver6v33100L11lasr_kernelI19rocblas_complex_numIdEdPS3_iEEv13rocblas_side_14rocblas_pivot_15rocblas_direct_T2_S8_PT0_lSA_lT1_lS8_lS8_.num_named_barrier, 0
	.set _ZN9rocsolver6v33100L11lasr_kernelI19rocblas_complex_numIdEdPS3_iEEv13rocblas_side_14rocblas_pivot_15rocblas_direct_T2_S8_PT0_lSA_lT1_lS8_lS8_.private_seg_size, 0
	.set _ZN9rocsolver6v33100L11lasr_kernelI19rocblas_complex_numIdEdPS3_iEEv13rocblas_side_14rocblas_pivot_15rocblas_direct_T2_S8_PT0_lSA_lT1_lS8_lS8_.uses_vcc, 1
	.set _ZN9rocsolver6v33100L11lasr_kernelI19rocblas_complex_numIdEdPS3_iEEv13rocblas_side_14rocblas_pivot_15rocblas_direct_T2_S8_PT0_lSA_lT1_lS8_lS8_.uses_flat_scratch, 0
	.set _ZN9rocsolver6v33100L11lasr_kernelI19rocblas_complex_numIdEdPS3_iEEv13rocblas_side_14rocblas_pivot_15rocblas_direct_T2_S8_PT0_lSA_lT1_lS8_lS8_.has_dyn_sized_stack, 0
	.set _ZN9rocsolver6v33100L11lasr_kernelI19rocblas_complex_numIdEdPS3_iEEv13rocblas_side_14rocblas_pivot_15rocblas_direct_T2_S8_PT0_lSA_lT1_lS8_lS8_.has_recursion, 0
	.set _ZN9rocsolver6v33100L11lasr_kernelI19rocblas_complex_numIdEdPS3_iEEv13rocblas_side_14rocblas_pivot_15rocblas_direct_T2_S8_PT0_lSA_lT1_lS8_lS8_.has_indirect_call, 0
	.section	.AMDGPU.csdata,"",@progbits
; Kernel info:
; codeLenInByte = 4536
; TotalNumSgprs: 93
; NumVgprs: 54
; ScratchSize: 0
; MemoryBound: 0
; FloatMode: 240
; IeeeMode: 1
; LDSByteSize: 0 bytes/workgroup (compile time only)
; SGPRBlocks: 0
; VGPRBlocks: 3
; NumSGPRsForWavesPerEU: 93
; NumVGPRsForWavesPerEU: 54
; NamedBarCnt: 0
; Occupancy: 16
; WaveLimiterHint : 0
; COMPUTE_PGM_RSRC2:SCRATCH_EN: 0
; COMPUTE_PGM_RSRC2:USER_SGPR: 2
; COMPUTE_PGM_RSRC2:TRAP_HANDLER: 0
; COMPUTE_PGM_RSRC2:TGID_X_EN: 1
; COMPUTE_PGM_RSRC2:TGID_Y_EN: 0
; COMPUTE_PGM_RSRC2:TGID_Z_EN: 1
; COMPUTE_PGM_RSRC2:TIDIG_COMP_CNT: 0
	.section	.text._ZN9rocsolver6v33100L11scal_kernelId19rocblas_complex_numIdEiEEvT1_T_PT0_S4_,"axG",@progbits,_ZN9rocsolver6v33100L11scal_kernelId19rocblas_complex_numIdEiEEvT1_T_PT0_S4_,comdat
	.globl	_ZN9rocsolver6v33100L11scal_kernelId19rocblas_complex_numIdEiEEvT1_T_PT0_S4_ ; -- Begin function _ZN9rocsolver6v33100L11scal_kernelId19rocblas_complex_numIdEiEEvT1_T_PT0_S4_
	.p2align	8
	.type	_ZN9rocsolver6v33100L11scal_kernelId19rocblas_complex_numIdEiEEvT1_T_PT0_S4_,@function
_ZN9rocsolver6v33100L11scal_kernelId19rocblas_complex_numIdEiEEvT1_T_PT0_S4_: ; @_ZN9rocsolver6v33100L11scal_kernelId19rocblas_complex_numIdEiEEvT1_T_PT0_S4_
; %bb.0:
	s_load_b32 s10, s[0:1], 0x0
	s_wait_kmcnt 0x0
	s_cmp_lt_i32 s10, 1
	s_cbranch_scc1 .LBB135_10
; %bb.1:
	s_clause 0x3
	s_load_b32 s2, s[0:1], 0x2c
	s_load_b128 s[4:7], s[0:1], 0x8
	s_load_b32 s8, s[0:1], 0x18
	s_load_b32 s3, s[0:1], 0x20
	s_wait_xcnt 0x0
	s_bfe_u32 s0, ttmp6, 0x4000c
	s_and_b32 s1, ttmp6, 15
	s_add_co_i32 s0, s0, 1
	s_getreg_b32 s9, hwreg(HW_REG_IB_STS2, 6, 4)
	s_mul_i32 s0, ttmp9, s0
	s_delay_alu instid0(SALU_CYCLE_1)
	s_add_co_i32 s1, s1, s0
	s_wait_kmcnt 0x0
	s_and_b32 s2, s2, 0xffff
	s_cmp_eq_u32 s9, 0
	s_cselect_b32 s0, ttmp9, s1
	s_cmp_eq_u32 s8, 1
	v_mad_u32 v0, s0, s2, v0
	s_mul_i32 s2, s3, s2
	s_mov_b32 s1, -1
	s_delay_alu instid0(VALU_DEP_1)
	v_cmp_gt_i32_e64 s0, s10, v0
	s_cbranch_scc1 .LBB135_6
; %bb.2:
	s_and_saveexec_b32 s1, s0
	s_cbranch_execz .LBB135_5
; %bb.3:
	v_ashrrev_i32_e32 v1, 31, v0
	s_ashr_i32 s9, s8, 31
	s_ashr_i32 s3, s2, 31
	s_delay_alu instid0(VALU_DEP_1) | instskip(SKIP_4) | instid1(VALU_DEP_2)
	v_mul_u64_e32 v[2:3], s[8:9], v[0:1]
	v_mov_b32_e32 v1, v0
	s_mul_u64 s[8:9], s[8:9], s[2:3]
	s_mov_b32 s3, 0
	s_lshl_b64 s[8:9], s[8:9], 4
	v_lshl_add_u64 v[2:3], v[2:3], 4, s[6:7]
	s_delay_alu instid0(VALU_DEP_1)
	v_add_nc_u64_e32 v[2:3], 8, v[2:3]
.LBB135_4:                              ; =>This Inner Loop Header: Depth=1
	global_load_b128 v[4:7], v[2:3], off offset:-8
	v_add_nc_u32_e32 v1, s2, v1
	s_delay_alu instid0(VALU_DEP_1)
	v_cmp_le_i32_e32 vcc_lo, s10, v1
	s_or_b32 s3, vcc_lo, s3
	s_wait_loadcnt 0x0
	v_mul_f64_e32 v[4:5], s[4:5], v[4:5]
	v_mul_f64_e32 v[6:7], s[4:5], v[6:7]
	global_store_b128 v[2:3], v[4:7], off offset:-8
	s_wait_xcnt 0x0
	v_add_nc_u64_e32 v[2:3], s[8:9], v[2:3]
	s_and_not1_b32 exec_lo, exec_lo, s3
	s_cbranch_execnz .LBB135_4
.LBB135_5:
	s_or_b32 exec_lo, exec_lo, s1
	s_mov_b32 s1, 0
.LBB135_6:
	s_delay_alu instid0(SALU_CYCLE_1)
	s_and_not1_b32 vcc_lo, exec_lo, s1
	s_cbranch_vccnz .LBB135_10
; %bb.7:
	s_and_saveexec_b32 s1, s0
	s_cbranch_execz .LBB135_10
; %bb.8:
	v_ashrrev_i32_e32 v1, 31, v0
	s_ashr_i32 s3, s2, 31
	s_delay_alu instid0(SALU_CYCLE_1) | instskip(SKIP_1) | instid1(VALU_DEP_1)
	s_lshl_b64 s[0:1], s[2:3], 4
	s_mov_b32 s3, 0
	v_lshl_add_u64 v[2:3], v[0:1], 4, s[6:7]
	s_delay_alu instid0(VALU_DEP_1)
	v_add_nc_u64_e32 v[2:3], 8, v[2:3]
.LBB135_9:                              ; =>This Inner Loop Header: Depth=1
	global_load_b128 v[4:7], v[2:3], off offset:-8
	v_add_nc_u32_e32 v0, s2, v0
	s_delay_alu instid0(VALU_DEP_1)
	v_cmp_le_i32_e32 vcc_lo, s10, v0
	s_or_b32 s3, vcc_lo, s3
	s_wait_loadcnt 0x0
	v_mul_f64_e32 v[4:5], s[4:5], v[4:5]
	v_mul_f64_e32 v[6:7], s[4:5], v[6:7]
	global_store_b128 v[2:3], v[4:7], off offset:-8
	s_wait_xcnt 0x0
	v_add_nc_u64_e32 v[2:3], s[0:1], v[2:3]
	s_and_not1_b32 exec_lo, exec_lo, s3
	s_cbranch_execnz .LBB135_9
.LBB135_10:
	s_endpgm
	.section	.rodata,"a",@progbits
	.p2align	6, 0x0
	.amdhsa_kernel _ZN9rocsolver6v33100L11scal_kernelId19rocblas_complex_numIdEiEEvT1_T_PT0_S4_
		.amdhsa_group_segment_fixed_size 0
		.amdhsa_private_segment_fixed_size 0
		.amdhsa_kernarg_size 288
		.amdhsa_user_sgpr_count 2
		.amdhsa_user_sgpr_dispatch_ptr 0
		.amdhsa_user_sgpr_queue_ptr 0
		.amdhsa_user_sgpr_kernarg_segment_ptr 1
		.amdhsa_user_sgpr_dispatch_id 0
		.amdhsa_user_sgpr_kernarg_preload_length 0
		.amdhsa_user_sgpr_kernarg_preload_offset 0
		.amdhsa_user_sgpr_private_segment_size 0
		.amdhsa_wavefront_size32 1
		.amdhsa_uses_dynamic_stack 0
		.amdhsa_enable_private_segment 0
		.amdhsa_system_sgpr_workgroup_id_x 1
		.amdhsa_system_sgpr_workgroup_id_y 0
		.amdhsa_system_sgpr_workgroup_id_z 0
		.amdhsa_system_sgpr_workgroup_info 0
		.amdhsa_system_vgpr_workitem_id 0
		.amdhsa_next_free_vgpr 8
		.amdhsa_next_free_sgpr 11
		.amdhsa_named_barrier_count 0
		.amdhsa_reserve_vcc 1
		.amdhsa_float_round_mode_32 0
		.amdhsa_float_round_mode_16_64 0
		.amdhsa_float_denorm_mode_32 3
		.amdhsa_float_denorm_mode_16_64 3
		.amdhsa_fp16_overflow 0
		.amdhsa_memory_ordered 1
		.amdhsa_forward_progress 1
		.amdhsa_inst_pref_size 4
		.amdhsa_round_robin_scheduling 0
		.amdhsa_exception_fp_ieee_invalid_op 0
		.amdhsa_exception_fp_denorm_src 0
		.amdhsa_exception_fp_ieee_div_zero 0
		.amdhsa_exception_fp_ieee_overflow 0
		.amdhsa_exception_fp_ieee_underflow 0
		.amdhsa_exception_fp_ieee_inexact 0
		.amdhsa_exception_int_div_zero 0
	.end_amdhsa_kernel
	.section	.text._ZN9rocsolver6v33100L11scal_kernelId19rocblas_complex_numIdEiEEvT1_T_PT0_S4_,"axG",@progbits,_ZN9rocsolver6v33100L11scal_kernelId19rocblas_complex_numIdEiEEvT1_T_PT0_S4_,comdat
.Lfunc_end135:
	.size	_ZN9rocsolver6v33100L11scal_kernelId19rocblas_complex_numIdEiEEvT1_T_PT0_S4_, .Lfunc_end135-_ZN9rocsolver6v33100L11scal_kernelId19rocblas_complex_numIdEiEEvT1_T_PT0_S4_
                                        ; -- End function
	.set _ZN9rocsolver6v33100L11scal_kernelId19rocblas_complex_numIdEiEEvT1_T_PT0_S4_.num_vgpr, 8
	.set _ZN9rocsolver6v33100L11scal_kernelId19rocblas_complex_numIdEiEEvT1_T_PT0_S4_.num_agpr, 0
	.set _ZN9rocsolver6v33100L11scal_kernelId19rocblas_complex_numIdEiEEvT1_T_PT0_S4_.numbered_sgpr, 11
	.set _ZN9rocsolver6v33100L11scal_kernelId19rocblas_complex_numIdEiEEvT1_T_PT0_S4_.num_named_barrier, 0
	.set _ZN9rocsolver6v33100L11scal_kernelId19rocblas_complex_numIdEiEEvT1_T_PT0_S4_.private_seg_size, 0
	.set _ZN9rocsolver6v33100L11scal_kernelId19rocblas_complex_numIdEiEEvT1_T_PT0_S4_.uses_vcc, 1
	.set _ZN9rocsolver6v33100L11scal_kernelId19rocblas_complex_numIdEiEEvT1_T_PT0_S4_.uses_flat_scratch, 0
	.set _ZN9rocsolver6v33100L11scal_kernelId19rocblas_complex_numIdEiEEvT1_T_PT0_S4_.has_dyn_sized_stack, 0
	.set _ZN9rocsolver6v33100L11scal_kernelId19rocblas_complex_numIdEiEEvT1_T_PT0_S4_.has_recursion, 0
	.set _ZN9rocsolver6v33100L11scal_kernelId19rocblas_complex_numIdEiEEvT1_T_PT0_S4_.has_indirect_call, 0
	.section	.AMDGPU.csdata,"",@progbits
; Kernel info:
; codeLenInByte = 412
; TotalNumSgprs: 13
; NumVgprs: 8
; ScratchSize: 0
; MemoryBound: 0
; FloatMode: 240
; IeeeMode: 1
; LDSByteSize: 0 bytes/workgroup (compile time only)
; SGPRBlocks: 0
; VGPRBlocks: 0
; NumSGPRsForWavesPerEU: 13
; NumVGPRsForWavesPerEU: 8
; NamedBarCnt: 0
; Occupancy: 16
; WaveLimiterHint : 0
; COMPUTE_PGM_RSRC2:SCRATCH_EN: 0
; COMPUTE_PGM_RSRC2:USER_SGPR: 2
; COMPUTE_PGM_RSRC2:TRAP_HANDLER: 0
; COMPUTE_PGM_RSRC2:TGID_X_EN: 1
; COMPUTE_PGM_RSRC2:TGID_Y_EN: 0
; COMPUTE_PGM_RSRC2:TGID_Z_EN: 0
; COMPUTE_PGM_RSRC2:TIDIG_COMP_CNT: 0
	.section	.text._ZN9rocsolver6v33100L17bdsqr_lower2upperI19rocblas_complex_numIdEdPS3_S4_EEviiiPT0_lS6_lT1_iilT2_iilPiS6_lS9_,"axG",@progbits,_ZN9rocsolver6v33100L17bdsqr_lower2upperI19rocblas_complex_numIdEdPS3_S4_EEviiiPT0_lS6_lT1_iilT2_iilPiS6_lS9_,comdat
	.globl	_ZN9rocsolver6v33100L17bdsqr_lower2upperI19rocblas_complex_numIdEdPS3_S4_EEviiiPT0_lS6_lT1_iilT2_iilPiS6_lS9_ ; -- Begin function _ZN9rocsolver6v33100L17bdsqr_lower2upperI19rocblas_complex_numIdEdPS3_S4_EEviiiPT0_lS6_lT1_iilT2_iilPiS6_lS9_
	.p2align	8
	.type	_ZN9rocsolver6v33100L17bdsqr_lower2upperI19rocblas_complex_numIdEdPS3_S4_EEviiiPT0_lS6_lT1_iilT2_iilPiS6_lS9_,@function
_ZN9rocsolver6v33100L17bdsqr_lower2upperI19rocblas_complex_numIdEdPS3_S4_EEviiiPT0_lS6_lT1_iilT2_iilPiS6_lS9_: ; @_ZN9rocsolver6v33100L17bdsqr_lower2upperI19rocblas_complex_numIdEdPS3_S4_EEviiiPT0_lS6_lT1_iilT2_iilPiS6_lS9_
; %bb.0:
	s_load_b64 s[2:3], s[0:1], 0x78
	s_bfe_u32 s4, ttmp6, 0x40010
	s_bfe_u32 s5, ttmp6, 0x40004
	s_add_co_i32 s4, s4, 1
	s_getreg_b32 s6, hwreg(HW_REG_IB_STS2, 6, 4)
	s_mul_i32 s4, ttmp7, s4
	s_delay_alu instid0(SALU_CYCLE_1) | instskip(SKIP_2) | instid1(SALU_CYCLE_1)
	s_add_co_i32 s5, s5, s4
	s_cmp_eq_u32 s6, 0
	s_cselect_b32 s24, ttmp7, s5
	s_ashr_i32 s25, s24, 31
	s_delay_alu instid0(SALU_CYCLE_1)
	s_lshl_b64 s[4:5], s[24:25], 2
	s_wait_kmcnt 0x0
	s_add_nc_u64 s[2:3], s[2:3], s[4:5]
	s_load_b32 s2, s[2:3], 0x8
	s_wait_kmcnt 0x0
	s_cmp_lg_u32 s2, 0
	s_cbranch_scc1 .LBB136_34
; %bb.1:
	s_clause 0x1
	s_load_b256 s[4:11], s[0:1], 0x30
	s_load_b128 s[16:19], s[0:1], 0x68
	s_mov_b64 s[2:3], 0
	s_mov_b64 s[22:23], 0
	s_wait_kmcnt 0x0
	s_cmp_eq_u64 s[4:5], 0
	s_cbranch_scc1 .LBB136_3
; %bb.2:
	s_mul_u64 s[8:9], s[8:9], s[24:25]
	s_ashr_i32 s13, s6, 31
	s_lshl_b64 s[8:9], s[8:9], 4
	s_mov_b32 s12, s6
	s_add_nc_u64 s[4:5], s[4:5], s[8:9]
	s_lshl_b64 s[8:9], s[12:13], 4
	s_delay_alu instid0(SALU_CYCLE_1)
	s_add_nc_u64 s[22:23], s[4:5], s[8:9]
.LBB136_3:
	s_load_b64 s[20:21], s[0:1], 0x50
	s_cmp_eq_u64 s[10:11], 0
	s_cbranch_scc1 .LBB136_5
; %bb.4:
	s_load_b64 s[2:3], s[0:1], 0x58
	s_wait_kmcnt 0x0
	s_ashr_i32 s5, s20, 31
	s_mov_b32 s4, s20
	s_delay_alu instid0(SALU_CYCLE_1) | instskip(SKIP_1) | instid1(SALU_CYCLE_1)
	s_lshl_b64 s[4:5], s[4:5], 4
	s_mul_u64 s[2:3], s[2:3], s[24:25]
	s_lshl_b64 s[2:3], s[2:3], 4
	s_delay_alu instid0(SALU_CYCLE_1) | instskip(NEXT) | instid1(SALU_CYCLE_1)
	s_add_nc_u64 s[2:3], s[10:11], s[2:3]
	s_add_nc_u64 s[2:3], s[2:3], s[4:5]
.LBB136_5:
	s_load_b96 s[4:6], s[0:1], 0x0
	s_mul_u64 s[18:19], s[18:19], s[24:25]
	s_wait_kmcnt 0x0
	s_mov_b32 s20, exec_lo
	v_cmpx_eq_u32_e32 0, v0
	s_cbranch_execz .LBB136_22
; %bb.6:
	s_load_b256 s[8:15], s[0:1], 0x10
	s_add_co_i32 s26, s4, -1
	s_wait_kmcnt 0x0
	s_mul_u64 s[10:11], s[10:11], s[24:25]
	s_delay_alu instid0(SALU_CYCLE_1)
	s_lshl_b64 s[10:11], s[10:11], 3
	s_cmp_lt_i32 s4, 2
	s_add_nc_u64 s[8:9], s[8:9], s[10:11]
	s_load_b64 s[10:11], s[8:9], 0x0
	s_wait_kmcnt 0x0
	v_mov_b64_e32 v[2:3], s[10:11]
	s_cbranch_scc1 .LBB136_21
; %bb.7:
	s_mul_u64 s[14:15], s[14:15], s[24:25]
	v_mov_b64_e32 v[2:3], s[10:11]
	s_lshl_b64 s[14:15], s[14:15], 3
	s_or_b32 s28, s6, s5
	s_add_nc_u64 s[24:25], s[12:13], s[14:15]
	s_lshl_b64 s[14:15], s[18:19], 3
	s_load_b64 s[12:13], s[24:25], 0x0
	v_mov_b32_e32 v1, 0
	s_cmp_lg_u32 s28, 0
	s_add_nc_u64 s[10:11], s[16:17], s[14:15]
	s_mov_b32 s27, 0
	s_cselect_b32 s28, -1, 0
	s_add_nc_u64 s[14:15], s[8:9], 8
	s_wait_xcnt 0x0
	s_add_nc_u64 s[24:25], s[24:25], 8
	s_wait_kmcnt 0x0
	v_mov_b64_e32 v[4:5], s[12:13]
	s_add_nc_u64 s[12:13], s[10:11], 32
	s_branch .LBB136_9
.LBB136_8:                              ;   in Loop: Header=BB136_9 Depth=1
	s_wait_loadcnt 0x0
	v_mul_f64_e32 v[2:3], v[6:7], v[2:3]
	s_add_co_i32 s27, s27, 1
	s_wait_xcnt 0x1
	s_add_nc_u64 s[12:13], s[12:13], 8
	s_wait_xcnt 0x0
	s_add_nc_u64 s[14:15], s[14:15], 8
	s_cmp_lg_u32 s26, s27
	s_add_nc_u64 s[24:25], s[24:25], 8
	s_cbranch_scc0 .LBB136_21
.LBB136_9:                              ; =>This Inner Loop Header: Depth=1
	s_delay_alu instid0(VALU_DEP_1)
	v_cmp_eq_f64_e32 vcc_lo, 0, v[4:5]
	s_cbranch_vccnz .LBB136_13
; %bb.10:                               ;   in Loop: Header=BB136_9 Depth=1
	s_delay_alu instid0(VALU_DEP_2)
	v_cmp_neq_f64_e32 vcc_lo, 0, v[2:3]
	s_cbranch_vccz .LBB136_14
; %bb.11:                               ;   in Loop: Header=BB136_9 Depth=1
	v_cmp_ngt_f64_e64 s29, |v[4:5]|, |v[2:3]|
	s_and_b32 vcc_lo, exec_lo, s29
	s_cbranch_vccz .LBB136_15
; %bb.12:                               ;   in Loop: Header=BB136_9 Depth=1
	v_div_scale_f64 v[6:7], null, v[2:3], v[2:3], -v[4:5]
	v_div_scale_f64 v[12:13], vcc_lo, -v[4:5], v[2:3], -v[4:5]
	s_delay_alu instid0(VALU_DEP_2) | instskip(SKIP_1) | instid1(TRANS32_DEP_1)
	v_rcp_f64_e32 v[8:9], v[6:7]
	v_nop
	v_fma_f64 v[10:11], -v[6:7], v[8:9], 1.0
	s_delay_alu instid0(VALU_DEP_1) | instskip(NEXT) | instid1(VALU_DEP_1)
	v_fmac_f64_e32 v[8:9], v[8:9], v[10:11]
	v_fma_f64 v[10:11], -v[6:7], v[8:9], 1.0
	s_delay_alu instid0(VALU_DEP_1) | instskip(NEXT) | instid1(VALU_DEP_1)
	v_fmac_f64_e32 v[8:9], v[8:9], v[10:11]
	v_mul_f64_e32 v[10:11], v[12:13], v[8:9]
	s_delay_alu instid0(VALU_DEP_1) | instskip(NEXT) | instid1(VALU_DEP_1)
	v_fma_f64 v[6:7], -v[6:7], v[10:11], v[12:13]
	v_div_fmas_f64 v[6:7], v[6:7], v[8:9], v[10:11]
	s_delay_alu instid0(VALU_DEP_1) | instskip(NEXT) | instid1(VALU_DEP_1)
	v_div_fixup_f64 v[8:9], v[6:7], v[2:3], -v[4:5]
	v_fma_f64 v[6:7], v[8:9], v[8:9], 1.0
	s_delay_alu instid0(VALU_DEP_1) | instskip(SKIP_2) | instid1(SALU_CYCLE_1)
	v_cmp_gt_f64_e32 vcc_lo, 0x10000000, v[6:7]
	s_and_b32 s29, vcc_lo, exec_lo
	s_cselect_b32 s29, 0x100, 0
	v_ldexp_f64 v[6:7], v[6:7], s29
	s_cselect_b32 s29, 0xffffff80, 0
	s_delay_alu instid0(VALU_DEP_1) | instskip(SKIP_1) | instid1(TRANS32_DEP_1)
	v_rsq_f64_e32 v[10:11], v[6:7]
	v_cmp_class_f64_e64 vcc_lo, v[6:7], 0x260
	v_mul_f64_e32 v[12:13], v[6:7], v[10:11]
	v_mul_f64_e32 v[10:11], 0.5, v[10:11]
	s_delay_alu instid0(VALU_DEP_1) | instskip(NEXT) | instid1(VALU_DEP_1)
	v_fma_f64 v[14:15], -v[10:11], v[12:13], 0.5
	v_fmac_f64_e32 v[12:13], v[12:13], v[14:15]
	v_fmac_f64_e32 v[10:11], v[10:11], v[14:15]
	s_delay_alu instid0(VALU_DEP_2) | instskip(NEXT) | instid1(VALU_DEP_1)
	v_fma_f64 v[14:15], -v[12:13], v[12:13], v[6:7]
	v_fmac_f64_e32 v[12:13], v[14:15], v[10:11]
	s_delay_alu instid0(VALU_DEP_1) | instskip(NEXT) | instid1(VALU_DEP_1)
	v_fma_f64 v[14:15], -v[12:13], v[12:13], v[6:7]
	v_fmac_f64_e32 v[12:13], v[14:15], v[10:11]
	s_delay_alu instid0(VALU_DEP_1) | instskip(NEXT) | instid1(VALU_DEP_1)
	v_ldexp_f64 v[10:11], v[12:13], s29
	v_dual_cndmask_b32 v7, v11, v7 :: v_dual_cndmask_b32 v6, v10, v6
	s_delay_alu instid0(VALU_DEP_1) | instskip(NEXT) | instid1(VALU_DEP_1)
	v_div_scale_f64 v[10:11], null, v[6:7], v[6:7], 1.0
	v_rcp_f64_e32 v[12:13], v[10:11]
	v_nop
	s_delay_alu instid0(TRANS32_DEP_1) | instskip(NEXT) | instid1(VALU_DEP_1)
	v_fma_f64 v[14:15], -v[10:11], v[12:13], 1.0
	v_fmac_f64_e32 v[12:13], v[12:13], v[14:15]
	s_delay_alu instid0(VALU_DEP_1) | instskip(NEXT) | instid1(VALU_DEP_1)
	v_fma_f64 v[14:15], -v[10:11], v[12:13], 1.0
	v_fmac_f64_e32 v[12:13], v[12:13], v[14:15]
	v_div_scale_f64 v[14:15], vcc_lo, 1.0, v[6:7], 1.0
	s_delay_alu instid0(VALU_DEP_1) | instskip(NEXT) | instid1(VALU_DEP_1)
	v_mul_f64_e32 v[16:17], v[14:15], v[12:13]
	v_fma_f64 v[10:11], -v[10:11], v[16:17], v[14:15]
	s_delay_alu instid0(VALU_DEP_1) | instskip(NEXT) | instid1(VALU_DEP_1)
	v_div_fmas_f64 v[10:11], v[10:11], v[12:13], v[16:17]
	v_div_fixup_f64 v[6:7], v[10:11], v[6:7], 1.0
	s_delay_alu instid0(VALU_DEP_1)
	v_mul_f64_e32 v[8:9], v[8:9], v[6:7]
	s_cbranch_execz .LBB136_16
	s_branch .LBB136_17
.LBB136_13:                             ;   in Loop: Header=BB136_9 Depth=1
	v_mov_b64_e32 v[8:9], 0
	v_mov_b64_e32 v[6:7], 1.0
	s_branch .LBB136_19
.LBB136_14:                             ;   in Loop: Header=BB136_9 Depth=1
	v_xor_b32_e32 v5, 0x80000000, v5
                                        ; implicit-def: $vgpr6_vgpr7
                                        ; implicit-def: $vgpr8_vgpr9
	s_delay_alu instid0(VALU_DEP_1)
	v_mov_b64_e32 v[2:3], v[4:5]
	s_cbranch_execnz .LBB136_18
	s_branch .LBB136_19
.LBB136_15:                             ;   in Loop: Header=BB136_9 Depth=1
                                        ; implicit-def: $vgpr6_vgpr7
                                        ; implicit-def: $vgpr8_vgpr9
.LBB136_16:                             ;   in Loop: Header=BB136_9 Depth=1
	v_div_scale_f64 v[6:7], null, v[4:5], v[4:5], -v[2:3]
	v_div_scale_f64 v[12:13], vcc_lo, -v[2:3], v[4:5], -v[2:3]
	s_delay_alu instid0(VALU_DEP_2) | instskip(SKIP_1) | instid1(TRANS32_DEP_1)
	v_rcp_f64_e32 v[8:9], v[6:7]
	v_nop
	v_fma_f64 v[10:11], -v[6:7], v[8:9], 1.0
	s_delay_alu instid0(VALU_DEP_1) | instskip(NEXT) | instid1(VALU_DEP_1)
	v_fmac_f64_e32 v[8:9], v[8:9], v[10:11]
	v_fma_f64 v[10:11], -v[6:7], v[8:9], 1.0
	s_delay_alu instid0(VALU_DEP_1) | instskip(NEXT) | instid1(VALU_DEP_1)
	v_fmac_f64_e32 v[8:9], v[8:9], v[10:11]
	v_mul_f64_e32 v[10:11], v[12:13], v[8:9]
	s_delay_alu instid0(VALU_DEP_1) | instskip(NEXT) | instid1(VALU_DEP_1)
	v_fma_f64 v[6:7], -v[6:7], v[10:11], v[12:13]
	v_div_fmas_f64 v[6:7], v[6:7], v[8:9], v[10:11]
	s_delay_alu instid0(VALU_DEP_1) | instskip(NEXT) | instid1(VALU_DEP_1)
	v_div_fixup_f64 v[6:7], v[6:7], v[4:5], -v[2:3]
	v_fma_f64 v[8:9], v[6:7], v[6:7], 1.0
	s_delay_alu instid0(VALU_DEP_1) | instskip(SKIP_2) | instid1(SALU_CYCLE_1)
	v_cmp_gt_f64_e32 vcc_lo, 0x10000000, v[8:9]
	s_and_b32 s29, vcc_lo, exec_lo
	s_cselect_b32 s29, 0x100, 0
	v_ldexp_f64 v[8:9], v[8:9], s29
	s_cselect_b32 s29, 0xffffff80, 0
	s_delay_alu instid0(VALU_DEP_1) | instskip(SKIP_1) | instid1(TRANS32_DEP_1)
	v_rsq_f64_e32 v[10:11], v[8:9]
	v_cmp_class_f64_e64 vcc_lo, v[8:9], 0x260
	v_mul_f64_e32 v[12:13], v[8:9], v[10:11]
	v_mul_f64_e32 v[10:11], 0.5, v[10:11]
	s_delay_alu instid0(VALU_DEP_1) | instskip(NEXT) | instid1(VALU_DEP_1)
	v_fma_f64 v[14:15], -v[10:11], v[12:13], 0.5
	v_fmac_f64_e32 v[12:13], v[12:13], v[14:15]
	v_fmac_f64_e32 v[10:11], v[10:11], v[14:15]
	s_delay_alu instid0(VALU_DEP_2) | instskip(NEXT) | instid1(VALU_DEP_1)
	v_fma_f64 v[14:15], -v[12:13], v[12:13], v[8:9]
	v_fmac_f64_e32 v[12:13], v[14:15], v[10:11]
	s_delay_alu instid0(VALU_DEP_1) | instskip(NEXT) | instid1(VALU_DEP_1)
	v_fma_f64 v[14:15], -v[12:13], v[12:13], v[8:9]
	v_fmac_f64_e32 v[12:13], v[14:15], v[10:11]
	s_delay_alu instid0(VALU_DEP_1) | instskip(NEXT) | instid1(VALU_DEP_1)
	v_ldexp_f64 v[10:11], v[12:13], s29
	v_dual_cndmask_b32 v9, v11, v9 :: v_dual_cndmask_b32 v8, v10, v8
	s_delay_alu instid0(VALU_DEP_1) | instskip(NEXT) | instid1(VALU_DEP_1)
	v_div_scale_f64 v[10:11], null, v[8:9], v[8:9], 1.0
	v_rcp_f64_e32 v[12:13], v[10:11]
	v_nop
	s_delay_alu instid0(TRANS32_DEP_1) | instskip(NEXT) | instid1(VALU_DEP_1)
	v_fma_f64 v[14:15], -v[10:11], v[12:13], 1.0
	v_fmac_f64_e32 v[12:13], v[12:13], v[14:15]
	s_delay_alu instid0(VALU_DEP_1) | instskip(NEXT) | instid1(VALU_DEP_1)
	v_fma_f64 v[14:15], -v[10:11], v[12:13], 1.0
	v_fmac_f64_e32 v[12:13], v[12:13], v[14:15]
	v_div_scale_f64 v[14:15], vcc_lo, 1.0, v[8:9], 1.0
	s_delay_alu instid0(VALU_DEP_1) | instskip(NEXT) | instid1(VALU_DEP_1)
	v_mul_f64_e32 v[16:17], v[14:15], v[12:13]
	v_fma_f64 v[10:11], -v[10:11], v[16:17], v[14:15]
	s_delay_alu instid0(VALU_DEP_1) | instskip(NEXT) | instid1(VALU_DEP_1)
	v_div_fmas_f64 v[10:11], v[10:11], v[12:13], v[16:17]
	v_div_fixup_f64 v[8:9], v[10:11], v[8:9], 1.0
	s_delay_alu instid0(VALU_DEP_1)
	v_mul_f64_e32 v[6:7], v[6:7], v[8:9]
.LBB136_17:                             ;   in Loop: Header=BB136_9 Depth=1
	s_delay_alu instid0(VALU_DEP_1) | instskip(NEXT) | instid1(VALU_DEP_1)
	v_mul_f64_e32 v[4:5], v[4:5], v[8:9]
	v_fma_f64 v[2:3], v[2:3], v[6:7], -v[4:5]
	s_branch .LBB136_19
.LBB136_18:                             ;   in Loop: Header=BB136_9 Depth=1
	v_mov_b64_e32 v[6:7], 0
	v_mov_b64_e32 v[8:9], 1.0
.LBB136_19:                             ;   in Loop: Header=BB136_9 Depth=1
	s_clause 0x2
	global_load_b64 v[10:11], v1, s[14:15]
	global_store_b64 v1, v[2:3], s[14:15] offset:-8
	global_load_b64 v[4:5], v1, s[24:25]
	s_and_not1_b32 vcc_lo, exec_lo, s28
	s_wait_loadcnt 0x1
	s_wait_xcnt 0x1
	v_mul_f64_e64 v[2:3], v[10:11], -v[8:9]
	s_clause 0x1
	global_store_b64 v1, v[2:3], s[24:25] offset:-8
	global_load_b64 v[2:3], v1, s[14:15]
	s_cbranch_vccnz .LBB136_8
; %bb.20:                               ;   in Loop: Header=BB136_9 Depth=1
	s_add_co_i32 s29, s4, s27
	s_delay_alu instid0(SALU_CYCLE_1)
	v_mov_b32_e32 v10, s29
	global_store_b64 v1, v[6:7], s[12:13]
	global_store_b64 v10, v[8:9], s[10:11] offset:32 scale_offset
	s_branch .LBB136_8
.LBB136_21:
	v_mov_b32_e32 v1, s26
	global_store_b64 v1, v[2:3], s[8:9] scale_offset
.LBB136_22:
	s_wait_xcnt 0x0
	s_or_b32 exec_lo, exec_lo, s20
	s_delay_alu instid0(SALU_CYCLE_1)
	s_mov_b32 s20, exec_lo
	s_wait_storecnt 0x0
	s_barrier_signal -1
	s_barrier_wait -1
	v_cmpx_gt_i32_e64 s5, v0
	s_cbranch_execz .LBB136_28
; %bb.23:
	s_load_b32 s26, s[0:1], 0x8c
	s_add_co_i32 s30, s4, -1
	s_cmp_gt_i32 s4, 1
	v_dual_mov_b32 v1, 0 :: v_dual_mov_b32 v6, v0
	s_cselect_b32 s31, -1, 0
	s_lshl_b64 s[24:25], s[18:19], 3
	s_mov_b32 s14, s7
	s_mov_b32 s11, 0
	;; [unrolled: 1-line block ×3, first 2 shown]
	s_mul_i32 s12, s7, s30
	s_ashr_i32 s15, s7, 31
	s_add_nc_u64 s[24:25], s[16:17], s[24:25]
	s_add_nc_u64 s[8:9], s[22:23], 8
	s_ashr_i32 s13, s12, 31
	s_lshl_b64 s[14:15], s[14:15], 4
	s_add_nc_u64 s[24:25], s[24:25], 32
	s_wait_kmcnt 0x0
	s_and_b32 s7, s26, 0xffff
	s_lshl_b64 s[26:27], s[10:11], 3
	s_branch .LBB136_25
.LBB136_24:                             ;   in Loop: Header=BB136_25 Depth=1
	s_delay_alu instid0(VALU_DEP_1) | instskip(SKIP_2) | instid1(VALU_DEP_2)
	v_lshl_add_u64 v[8:9], v[6:7], 4, s[22:23]
	s_wait_xcnt 0x0
	v_add_nc_u32_e32 v6, s7, v6
	v_lshl_add_u64 v[8:9], s[12:13], 4, v[8:9]
	s_delay_alu instid0(VALU_DEP_2)
	v_cmp_le_i32_e32 vcc_lo, s5, v6
	s_wait_loadcnt 0x0
	global_store_b128 v[8:9], v[2:5], off
	s_or_b32 s11, vcc_lo, s11
	s_wait_xcnt 0x0
	s_and_not1_b32 exec_lo, exec_lo, s11
	s_cbranch_execz .LBB136_28
.LBB136_25:                             ; =>This Loop Header: Depth=1
                                        ;     Child Loop BB136_27 Depth 2
	global_load_b128 v[2:5], v6, s[22:23] scale_offset
	v_ashrrev_i32_e32 v7, 31, v6
	s_and_not1_b32 vcc_lo, exec_lo, s31
	s_cbranch_vccnz .LBB136_24
; %bb.26:                               ;   in Loop: Header=BB136_25 Depth=1
	s_delay_alu instid0(VALU_DEP_1)
	v_lshl_add_u64 v[8:9], v[6:7], 4, s[8:9]
	s_mov_b32 s10, s30
	s_mov_b64 s[28:29], s[24:25]
.LBB136_27:                             ;   Parent Loop BB136_25 Depth=1
                                        ; =>  This Inner Loop Header: Depth=2
	s_delay_alu instid0(VALU_DEP_1)
	v_add_nc_u64_e32 v[18:19], s[14:15], v[8:9]
	s_add_nc_u64 s[34:35], s[28:29], s[26:27]
	s_add_co_i32 s10, s10, -1
	s_clause 0x1
	global_load_b64 v[20:21], v1, s[28:29]
	global_load_b64 v[22:23], v1, s[34:35]
	global_load_b128 v[10:13], v[18:19], off offset:-8
	s_cmp_lg_u32 s10, 0
	s_wait_xcnt 0x2
	s_add_nc_u64 s[28:29], s[28:29], 8
	s_wait_loadcnt 0x0
	v_mul_f64_e32 v[14:15], v[10:11], v[22:23]
	v_mul_f64_e32 v[16:17], v[12:13], v[22:23]
	s_delay_alu instid0(VALU_DEP_2) | instskip(NEXT) | instid1(VALU_DEP_2)
	v_fma_f64 v[14:15], v[2:3], v[20:21], -v[14:15]
	v_fma_f64 v[16:17], v[4:5], v[20:21], -v[16:17]
	v_mul_f64_e32 v[2:3], v[2:3], v[22:23]
	v_mul_f64_e32 v[4:5], v[4:5], v[22:23]
	global_store_b128 v[8:9], v[14:17], off offset:-8
	v_fmac_f64_e32 v[2:3], v[10:11], v[20:21]
	v_fmac_f64_e32 v[4:5], v[12:13], v[20:21]
	s_wait_xcnt 0x0
	v_mov_b64_e32 v[8:9], v[18:19]
	s_cbranch_scc1 .LBB136_27
	s_branch .LBB136_24
.LBB136_28:
	s_or_b32 exec_lo, exec_lo, s20
	s_delay_alu instid0(SALU_CYCLE_1)
	s_mov_b32 s5, exec_lo
	v_cmpx_gt_i32_e64 s6, v0
	s_cbranch_execz .LBB136_34
; %bb.29:
	s_load_b32 s10, s[0:1], 0x8c
	v_mul_lo_u32 v6, v0, s21
	s_wait_xcnt 0x0
	s_add_co_i32 s0, s4, -1
	s_cmp_gt_i32 s4, 1
	v_mov_b32_e32 v1, 0
	s_cselect_b32 s7, -1, 0
	s_lshl_b64 s[8:9], s[18:19], 3
	s_mov_b32 s5, 0
	s_add_nc_u64 s[8:9], s[16:17], s[8:9]
	s_ashr_i32 s1, s0, 31
	s_add_nc_u64 s[8:9], s[8:9], 32
	s_wait_kmcnt 0x0
	s_and_b32 s14, s10, 0xffff
	s_lshl_b64 s[10:11], s[4:5], 3
	s_mul_i32 s15, s21, s14
	s_branch .LBB136_31
.LBB136_30:                             ;   in Loop: Header=BB136_31 Depth=1
	v_dual_ashrrev_i32 v9, 31, v8 :: v_dual_add_nc_u32 v6, s15, v6
	v_add_nc_u32_e32 v0, s14, v0
	s_wait_xcnt 0x0
	s_delay_alu instid0(VALU_DEP_2) | instskip(NEXT) | instid1(VALU_DEP_2)
	v_lshl_add_u64 v[8:9], v[8:9], 4, s[2:3]
	v_cmp_le_i32_e32 vcc_lo, s6, v0
	s_delay_alu instid0(VALU_DEP_2)
	v_lshl_add_u64 v[8:9], s[0:1], 4, v[8:9]
	s_or_b32 s5, vcc_lo, s5
	s_wait_loadcnt 0x0
	global_store_b128 v[8:9], v[2:5], off
	s_wait_xcnt 0x0
	s_and_not1_b32 exec_lo, exec_lo, s5
	s_cbranch_execz .LBB136_34
.LBB136_31:                             ; =>This Loop Header: Depth=1
                                        ;     Child Loop BB136_33 Depth 2
	v_mul_lo_u32 v8, v0, s21
	s_and_not1_b32 vcc_lo, exec_lo, s7
	global_load_b128 v[2:5], v8, s[2:3] scale_offset
	s_cbranch_vccnz .LBB136_30
; %bb.32:                               ;   in Loop: Header=BB136_31 Depth=1
	v_ashrrev_i32_e32 v7, 31, v6
	s_mov_b32 s4, s0
	s_mov_b64 s[12:13], s[8:9]
	s_delay_alu instid0(VALU_DEP_1)
	v_lshl_add_u64 v[10:11], v[6:7], 4, s[2:3]
.LBB136_33:                             ;   Parent Loop BB136_31 Depth=1
                                        ; =>  This Inner Loop Header: Depth=2
	s_add_nc_u64 s[16:17], s[12:13], s[10:11]
	global_load_b128 v[12:15], v[10:11], off offset:16
	s_clause 0x1
	global_load_b64 v[20:21], v1, s[12:13]
	global_load_b64 v[22:23], v1, s[16:17]
	s_add_co_i32 s4, s4, -1
	s_wait_xcnt 0x1
	s_add_nc_u64 s[12:13], s[12:13], 8
	s_cmp_lg_u32 s4, 0
	s_wait_loadcnt 0x0
	v_mul_f64_e32 v[16:17], v[12:13], v[22:23]
	v_mul_f64_e32 v[18:19], v[14:15], v[22:23]
	s_delay_alu instid0(VALU_DEP_2) | instskip(NEXT) | instid1(VALU_DEP_2)
	v_fma_f64 v[16:17], v[2:3], v[20:21], -v[16:17]
	v_fma_f64 v[18:19], v[4:5], v[20:21], -v[18:19]
	v_mul_f64_e32 v[2:3], v[2:3], v[22:23]
	v_mul_f64_e32 v[4:5], v[4:5], v[22:23]
	global_store_b128 v[10:11], v[16:19], off
	v_fmac_f64_e32 v[2:3], v[12:13], v[20:21]
	v_fmac_f64_e32 v[4:5], v[14:15], v[20:21]
	v_add_nc_u64_e32 v[12:13], 16, v[10:11]
	s_wait_xcnt 0x0
	s_delay_alu instid0(VALU_DEP_1)
	v_mov_b64_e32 v[10:11], v[12:13]
	s_cbranch_scc1 .LBB136_33
	s_branch .LBB136_30
.LBB136_34:
	s_endpgm
	.section	.rodata,"a",@progbits
	.p2align	6, 0x0
	.amdhsa_kernel _ZN9rocsolver6v33100L17bdsqr_lower2upperI19rocblas_complex_numIdEdPS3_S4_EEviiiPT0_lS6_lT1_iilT2_iilPiS6_lS9_
		.amdhsa_group_segment_fixed_size 0
		.amdhsa_private_segment_fixed_size 0
		.amdhsa_kernarg_size 384
		.amdhsa_user_sgpr_count 2
		.amdhsa_user_sgpr_dispatch_ptr 0
		.amdhsa_user_sgpr_queue_ptr 0
		.amdhsa_user_sgpr_kernarg_segment_ptr 1
		.amdhsa_user_sgpr_dispatch_id 0
		.amdhsa_user_sgpr_kernarg_preload_length 0
		.amdhsa_user_sgpr_kernarg_preload_offset 0
		.amdhsa_user_sgpr_private_segment_size 0
		.amdhsa_wavefront_size32 1
		.amdhsa_uses_dynamic_stack 0
		.amdhsa_enable_private_segment 0
		.amdhsa_system_sgpr_workgroup_id_x 1
		.amdhsa_system_sgpr_workgroup_id_y 1
		.amdhsa_system_sgpr_workgroup_id_z 0
		.amdhsa_system_sgpr_workgroup_info 0
		.amdhsa_system_vgpr_workitem_id 0
		.amdhsa_next_free_vgpr 24
		.amdhsa_next_free_sgpr 36
		.amdhsa_named_barrier_count 0
		.amdhsa_reserve_vcc 1
		.amdhsa_float_round_mode_32 0
		.amdhsa_float_round_mode_16_64 0
		.amdhsa_float_denorm_mode_32 3
		.amdhsa_float_denorm_mode_16_64 3
		.amdhsa_fp16_overflow 0
		.amdhsa_memory_ordered 1
		.amdhsa_forward_progress 1
		.amdhsa_inst_pref_size 17
		.amdhsa_round_robin_scheduling 0
		.amdhsa_exception_fp_ieee_invalid_op 0
		.amdhsa_exception_fp_denorm_src 0
		.amdhsa_exception_fp_ieee_div_zero 0
		.amdhsa_exception_fp_ieee_overflow 0
		.amdhsa_exception_fp_ieee_underflow 0
		.amdhsa_exception_fp_ieee_inexact 0
		.amdhsa_exception_int_div_zero 0
	.end_amdhsa_kernel
	.section	.text._ZN9rocsolver6v33100L17bdsqr_lower2upperI19rocblas_complex_numIdEdPS3_S4_EEviiiPT0_lS6_lT1_iilT2_iilPiS6_lS9_,"axG",@progbits,_ZN9rocsolver6v33100L17bdsqr_lower2upperI19rocblas_complex_numIdEdPS3_S4_EEviiiPT0_lS6_lT1_iilT2_iilPiS6_lS9_,comdat
.Lfunc_end136:
	.size	_ZN9rocsolver6v33100L17bdsqr_lower2upperI19rocblas_complex_numIdEdPS3_S4_EEviiiPT0_lS6_lT1_iilT2_iilPiS6_lS9_, .Lfunc_end136-_ZN9rocsolver6v33100L17bdsqr_lower2upperI19rocblas_complex_numIdEdPS3_S4_EEviiiPT0_lS6_lT1_iilT2_iilPiS6_lS9_
                                        ; -- End function
	.set _ZN9rocsolver6v33100L17bdsqr_lower2upperI19rocblas_complex_numIdEdPS3_S4_EEviiiPT0_lS6_lT1_iilT2_iilPiS6_lS9_.num_vgpr, 24
	.set _ZN9rocsolver6v33100L17bdsqr_lower2upperI19rocblas_complex_numIdEdPS3_S4_EEviiiPT0_lS6_lT1_iilT2_iilPiS6_lS9_.num_agpr, 0
	.set _ZN9rocsolver6v33100L17bdsqr_lower2upperI19rocblas_complex_numIdEdPS3_S4_EEviiiPT0_lS6_lT1_iilT2_iilPiS6_lS9_.numbered_sgpr, 36
	.set _ZN9rocsolver6v33100L17bdsqr_lower2upperI19rocblas_complex_numIdEdPS3_S4_EEviiiPT0_lS6_lT1_iilT2_iilPiS6_lS9_.num_named_barrier, 0
	.set _ZN9rocsolver6v33100L17bdsqr_lower2upperI19rocblas_complex_numIdEdPS3_S4_EEviiiPT0_lS6_lT1_iilT2_iilPiS6_lS9_.private_seg_size, 0
	.set _ZN9rocsolver6v33100L17bdsqr_lower2upperI19rocblas_complex_numIdEdPS3_S4_EEviiiPT0_lS6_lT1_iilT2_iilPiS6_lS9_.uses_vcc, 1
	.set _ZN9rocsolver6v33100L17bdsqr_lower2upperI19rocblas_complex_numIdEdPS3_S4_EEviiiPT0_lS6_lT1_iilT2_iilPiS6_lS9_.uses_flat_scratch, 0
	.set _ZN9rocsolver6v33100L17bdsqr_lower2upperI19rocblas_complex_numIdEdPS3_S4_EEviiiPT0_lS6_lT1_iilT2_iilPiS6_lS9_.has_dyn_sized_stack, 0
	.set _ZN9rocsolver6v33100L17bdsqr_lower2upperI19rocblas_complex_numIdEdPS3_S4_EEviiiPT0_lS6_lT1_iilT2_iilPiS6_lS9_.has_recursion, 0
	.set _ZN9rocsolver6v33100L17bdsqr_lower2upperI19rocblas_complex_numIdEdPS3_S4_EEviiiPT0_lS6_lT1_iilT2_iilPiS6_lS9_.has_indirect_call, 0
	.section	.AMDGPU.csdata,"",@progbits
; Kernel info:
; codeLenInByte = 2160
; TotalNumSgprs: 38
; NumVgprs: 24
; ScratchSize: 0
; MemoryBound: 0
; FloatMode: 240
; IeeeMode: 1
; LDSByteSize: 0 bytes/workgroup (compile time only)
; SGPRBlocks: 0
; VGPRBlocks: 1
; NumSGPRsForWavesPerEU: 38
; NumVGPRsForWavesPerEU: 24
; NamedBarCnt: 0
; Occupancy: 16
; WaveLimiterHint : 0
; COMPUTE_PGM_RSRC2:SCRATCH_EN: 0
; COMPUTE_PGM_RSRC2:USER_SGPR: 2
; COMPUTE_PGM_RSRC2:TRAP_HANDLER: 0
; COMPUTE_PGM_RSRC2:TGID_X_EN: 1
; COMPUTE_PGM_RSRC2:TGID_Y_EN: 1
; COMPUTE_PGM_RSRC2:TGID_Z_EN: 0
; COMPUTE_PGM_RSRC2:TIDIG_COMP_CNT: 0
	.section	.text._ZN9rocsolver6v33100L13bdsqr_computeILi256E19rocblas_complex_numIdEdPS3_S4_S4_EEviiiiPT1_lS6_lT2_iilT3_iilT4_iiliS5_S5_S5_S5_PiS6_ilSA_,"axG",@progbits,_ZN9rocsolver6v33100L13bdsqr_computeILi256E19rocblas_complex_numIdEdPS3_S4_S4_EEviiiiPT1_lS6_lT2_iilT3_iilT4_iiliS5_S5_S5_S5_PiS6_ilSA_,comdat
	.globl	_ZN9rocsolver6v33100L13bdsqr_computeILi256E19rocblas_complex_numIdEdPS3_S4_S4_EEviiiiPT1_lS6_lT2_iilT3_iilT4_iiliS5_S5_S5_S5_PiS6_ilSA_ ; -- Begin function _ZN9rocsolver6v33100L13bdsqr_computeILi256E19rocblas_complex_numIdEdPS3_S4_S4_EEviiiiPT1_lS6_lT2_iilT3_iilT4_iiliS5_S5_S5_S5_PiS6_ilSA_
	.p2align	8
	.type	_ZN9rocsolver6v33100L13bdsqr_computeILi256E19rocblas_complex_numIdEdPS3_S4_S4_EEviiiiPT1_lS6_lT2_iilT3_iilT4_iiliS5_S5_S5_S5_PiS6_ilSA_,@function
_ZN9rocsolver6v33100L13bdsqr_computeILi256E19rocblas_complex_numIdEdPS3_S4_S4_EEviiiiPT1_lS6_lT2_iilT3_iilT4_iiliS5_S5_S5_S5_PiS6_ilSA_: ; @_ZN9rocsolver6v33100L13bdsqr_computeILi256E19rocblas_complex_numIdEdPS3_S4_S4_EEviiiiPT1_lS6_lT2_iilT3_iilT4_iiliS5_S5_S5_S5_PiS6_ilSA_
; %bb.0:
	s_load_b128 s[4:7], s[0:1], 0xb8
	s_bfe_u32 s2, ttmp6, 0x40014
	s_lshr_b32 s3, ttmp7, 16
	s_add_co_i32 s2, s2, 1
	s_bfe_u32 s9, ttmp6, 0x40008
	s_mul_i32 s8, s3, s2
	s_getreg_b32 s2, hwreg(HW_REG_IB_STS2, 6, 4)
	s_add_co_i32 s9, s9, s8
	s_cmp_eq_u32 s2, 0
	s_mov_b32 s45, 0
	s_cselect_b32 s44, s3, s9
	s_wait_kmcnt 0x0
	s_load_b32 s3, s[6:7], s44 offset:0x8 scale_offset
	s_wait_kmcnt 0x0
	s_cmp_lg_u32 s3, 0
	s_cbranch_scc1 .LBB137_171
; %bb.1:
	s_load_b256 s[8:15], s[0:1], 0x30
	s_mov_b64 s[34:35], 0
	s_mov_b64 s[36:37], 0
	s_wait_kmcnt 0x0
	s_cmp_eq_u64 s[8:9], 0
	s_cbranch_scc1 .LBB137_3
; %bb.2:
	s_mul_u64 s[6:7], s[12:13], s[44:45]
	s_ashr_i32 s13, s10, 31
	s_lshl_b64 s[6:7], s[6:7], 4
	s_mov_b32 s12, s10
	s_add_nc_u64 s[6:7], s[8:9], s[6:7]
	s_lshl_b64 s[8:9], s[12:13], 4
	s_delay_alu instid0(SALU_CYCLE_1)
	s_add_nc_u64 s[36:37], s[6:7], s[8:9]
.LBB137_3:
	s_clause 0x1
	s_load_b64 s[8:9], s[0:1], 0x50
	s_load_b128 s[16:19], s[0:1], 0x58
	s_cmp_eq_u64 s[14:15], 0
	s_cbranch_scc1 .LBB137_5
; %bb.4:
	s_wait_kmcnt 0x0
	s_mul_u64 s[6:7], s[16:17], s[44:45]
	s_ashr_i32 s13, s8, 31
	s_lshl_b64 s[6:7], s[6:7], 4
	s_mov_b32 s12, s8
	s_add_nc_u64 s[6:7], s[14:15], s[6:7]
	s_lshl_b64 s[12:13], s[12:13], 4
	s_delay_alu instid0(SALU_CYCLE_1)
	s_add_nc_u64 s[34:35], s[6:7], s[12:13]
.LBB137_5:
	s_load_b64 s[38:39], s[0:1], 0x68
	s_wait_kmcnt 0x0
	s_cmp_eq_u64 s[18:19], 0
	s_mov_b64 s[40:41], 0
	s_cbranch_scc1 .LBB137_7
; %bb.6:
	s_load_b64 s[6:7], s[0:1], 0x70
	s_ashr_i32 s13, s38, 31
	s_mov_b32 s12, s38
	s_delay_alu instid0(SALU_CYCLE_1) | instskip(SKIP_2) | instid1(SALU_CYCLE_1)
	s_lshl_b64 s[12:13], s[12:13], 4
	s_wait_kmcnt 0x0
	s_mul_u64 s[6:7], s[6:7], s[44:45]
	s_lshl_b64 s[6:7], s[6:7], 4
	s_delay_alu instid0(SALU_CYCLE_1) | instskip(NEXT) | instid1(SALU_CYCLE_1)
	s_add_nc_u64 s[6:7], s[18:19], s[6:7]
	s_add_nc_u64 s[40:41], s[6:7], s[12:13]
.LBB137_7:
	s_load_b256 s[12:19], s[0:1], 0x90
	s_bfe_u32 s3, ttmp6, 0x40010
	s_and_b32 s6, ttmp7, 0xffff
	s_add_co_i32 s3, s3, 1
	s_bfe_u32 s7, ttmp6, 0x40004
	s_mul_i32 s3, s6, s3
	s_delay_alu instid0(SALU_CYCLE_1)
	s_add_co_i32 s7, s7, s3
	s_cmp_eq_u32 s2, 0
	s_mul_u64 s[2:3], s[4:5], s[44:45]
	s_cselect_b32 s8, s6, s7
	s_lshl_b64 s[2:3], s[2:3], 3
	s_wait_kmcnt 0x0
	s_add_nc_u64 s[18:19], s[18:19], s[2:3]
	s_load_b64 s[2:3], s[18:19], 0x10
	s_wait_kmcnt 0x0
	v_cvt_i32_f64_e32 v1, s[2:3]
	s_delay_alu instid0(VALU_DEP_1)
	v_cmp_ge_i32_e32 vcc_lo, s8, v1
	s_cbranch_vccnz .LBB137_171
; %bb.8:
	s_clause 0x3
	s_load_b128 s[28:31], s[0:1], 0x0
	s_load_b256 s[20:27], s[0:1], 0x10
	s_load_b32 s10, s[0:1], 0x78
	s_load_b64 s[6:7], s[0:1], 0x80
                                        ; implicit-def: $vgpr40 : SGPR spill to VGPR lane
	s_add_nc_u64 s[42:43], s[0:1], 0xc8
	s_clause 0x1
	s_load_b32 s33, s[0:1], 0xb0
	s_load_b32 s38, s[0:1], 0xcc
	v_dual_mov_b32 v7, 0 :: v_dual_lshlrev_b32 v6, 3, v0
	v_mul_lo_u32 v24, v0, s11
	v_mul_lo_u32 v25, v0, s39
	v_mov_b64_e32 v[8:9], 0
	v_cmp_gt_u32_e64 s2, 0x80, v0
	v_cmp_gt_u32_e64 s3, 64, v0
	;; [unrolled: 1-line block ×3, first 2 shown]
	v_cmp_eq_u32_e64 s5, 0, v0
	v_mov_b32_e32 v26, 1
	s_add_nc_u64 s[46:47], s[18:19], 24
	s_add_nc_u64 s[54:55], s[40:41], 8
	s_wait_kmcnt 0x0
	s_mul_u64 s[0:1], s[22:23], s[44:45]
	v_writelane_b32 v40, s6, 0
	s_mul_u64 s[22:23], s[26:27], s[44:45]
	s_lshl_b64 s[26:27], s[0:1], 3
	v_cmp_gt_i32_e64 s1, s30, v0
	s_add_nc_u64 s[20:21], s[20:21], s[26:27]
	v_writelane_b32 v40, s7, 1
	s_mul_i32 s6, s44, s28
	s_lshl_b64 s[44:45], s[22:23], 3
	s_lshl_b32 s6, s6, 1
	s_add_nc_u64 s[26:27], s[24:25], s[44:45]
	s_ashr_i32 s7, s6, 31
	s_add_nc_u64 s[24:25], s[24:25], -8
	s_lshl_b64 s[48:49], s[6:7], 2
	s_cmp_lg_u32 s29, 0
	v_add_nc_u64_e32 v[10:11], s[20:21], v[6:7]
	s_cselect_b32 s28, -1, 0
	s_or_b32 s0, s31, s30
	v_add_nc_u64_e32 v[12:13], s[26:27], v[6:7]
	s_cmp_eq_u32 s0, 0
	v_cmp_gt_i32_e64 s0, s29, v0
	s_cselect_b32 s104, -1, 0
	s_cmp_lg_u64 s[36:37], 0
	v_cmp_gt_i32_e64 s6, s31, v0
	s_cselect_b32 s7, -1, 0
	s_add_nc_u64 s[16:17], s[16:17], s[48:49]
	s_and_b32 vcc_hi, s28, s7
	s_cmp_lg_u64 s[34:35], 0
	s_cselect_b32 s7, -1, 0
	s_cmp_lg_u32 s30, 0
	s_cselect_b32 s44, -1, 0
	s_delay_alu instid0(SALU_CYCLE_1)
	s_and_b32 s50, s44, s7
	s_add_nc_u64 s[44:45], s[20:21], -8
	s_cmp_lg_u64 s[40:41], 0
	v_writelane_b32 v40, s44, 2
	s_cselect_b32 s7, -1, 0
	s_cmp_lg_u32 s31, 0
	v_writelane_b32 v40, s45, 3
	s_cselect_b32 s44, -1, 0
	s_delay_alu instid0(SALU_CYCLE_1) | instskip(SKIP_3) | instid1(SALU_CYCLE_1)
	s_and_b32 s51, s44, s7
	v_writelane_b32 v40, s24, 4
	v_writelane_b32 v40, s25, 5
	s_add_nc_u64 s[24:25], s[26:27], -8
	v_writelane_b32 v40, s24, 6
	v_writelane_b32 v40, s25, 7
	s_add_nc_u64 s[24:25], s[36:37], 8
	s_delay_alu instid0(SALU_CYCLE_1)
	v_writelane_b32 v40, s24, 8
	v_writelane_b32 v40, s25, 9
	s_branch .LBB137_11
.LBB137_9:                              ;   in Loop: Header=BB137_11 Depth=1
	s_or_b32 exec_lo, exec_lo, s7
.LBB137_10:                             ;   in Loop: Header=BB137_11 Depth=1
	s_add_co_i32 s8, s38, s8
	s_delay_alu instid0(SALU_CYCLE_1)
	v_cmp_lt_i32_e32 vcc_lo, s8, v1
	s_cbranch_vccz .LBB137_171
.LBB137_11:                             ; =>This Loop Header: Depth=1
                                        ;     Child Loop BB137_15 Depth 2
                                        ;     Child Loop BB137_40 Depth 2
                                        ;     Child Loop BB137_68 Depth 2
                                        ;     Child Loop BB137_118 Depth 2
                                        ;     Child Loop BB137_154 Depth 2
                                        ;       Child Loop BB137_155 Depth 3
                                        ;     Child Loop BB137_160 Depth 2
                                        ;       Child Loop BB137_161 Depth 3
                                        ;     Child Loop BB137_166 Depth 2
                                        ;       Child Loop BB137_167 Depth 3
	s_lshl_b32 s24, s8, 2
	s_delay_alu instid0(SALU_CYCLE_1) | instskip(NEXT) | instid1(SALU_CYCLE_1)
	s_ashr_i32 s25, s24, 31
	s_lshl_b64 s[24:25], s[24:25], 2
	s_wait_xcnt 0x0
	s_add_nc_u64 s[66:67], s[16:17], s[24:25]
	global_load_b64 v[2:3], v7, s[66:67] offset:4
	s_wait_loadcnt 0x0
	v_readfirstlane_b32 s58, v3
	v_readfirstlane_b32 s60, v2
	s_cmp_le_i32 s58, s60
	s_cbranch_scc1 .LBB137_10
; %bb.12:                               ;   in Loop: Header=BB137_11 Depth=1
	global_load_b32 v2, v7, s[66:67] offset:12
	s_wait_loadcnt 0x0
	v_cmp_le_i32_e32 vcc_lo, s10, v2
	s_cbranch_vccnz .LBB137_10
; %bb.13:                               ;   in Loop: Header=BB137_11 Depth=1
	v_mov_b64_e32 v[2:3], 0
	s_sub_co_i32 s56, s58, s60
	s_ashr_i32 s61, s60, 31
	s_mov_b32 s24, exec_lo
	s_wait_xcnt 0x0
	v_cmpx_ge_i32_e64 s56, v0
	s_cbranch_execz .LBB137_17
; %bb.14:                               ;   in Loop: Header=BB137_11 Depth=1
	v_mov_b64_e32 v[2:3], 0
	v_lshl_add_u64 v[4:5], s[60:61], 3, v[10:11]
	v_mov_b32_e32 v14, v0
	s_mov_b32 s25, 0
.LBB137_15:                             ;   Parent Loop BB137_11 Depth=1
                                        ; =>  This Inner Loop Header: Depth=2
	global_load_b64 v[16:17], v[4:5], off
	s_wait_xcnt 0x0
	v_add_nc_u64_e32 v[4:5], 0x800, v[4:5]
	s_wait_loadcnt 0x0
	v_cmp_lt_f64_e64 vcc_lo, v[2:3], |v[16:17]|
	v_and_b32_e32 v15, 0x7fffffff, v17
	s_delay_alu instid0(VALU_DEP_1) | instskip(NEXT) | instid1(VALU_DEP_1)
	v_dual_cndmask_b32 v3, v3, v15 :: v_dual_add_nc_u32 v14, 0x100, v14
	v_cmp_lt_i32_e64 s7, s56, v14
	v_cndmask_b32_e32 v2, v2, v16, vcc_lo
	s_or_b32 s25, s7, s25
	s_delay_alu instid0(SALU_CYCLE_1)
	s_and_not1_b32 exec_lo, exec_lo, s25
	s_cbranch_execnz .LBB137_15
; %bb.16:                               ;   in Loop: Header=BB137_11 Depth=1
	s_or_b32 exec_lo, exec_lo, s25
.LBB137_17:                             ;   in Loop: Header=BB137_11 Depth=1
	s_delay_alu instid0(SALU_CYCLE_1)
	s_or_b32 exec_lo, exec_lo, s24
	ds_store_b64 v6, v[2:3]
	s_wait_dscnt 0x0
	s_barrier_signal -1
	s_barrier_wait -1
	s_and_saveexec_b32 s7, s2
	s_cbranch_execz .LBB137_21
; %bb.18:                               ;   in Loop: Header=BB137_11 Depth=1
	ds_load_b64 v[4:5], v6 offset:1024
	s_mov_b32 s24, exec_lo
	s_wait_dscnt 0x0
	v_cmpx_lt_f64_e32 v[2:3], v[4:5]
; %bb.19:                               ;   in Loop: Header=BB137_11 Depth=1
	v_mov_b64_e32 v[2:3], v[4:5]
	ds_store_b64 v6, v[4:5]
; %bb.20:                               ;   in Loop: Header=BB137_11 Depth=1
	s_or_b32 exec_lo, exec_lo, s24
.LBB137_21:                             ;   in Loop: Header=BB137_11 Depth=1
	s_delay_alu instid0(SALU_CYCLE_1)
	s_or_b32 exec_lo, exec_lo, s7
	s_wait_dscnt 0x0
	s_barrier_signal -1
	s_barrier_wait -1
	s_and_saveexec_b32 s7, s3
	s_cbranch_execz .LBB137_25
; %bb.22:                               ;   in Loop: Header=BB137_11 Depth=1
	ds_load_b64 v[4:5], v6 offset:512
	s_mov_b32 s24, exec_lo
	s_wait_dscnt 0x0
	v_cmpx_lt_f64_e32 v[2:3], v[4:5]
; %bb.23:                               ;   in Loop: Header=BB137_11 Depth=1
	v_mov_b64_e32 v[2:3], v[4:5]
	ds_store_b64 v6, v[4:5]
; %bb.24:                               ;   in Loop: Header=BB137_11 Depth=1
	s_or_b32 exec_lo, exec_lo, s24
.LBB137_25:                             ;   in Loop: Header=BB137_11 Depth=1
	s_delay_alu instid0(SALU_CYCLE_1)
	s_or_b32 exec_lo, exec_lo, s7
	s_wait_dscnt 0x0
	s_barrier_signal -1
	s_barrier_wait -1
	s_and_saveexec_b32 s7, s4
	s_cbranch_execz .LBB137_38
; %bb.26:                               ;   in Loop: Header=BB137_11 Depth=1
	ds_load_b64 v[4:5], v6 offset:256
	s_mov_b32 s24, exec_lo
	s_wait_dscnt 0x0
	v_cmpx_lt_f64_e32 v[2:3], v[4:5]
; %bb.27:                               ;   in Loop: Header=BB137_11 Depth=1
	v_mov_b64_e32 v[2:3], v[4:5]
	ds_store_b64 v6, v[4:5]
; %bb.28:                               ;   in Loop: Header=BB137_11 Depth=1
	s_or_b32 exec_lo, exec_lo, s24
	ds_load_b64 v[4:5], v6 offset:128
	s_mov_b32 s24, exec_lo
	s_wait_dscnt 0x0
	v_cmpx_lt_f64_e32 v[2:3], v[4:5]
; %bb.29:                               ;   in Loop: Header=BB137_11 Depth=1
	v_mov_b64_e32 v[2:3], v[4:5]
	ds_store_b64 v6, v[4:5]
; %bb.30:                               ;   in Loop: Header=BB137_11 Depth=1
	s_or_b32 exec_lo, exec_lo, s24
	;; [unrolled: 9-line block ×5, first 2 shown]
	ds_load_b64 v[4:5], v6 offset:8
	s_wait_dscnt 0x0
	v_cmp_lt_f64_e32 vcc_lo, v[2:3], v[4:5]
	s_and_b32 exec_lo, exec_lo, vcc_lo
; %bb.37:                               ;   in Loop: Header=BB137_11 Depth=1
	ds_store_b64 v6, v[4:5]
.LBB137_38:                             ;   in Loop: Header=BB137_11 Depth=1
	s_or_b32 exec_lo, exec_lo, s7
	v_mov_b64_e32 v[2:3], 0
	s_mov_b32 s24, exec_lo
	s_wait_dscnt 0x0
	s_barrier_signal -1
	s_barrier_wait -1
	v_cmpx_gt_i32_e64 s56, v0
	s_cbranch_execz .LBB137_42
; %bb.39:                               ;   in Loop: Header=BB137_11 Depth=1
	v_mov_b64_e32 v[2:3], 0
	v_lshl_add_u64 v[4:5], s[60:61], 3, v[12:13]
	v_mov_b32_e32 v14, v0
	s_mov_b32 s25, 0
.LBB137_40:                             ;   Parent Loop BB137_11 Depth=1
                                        ; =>  This Inner Loop Header: Depth=2
	global_load_b64 v[16:17], v[4:5], off
	s_wait_xcnt 0x0
	v_add_nc_u64_e32 v[4:5], 0x800, v[4:5]
	s_wait_loadcnt 0x0
	v_cmp_lt_f64_e64 vcc_lo, v[2:3], |v[16:17]|
	v_and_b32_e32 v15, 0x7fffffff, v17
	s_delay_alu instid0(VALU_DEP_1) | instskip(NEXT) | instid1(VALU_DEP_1)
	v_dual_cndmask_b32 v3, v3, v15 :: v_dual_add_nc_u32 v14, 0x100, v14
	v_cmp_le_i32_e64 s7, s56, v14
	v_cndmask_b32_e32 v2, v2, v16, vcc_lo
	s_or_b32 s25, s7, s25
	s_delay_alu instid0(SALU_CYCLE_1)
	s_and_not1_b32 exec_lo, exec_lo, s25
	s_cbranch_execnz .LBB137_40
; %bb.41:                               ;   in Loop: Header=BB137_11 Depth=1
	s_or_b32 exec_lo, exec_lo, s25
.LBB137_42:                             ;   in Loop: Header=BB137_11 Depth=1
	s_delay_alu instid0(SALU_CYCLE_1)
	s_or_b32 exec_lo, exec_lo, s24
	s_cmp_lt_i32 s56, 2
	ds_store_b64 v6, v[2:3] offset:8
	s_wait_dscnt 0x0
	s_barrier_signal -1
	s_barrier_wait -1
	s_cbranch_scc1 .LBB137_65
; %bb.43:                               ;   in Loop: Header=BB137_11 Depth=1
	s_and_saveexec_b32 s7, s2
	s_cbranch_execz .LBB137_47
; %bb.44:                               ;   in Loop: Header=BB137_11 Depth=1
	ds_load_b64 v[4:5], v6 offset:1032
	s_mov_b32 s24, exec_lo
	s_wait_dscnt 0x0
	v_cmpx_lt_f64_e32 v[2:3], v[4:5]
; %bb.45:                               ;   in Loop: Header=BB137_11 Depth=1
	v_mov_b64_e32 v[2:3], v[4:5]
	ds_store_b64 v6, v[4:5] offset:8
; %bb.46:                               ;   in Loop: Header=BB137_11 Depth=1
	s_or_b32 exec_lo, exec_lo, s24
.LBB137_47:                             ;   in Loop: Header=BB137_11 Depth=1
	s_delay_alu instid0(SALU_CYCLE_1)
	s_or_b32 exec_lo, exec_lo, s7
	s_wait_dscnt 0x0
	s_barrier_signal -1
	s_barrier_wait -1
	s_and_saveexec_b32 s7, s3
	s_cbranch_execz .LBB137_51
; %bb.48:                               ;   in Loop: Header=BB137_11 Depth=1
	ds_load_b64 v[4:5], v6 offset:520
	s_mov_b32 s24, exec_lo
	s_wait_dscnt 0x0
	v_cmpx_lt_f64_e32 v[2:3], v[4:5]
; %bb.49:                               ;   in Loop: Header=BB137_11 Depth=1
	v_mov_b64_e32 v[2:3], v[4:5]
	ds_store_b64 v6, v[4:5] offset:8
; %bb.50:                               ;   in Loop: Header=BB137_11 Depth=1
	s_or_b32 exec_lo, exec_lo, s24
.LBB137_51:                             ;   in Loop: Header=BB137_11 Depth=1
	s_delay_alu instid0(SALU_CYCLE_1)
	s_or_b32 exec_lo, exec_lo, s7
	s_wait_dscnt 0x0
	s_barrier_signal -1
	s_barrier_wait -1
	s_and_saveexec_b32 s7, s4
	s_cbranch_execz .LBB137_64
; %bb.52:                               ;   in Loop: Header=BB137_11 Depth=1
	ds_load_b64 v[4:5], v6 offset:264
	s_mov_b32 s24, exec_lo
	s_wait_dscnt 0x0
	v_cmpx_lt_f64_e32 v[2:3], v[4:5]
; %bb.53:                               ;   in Loop: Header=BB137_11 Depth=1
	v_mov_b64_e32 v[2:3], v[4:5]
	ds_store_b64 v6, v[4:5] offset:8
; %bb.54:                               ;   in Loop: Header=BB137_11 Depth=1
	s_or_b32 exec_lo, exec_lo, s24
	ds_load_b64 v[4:5], v6 offset:136
	s_mov_b32 s24, exec_lo
	s_wait_dscnt 0x0
	v_cmpx_lt_f64_e32 v[2:3], v[4:5]
; %bb.55:                               ;   in Loop: Header=BB137_11 Depth=1
	v_mov_b64_e32 v[2:3], v[4:5]
	ds_store_b64 v6, v[4:5] offset:8
; %bb.56:                               ;   in Loop: Header=BB137_11 Depth=1
	s_or_b32 exec_lo, exec_lo, s24
	;; [unrolled: 9-line block ×5, first 2 shown]
	ds_load_b64 v[4:5], v6 offset:16
	s_wait_dscnt 0x0
	v_cmp_lt_f64_e32 vcc_lo, v[2:3], v[4:5]
	s_and_b32 exec_lo, exec_lo, vcc_lo
; %bb.63:                               ;   in Loop: Header=BB137_11 Depth=1
	ds_store_b64 v6, v[4:5] offset:8
.LBB137_64:                             ;   in Loop: Header=BB137_11 Depth=1
	s_or_b32 exec_lo, exec_lo, s7
.LBB137_65:                             ;   in Loop: Header=BB137_11 Depth=1
	s_lshl_b64 s[62:63], s[60:61], 3
	s_wait_dscnt 0x0
	s_add_nc_u64 s[70:71], s[26:27], s[62:63]
	s_add_nc_u64 s[76:77], s[20:21], s[62:63]
	s_barrier_signal -1
	s_barrier_wait -1
	s_and_saveexec_b32 s24, s5
	s_cbranch_execz .LBB137_79
; %bb.66:                               ;   in Loop: Header=BB137_11 Depth=1
	v_mov_b32_e32 v4, s58
	s_ashr_i32 s57, s56, 31
	s_clause 0x1
	global_load_b64 v[2:3], v7, s[76:77]
	global_load_b64 v[4:5], v4, s[20:21] scale_offset
	s_lshl_b64 s[44:45], s[56:57], 3
	s_delay_alu instid0(SALU_CYCLE_1)
	s_add_nc_u64 s[44:45], s[76:77], s[44:45]
	s_wait_loadcnt 0x0
	v_cmp_ge_f64_e64 s7, |v[2:3]|, |v[4:5]|
	v_and_b32_e32 v3, 0x7fffffff, v3
	v_and_b32_e32 v5, 0x7fffffff, v5
	s_and_b32 s25, s7, exec_lo
	s_cselect_b32 s45, s77, s45
	s_cselect_b32 s44, s76, s44
	v_cndmask_b32_e64 v18, 0, 1, s7
	global_load_b64 v[14:15], v7, s[44:45]
	s_not_b32 s25, s60
	s_wait_xcnt 0x0
	s_mov_b32 s45, 0
	s_add_co_i32 s25, s25, s58
	ds_store_b32 v7, v18 offset:2064
	s_wait_loadcnt 0x0
	v_and_b32_e32 v15, 0x7fffffff, v15
	s_delay_alu instid0(VALU_DEP_1)
	v_mov_b64_e32 v[16:17], v[14:15]
	s_branch .LBB137_68
.LBB137_67:                             ;   in Loop: Header=BB137_68 Depth=2
	s_wait_xcnt 0x0
	v_add_f64_e64 v[18:19], v[16:17], |v[18:19]|
	s_add_co_i32 s45, s45, 1
	s_and_b32 s48, s7, exec_lo
	s_cselect_b32 s48, s45, s25
	s_add_co_i32 s25, s25, -1
	s_delay_alu instid0(SALU_CYCLE_1) | instskip(SKIP_1) | instid1(VALU_DEP_1)
	s_cmp_eq_u32 s25, -1
	s_cselect_b32 s49, -1, 0
	v_div_scale_f64 v[20:21], null, v[18:19], v[18:19], v[16:17]
	s_delay_alu instid0(VALU_DEP_1) | instskip(SKIP_1) | instid1(TRANS32_DEP_1)
	v_rcp_f64_e32 v[28:29], v[20:21]
	v_nop
	v_fma_f64 v[30:31], -v[20:21], v[28:29], 1.0
	s_delay_alu instid0(VALU_DEP_1) | instskip(NEXT) | instid1(VALU_DEP_1)
	v_fmac_f64_e32 v[28:29], v[28:29], v[30:31]
	v_fma_f64 v[30:31], -v[20:21], v[28:29], 1.0
	s_delay_alu instid0(VALU_DEP_1) | instskip(SKIP_3) | instid1(VALU_DEP_2)
	v_fmac_f64_e32 v[28:29], v[28:29], v[30:31]
	v_div_scale_f64 v[30:31], vcc_lo, v[16:17], v[18:19], v[16:17]
	v_mov_b32_e32 v22, s48
	s_mov_b32 s48, 0
	v_mul_f64_e32 v[32:33], v[30:31], v[28:29]
	global_load_b64 v[22:23], v22, s[76:77] scale_offset
	v_fma_f64 v[20:21], -v[20:21], v[32:33], v[30:31]
	s_delay_alu instid0(VALU_DEP_1) | instskip(NEXT) | instid1(VALU_DEP_1)
	v_div_fmas_f64 v[20:21], v[20:21], v[28:29], v[32:33]
	v_div_fixup_f64 v[16:17], v[20:21], v[18:19], v[16:17]
	s_wait_loadcnt 0x0
	s_delay_alu instid0(VALU_DEP_1) | instskip(NEXT) | instid1(VALU_DEP_1)
	v_mul_f64_e64 v[16:17], v[16:17], |v[22:23]|
	v_cmp_lt_f64_e32 vcc_lo, v[16:17], v[14:15]
	v_dual_cndmask_b32 v15, v15, v17 :: v_dual_cndmask_b32 v14, v14, v16
	s_and_not1_b32 vcc_lo, exec_lo, s49
	s_cbranch_vccz .LBB137_70
.LBB137_68:                             ;   Parent Loop BB137_11 Depth=1
                                        ; =>  This Inner Loop Header: Depth=2
	s_and_b32 s44, s7, exec_lo
	s_cselect_b32 s44, s45, s25
	s_wait_xcnt 0x0
	s_delay_alu instid0(VALU_DEP_1)
	v_dual_mul_f64 v[20:21], s[12:13], v[16:17] :: v_dual_mov_b32 v18, s44
	global_load_b64 v[18:19], v18, s[70:71] scale_offset
	s_wait_loadcnt 0x0
	v_cmp_nle_f64_e64 s48, |v[18:19]|, v[20:21]
	s_and_b32 vcc_lo, exec_lo, s48
	s_cbranch_vccnz .LBB137_67
; %bb.69:                               ;   in Loop: Header=BB137_11 Depth=1
	s_mov_b32 s48, -1
                                        ; implicit-def: $vgpr16_vgpr17
                                        ; implicit-def: $sgpr25
                                        ; implicit-def: $sgpr45
                                        ; implicit-def: $vgpr14_vgpr15
.LBB137_70:                             ;   in Loop: Header=BB137_11 Depth=1
	s_delay_alu instid0(SALU_CYCLE_1)
	s_and_b32 vcc_lo, exec_lo, s48
	s_cbranch_vccz .LBB137_72
; %bb.71:                               ;   in Loop: Header=BB137_11 Depth=1
	v_mov_b64_e32 v[14:15], -1.0
	s_ashr_i32 s45, s44, 31
	s_delay_alu instid0(SALU_CYCLE_1) | instskip(NEXT) | instid1(SALU_CYCLE_1)
	s_lshl_b64 s[44:45], s[44:45], 3
	s_add_nc_u64 s[44:45], s[70:71], s[44:45]
	global_store_b64 v7, v[8:9], s[44:45]
.LBB137_72:                             ;   in Loop: Header=BB137_11 Depth=1
	v_cmp_nle_f64_e32 vcc_lo, 0, v[14:15]
	ds_store_b64 v7, v[14:15] offset:2056
	ds_store_b8 v7, v7 offset:2068
	s_cbranch_vccnz .LBB137_79
; %bb.73:                               ;   in Loop: Header=BB137_11 Depth=1
	s_wait_xcnt 0x0
	ds_load_b128 v[16:19], v7
	s_mov_b32 s25, -1
	s_wait_dscnt 0x0
	v_cmp_lt_f64_e32 vcc_lo, v[16:17], v[18:19]
	v_dual_cndmask_b32 v17, v17, v19 :: v_dual_cndmask_b32 v16, v16, v18
	s_delay_alu instid0(VALU_DEP_1) | instskip(NEXT) | instid1(VALU_DEP_1)
	v_div_scale_f64 v[18:19], null, v[16:17], v[16:17], v[14:15]
	v_rcp_f64_e32 v[20:21], v[18:19]
	v_nop
	s_delay_alu instid0(TRANS32_DEP_1) | instskip(NEXT) | instid1(VALU_DEP_1)
	v_fma_f64 v[22:23], -v[18:19], v[20:21], 1.0
	v_fmac_f64_e32 v[20:21], v[20:21], v[22:23]
	s_delay_alu instid0(VALU_DEP_1) | instskip(NEXT) | instid1(VALU_DEP_1)
	v_fma_f64 v[22:23], -v[18:19], v[20:21], 1.0
	v_fmac_f64_e32 v[20:21], v[20:21], v[22:23]
	v_div_scale_f64 v[22:23], vcc_lo, v[14:15], v[16:17], v[14:15]
	s_delay_alu instid0(VALU_DEP_1) | instskip(NEXT) | instid1(VALU_DEP_1)
	v_mul_f64_e32 v[28:29], v[22:23], v[20:21]
	v_fma_f64 v[18:19], -v[18:19], v[28:29], v[22:23]
	s_delay_alu instid0(VALU_DEP_1) | instskip(NEXT) | instid1(VALU_DEP_1)
	v_div_fmas_f64 v[18:19], v[18:19], v[20:21], v[28:29]
	v_div_fixup_f64 v[16:17], v[18:19], v[16:17], v[14:15]
	s_delay_alu instid0(VALU_DEP_1)
	v_cmp_ge_f64_e32 vcc_lo, s[14:15], v[16:17]
	s_cbranch_vccnz .LBB137_76
; %bb.74:                               ;   in Loop: Header=BB137_11 Depth=1
	v_dual_cndmask_b32 v3, v5, v3, s7 :: v_dual_cndmask_b32 v2, v4, v2, s7
	s_mov_b32 s25, 0
	s_delay_alu instid0(VALU_DEP_1)
	v_cmp_lt_f64_e32 vcc_lo, 0, v[2:3]
	s_cbranch_vccz .LBB137_76
; %bb.75:                               ;   in Loop: Header=BB137_11 Depth=1
	v_mul_f64_e32 v[4:5], v[14:15], v[14:15]
	s_wait_xcnt 0x0
	v_readlane_b32 s44, v40, 0
	v_readlane_b32 s45, v40, 1
	s_delay_alu instid0(VALU_DEP_3) | instskip(SKIP_1) | instid1(VALU_DEP_2)
	v_div_scale_f64 v[14:15], null, v[2:3], v[2:3], v[4:5]
	v_div_scale_f64 v[20:21], vcc_lo, v[4:5], v[2:3], v[4:5]
	v_rcp_f64_e32 v[16:17], v[14:15]
	v_nop
	s_delay_alu instid0(TRANS32_DEP_1) | instskip(NEXT) | instid1(VALU_DEP_1)
	v_fma_f64 v[18:19], -v[14:15], v[16:17], 1.0
	v_fmac_f64_e32 v[16:17], v[16:17], v[18:19]
	s_delay_alu instid0(VALU_DEP_1) | instskip(NEXT) | instid1(VALU_DEP_1)
	v_fma_f64 v[18:19], -v[14:15], v[16:17], 1.0
	v_fmac_f64_e32 v[16:17], v[16:17], v[18:19]
	s_delay_alu instid0(VALU_DEP_1) | instskip(NEXT) | instid1(VALU_DEP_1)
	v_mul_f64_e32 v[18:19], v[20:21], v[16:17]
	v_fma_f64 v[14:15], -v[14:15], v[18:19], v[20:21]
	s_delay_alu instid0(VALU_DEP_1) | instskip(NEXT) | instid1(VALU_DEP_1)
	v_div_fmas_f64 v[14:15], v[14:15], v[16:17], v[18:19]
	v_div_fixup_f64 v[4:5], v[14:15], v[2:3], v[4:5]
	s_delay_alu instid0(VALU_DEP_1) | instskip(NEXT) | instid1(VALU_DEP_1)
	v_div_scale_f64 v[14:15], null, v[2:3], v[2:3], v[4:5]
	v_rcp_f64_e32 v[16:17], v[14:15]
	v_nop
	s_delay_alu instid0(TRANS32_DEP_1) | instskip(NEXT) | instid1(VALU_DEP_1)
	v_fma_f64 v[18:19], -v[14:15], v[16:17], 1.0
	v_fmac_f64_e32 v[16:17], v[16:17], v[18:19]
	s_delay_alu instid0(VALU_DEP_1) | instskip(NEXT) | instid1(VALU_DEP_1)
	v_fma_f64 v[18:19], -v[14:15], v[16:17], 1.0
	v_fmac_f64_e32 v[16:17], v[16:17], v[18:19]
	v_div_scale_f64 v[18:19], vcc_lo, v[4:5], v[2:3], v[4:5]
	s_delay_alu instid0(VALU_DEP_1) | instskip(NEXT) | instid1(VALU_DEP_1)
	v_mul_f64_e32 v[20:21], v[18:19], v[16:17]
	v_fma_f64 v[14:15], -v[14:15], v[20:21], v[18:19]
	s_delay_alu instid0(VALU_DEP_1) | instskip(NEXT) | instid1(VALU_DEP_1)
	v_div_fmas_f64 v[14:15], v[14:15], v[16:17], v[20:21]
	v_div_fixup_f64 v[2:3], v[14:15], v[2:3], v[4:5]
	s_delay_alu instid0(VALU_DEP_1)
	v_cmp_gt_f64_e64 s25, s[44:45], v[2:3]
.LBB137_76:                             ;   in Loop: Header=BB137_11 Depth=1
	s_delay_alu instid0(VALU_DEP_1)
	s_and_b32 vcc_lo, exec_lo, s25
	s_cbranch_vccz .LBB137_78
; %bb.77:                               ;   in Loop: Header=BB137_11 Depth=1
	ds_store_b64 v7, v[8:9] offset:2056
.LBB137_78:                             ;   in Loop: Header=BB137_11 Depth=1
	ds_store_b8 v7, v26 offset:2068
.LBB137_79:                             ;   in Loop: Header=BB137_11 Depth=1
	s_wait_xcnt 0x0
	s_or_b32 exec_lo, exec_lo, s24
	s_wait_storecnt_dscnt 0x0
	s_barrier_signal -1
	s_barrier_wait -1
	ds_load_u8 v2, v7 offset:2068
	s_mov_b32 s7, -1
	s_wait_dscnt 0x0
	v_cmp_eq_u32_e32 vcc_lo, 0, v2
	s_cbranch_vccz .LBB137_83
; %bb.80:                               ;   in Loop: Header=BB137_11 Depth=1
	s_and_saveexec_b32 s7, s5
	s_cbranch_execz .LBB137_82
; %bb.81:                               ;   in Loop: Header=BB137_11 Depth=1
	global_store_b32 v7, v7, s[66:67]
.LBB137_82:                             ;   in Loop: Header=BB137_11 Depth=1
	s_wait_xcnt 0x0
	s_or_b32 exec_lo, exec_lo, s7
	s_mov_b32 s7, 0
.LBB137_83:                             ;   in Loop: Header=BB137_11 Depth=1
	s_delay_alu instid0(SALU_CYCLE_1)
	s_and_not1_b32 vcc_lo, exec_lo, s7
	s_cbranch_vccnz .LBB137_10
; %bb.84:                               ;   in Loop: Header=BB137_11 Depth=1
	ds_load_b32 v2, v7 offset:2064
	s_wait_dscnt 0x0
	v_readfirstlane_b32 s64, v2
	s_and_saveexec_b32 s7, s5
	s_cbranch_execz .LBB137_86
; %bb.85:                               ;   in Loop: Header=BB137_11 Depth=1
	s_cmp_eq_u32 s64, 0
	s_cselect_b32 s24, -1, 1
	s_delay_alu instid0(SALU_CYCLE_1)
	v_mov_b32_e32 v2, s24
	global_store_b32 v7, v2, s[66:67]
.LBB137_86:                             ;   in Loop: Header=BB137_11 Depth=1
	s_wait_xcnt 0x0
	s_or_b32 exec_lo, exec_lo, s7
	s_add_co_i32 s74, s56, 1
	s_mul_i32 s66, s60, s33
	s_sub_co_i32 s72, 1, s64
	s_ashr_i32 s67, s66, 31
	s_sub_co_i32 s7, s64, s72
	s_lshl_b32 s24, s74, 1
	s_and_b32 s25, s28, exec_lo
	s_cselect_b32 s68, s24, 0
	s_and_saveexec_b32 s57, s5
	s_cbranch_execz .LBB137_149
; %bb.87:                               ;   in Loop: Header=BB137_11 Depth=1
	s_cmp_lg_u32 s64, 0
	v_mov_b64_e32 v[16:17], 0
	s_cselect_b32 s59, -1, 0
	s_delay_alu instid0(SALU_CYCLE_1) | instskip(SKIP_1) | instid1(SALU_CYCLE_1)
	s_and_b32 s24, s59, exec_lo
	s_cselect_b32 s78, 0, s56
	v_mov_b32_e32 v2, s78
	global_load_b64 v[4:5], v2, s[76:77] scale_offset
	s_wait_xcnt 0x0
	v_mov_b64_e32 v[2:3], 0
	s_wait_loadcnt 0x0
	v_cmp_eq_f64_e32 vcc_lo, 0, v[4:5]
	s_cbranch_vccnz .LBB137_89
; %bb.88:                               ;   in Loop: Header=BB137_11 Depth=1
	ds_load_b64 v[2:3], v7 offset:2056
	s_wait_dscnt 0x0
	v_div_scale_f64 v[14:15], null, v[4:5], v[4:5], v[2:3]
	s_delay_alu instid0(VALU_DEP_1) | instskip(SKIP_1) | instid1(TRANS32_DEP_1)
	v_rcp_f64_e32 v[18:19], v[14:15]
	v_nop
	v_fma_f64 v[20:21], -v[14:15], v[18:19], 1.0
	s_delay_alu instid0(VALU_DEP_1) | instskip(NEXT) | instid1(VALU_DEP_1)
	v_fmac_f64_e32 v[18:19], v[18:19], v[20:21]
	v_fma_f64 v[20:21], -v[14:15], v[18:19], 1.0
	s_delay_alu instid0(VALU_DEP_1) | instskip(SKIP_1) | instid1(VALU_DEP_1)
	v_fmac_f64_e32 v[18:19], v[18:19], v[20:21]
	v_div_scale_f64 v[20:21], vcc_lo, v[2:3], v[4:5], v[2:3]
	v_mul_f64_e32 v[22:23], v[20:21], v[18:19]
	s_delay_alu instid0(VALU_DEP_1) | instskip(NEXT) | instid1(VALU_DEP_1)
	v_fma_f64 v[14:15], -v[14:15], v[22:23], v[20:21]
	v_div_fmas_f64 v[14:15], v[14:15], v[18:19], v[22:23]
	v_cmp_lt_f64_e32 vcc_lo, 0, v[4:5]
	s_delay_alu instid0(VALU_DEP_2) | instskip(SKIP_3) | instid1(VALU_DEP_3)
	v_div_fixup_f64 v[14:15], v[14:15], v[4:5], v[2:3]
	v_cndmask_b32_e64 v18, 0, 1, vcc_lo
	v_cmp_gt_f64_e32 vcc_lo, 0, v[4:5]
	v_add_f64_e64 v[2:3], |v[4:5]|, -v[2:3]
	v_subrev_co_ci_u32_e64 v18, null, 0, v18, vcc_lo
	s_delay_alu instid0(VALU_DEP_1) | instskip(NEXT) | instid1(VALU_DEP_1)
	v_cvt_f64_i32_e32 v[18:19], v18
	v_add_f64_e32 v[14:15], v[14:15], v[18:19]
	s_delay_alu instid0(VALU_DEP_1)
	v_mul_f64_e32 v[2:3], v[2:3], v[14:15]
.LBB137_89:                             ;   in Loop: Header=BB137_11 Depth=1
	s_ashr_i32 s79, s78, 31
	s_ashr_i32 s65, s64, 31
	s_delay_alu instid0(SALU_CYCLE_1) | instskip(NEXT) | instid1(SALU_CYCLE_1)
	s_add_nc_u64 s[80:81], s[78:79], s[64:65]
	s_lshl_b64 s[44:45], s[80:81], 3
	s_delay_alu instid0(SALU_CYCLE_1)
	s_add_nc_u64 s[82:83], s[70:71], s[44:45]
	global_load_b64 v[14:15], v7, s[82:83] offset:-8
	s_wait_loadcnt 0x0
	v_cmp_eq_f64_e32 vcc_lo, 0, v[14:15]
	s_cbranch_vccnz .LBB137_93
; %bb.90:                               ;   in Loop: Header=BB137_11 Depth=1
	v_cmp_eq_f64_e32 vcc_lo, 0, v[2:3]
	s_cbranch_vccnz .LBB137_94
; %bb.91:                               ;   in Loop: Header=BB137_11 Depth=1
	v_cmp_gt_f64_e64 s24, |v[14:15]|, |v[2:3]|
	s_and_b32 vcc_lo, exec_lo, s24
	s_cbranch_vccnz .LBB137_95
; %bb.92:                               ;   in Loop: Header=BB137_11 Depth=1
	v_div_scale_f64 v[16:17], null, v[2:3], v[2:3], -v[14:15]
	v_div_scale_f64 v[22:23], vcc_lo, -v[14:15], v[2:3], -v[14:15]
	s_delay_alu instid0(VALU_DEP_2) | instskip(SKIP_1) | instid1(TRANS32_DEP_1)
	v_rcp_f64_e32 v[18:19], v[16:17]
	v_nop
	v_fma_f64 v[20:21], -v[16:17], v[18:19], 1.0
	s_delay_alu instid0(VALU_DEP_1) | instskip(NEXT) | instid1(VALU_DEP_1)
	v_fmac_f64_e32 v[18:19], v[18:19], v[20:21]
	v_fma_f64 v[20:21], -v[16:17], v[18:19], 1.0
	s_delay_alu instid0(VALU_DEP_1) | instskip(NEXT) | instid1(VALU_DEP_1)
	v_fmac_f64_e32 v[18:19], v[18:19], v[20:21]
	v_mul_f64_e32 v[20:21], v[22:23], v[18:19]
	s_delay_alu instid0(VALU_DEP_1) | instskip(NEXT) | instid1(VALU_DEP_1)
	v_fma_f64 v[16:17], -v[16:17], v[20:21], v[22:23]
	v_div_fmas_f64 v[16:17], v[16:17], v[18:19], v[20:21]
	s_delay_alu instid0(VALU_DEP_1) | instskip(NEXT) | instid1(VALU_DEP_1)
	v_div_fixup_f64 v[16:17], v[16:17], v[2:3], -v[14:15]
	v_fma_f64 v[18:19], v[16:17], v[16:17], 1.0
	s_delay_alu instid0(VALU_DEP_1) | instskip(SKIP_2) | instid1(SALU_CYCLE_1)
	v_cmp_gt_f64_e32 vcc_lo, 0x10000000, v[18:19]
	s_and_b32 s24, vcc_lo, exec_lo
	s_cselect_b32 s24, 0x100, 0
	v_ldexp_f64 v[18:19], v[18:19], s24
	s_cselect_b32 s24, 0xffffff80, 0
	s_delay_alu instid0(VALU_DEP_1) | instskip(SKIP_1) | instid1(TRANS32_DEP_1)
	v_rsq_f64_e32 v[20:21], v[18:19]
	v_cmp_class_f64_e64 vcc_lo, v[18:19], 0x260
	v_mul_f64_e32 v[22:23], v[18:19], v[20:21]
	v_mul_f64_e32 v[20:21], 0.5, v[20:21]
	s_delay_alu instid0(VALU_DEP_1) | instskip(NEXT) | instid1(VALU_DEP_1)
	v_fma_f64 v[28:29], -v[20:21], v[22:23], 0.5
	v_fmac_f64_e32 v[22:23], v[22:23], v[28:29]
	v_fmac_f64_e32 v[20:21], v[20:21], v[28:29]
	s_delay_alu instid0(VALU_DEP_2) | instskip(NEXT) | instid1(VALU_DEP_1)
	v_fma_f64 v[28:29], -v[22:23], v[22:23], v[18:19]
	v_fmac_f64_e32 v[22:23], v[28:29], v[20:21]
	s_delay_alu instid0(VALU_DEP_1) | instskip(NEXT) | instid1(VALU_DEP_1)
	v_fma_f64 v[28:29], -v[22:23], v[22:23], v[18:19]
	v_fmac_f64_e32 v[22:23], v[28:29], v[20:21]
	s_delay_alu instid0(VALU_DEP_1) | instskip(NEXT) | instid1(VALU_DEP_1)
	v_ldexp_f64 v[20:21], v[22:23], s24
	v_dual_cndmask_b32 v19, v21, v19 :: v_dual_cndmask_b32 v18, v20, v18
	s_delay_alu instid0(VALU_DEP_1) | instskip(NEXT) | instid1(VALU_DEP_1)
	v_div_scale_f64 v[20:21], null, v[18:19], v[18:19], 1.0
	v_rcp_f64_e32 v[22:23], v[20:21]
	v_nop
	s_delay_alu instid0(TRANS32_DEP_1) | instskip(NEXT) | instid1(VALU_DEP_1)
	v_fma_f64 v[28:29], -v[20:21], v[22:23], 1.0
	v_fmac_f64_e32 v[22:23], v[22:23], v[28:29]
	s_delay_alu instid0(VALU_DEP_1) | instskip(NEXT) | instid1(VALU_DEP_1)
	v_fma_f64 v[28:29], -v[20:21], v[22:23], 1.0
	v_fmac_f64_e32 v[22:23], v[22:23], v[28:29]
	v_div_scale_f64 v[28:29], vcc_lo, 1.0, v[18:19], 1.0
	s_delay_alu instid0(VALU_DEP_1) | instskip(NEXT) | instid1(VALU_DEP_1)
	v_mul_f64_e32 v[30:31], v[28:29], v[22:23]
	v_fma_f64 v[20:21], -v[20:21], v[30:31], v[28:29]
	s_delay_alu instid0(VALU_DEP_1) | instskip(NEXT) | instid1(VALU_DEP_1)
	v_div_fmas_f64 v[20:21], v[20:21], v[22:23], v[30:31]
	v_div_fixup_f64 v[18:19], v[20:21], v[18:19], 1.0
	s_delay_alu instid0(VALU_DEP_1)
	v_mul_f64_e32 v[16:17], v[16:17], v[18:19]
	s_cbranch_execz .LBB137_96
	s_branch .LBB137_97
.LBB137_93:                             ;   in Loop: Header=BB137_11 Depth=1
	v_mov_b64_e32 v[18:19], 1.0
	s_branch .LBB137_97
.LBB137_94:                             ;   in Loop: Header=BB137_11 Depth=1
	v_mov_b64_e32 v[18:19], 0
	v_mov_b64_e32 v[16:17], 1.0
	s_branch .LBB137_97
.LBB137_95:                             ;   in Loop: Header=BB137_11 Depth=1
                                        ; implicit-def: $vgpr18_vgpr19
                                        ; implicit-def: $vgpr16_vgpr17
.LBB137_96:                             ;   in Loop: Header=BB137_11 Depth=1
	v_div_scale_f64 v[16:17], null, v[14:15], v[14:15], -v[2:3]
	v_div_scale_f64 v[22:23], vcc_lo, -v[2:3], v[14:15], -v[2:3]
	s_delay_alu instid0(VALU_DEP_2) | instskip(SKIP_1) | instid1(TRANS32_DEP_1)
	v_rcp_f64_e32 v[18:19], v[16:17]
	v_nop
	v_fma_f64 v[20:21], -v[16:17], v[18:19], 1.0
	s_delay_alu instid0(VALU_DEP_1) | instskip(NEXT) | instid1(VALU_DEP_1)
	v_fmac_f64_e32 v[18:19], v[18:19], v[20:21]
	v_fma_f64 v[20:21], -v[16:17], v[18:19], 1.0
	s_delay_alu instid0(VALU_DEP_1) | instskip(NEXT) | instid1(VALU_DEP_1)
	v_fmac_f64_e32 v[18:19], v[18:19], v[20:21]
	v_mul_f64_e32 v[20:21], v[22:23], v[18:19]
	s_delay_alu instid0(VALU_DEP_1) | instskip(NEXT) | instid1(VALU_DEP_1)
	v_fma_f64 v[16:17], -v[16:17], v[20:21], v[22:23]
	v_div_fmas_f64 v[16:17], v[16:17], v[18:19], v[20:21]
	s_delay_alu instid0(VALU_DEP_1) | instskip(NEXT) | instid1(VALU_DEP_1)
	v_div_fixup_f64 v[2:3], v[16:17], v[14:15], -v[2:3]
	v_fma_f64 v[16:17], v[2:3], v[2:3], 1.0
	s_delay_alu instid0(VALU_DEP_1) | instskip(SKIP_2) | instid1(SALU_CYCLE_1)
	v_cmp_gt_f64_e32 vcc_lo, 0x10000000, v[16:17]
	s_and_b32 s24, vcc_lo, exec_lo
	s_cselect_b32 s24, 0x100, 0
	v_ldexp_f64 v[16:17], v[16:17], s24
	s_cselect_b32 s24, 0xffffff80, 0
	s_delay_alu instid0(VALU_DEP_1) | instskip(SKIP_1) | instid1(TRANS32_DEP_1)
	v_rsq_f64_e32 v[18:19], v[16:17]
	v_cmp_class_f64_e64 vcc_lo, v[16:17], 0x260
	v_mul_f64_e32 v[20:21], v[16:17], v[18:19]
	v_mul_f64_e32 v[18:19], 0.5, v[18:19]
	s_delay_alu instid0(VALU_DEP_1) | instskip(NEXT) | instid1(VALU_DEP_1)
	v_fma_f64 v[22:23], -v[18:19], v[20:21], 0.5
	v_fmac_f64_e32 v[20:21], v[20:21], v[22:23]
	v_fmac_f64_e32 v[18:19], v[18:19], v[22:23]
	s_delay_alu instid0(VALU_DEP_2) | instskip(NEXT) | instid1(VALU_DEP_1)
	v_fma_f64 v[22:23], -v[20:21], v[20:21], v[16:17]
	v_fmac_f64_e32 v[20:21], v[22:23], v[18:19]
	s_delay_alu instid0(VALU_DEP_1) | instskip(NEXT) | instid1(VALU_DEP_1)
	v_fma_f64 v[22:23], -v[20:21], v[20:21], v[16:17]
	v_fmac_f64_e32 v[20:21], v[22:23], v[18:19]
	s_delay_alu instid0(VALU_DEP_1) | instskip(NEXT) | instid1(VALU_DEP_1)
	v_ldexp_f64 v[18:19], v[20:21], s24
	v_dual_cndmask_b32 v17, v19, v17 :: v_dual_cndmask_b32 v16, v18, v16
	s_delay_alu instid0(VALU_DEP_1) | instskip(NEXT) | instid1(VALU_DEP_1)
	v_div_scale_f64 v[18:19], null, v[16:17], v[16:17], 1.0
	v_rcp_f64_e32 v[20:21], v[18:19]
	v_nop
	s_delay_alu instid0(TRANS32_DEP_1) | instskip(NEXT) | instid1(VALU_DEP_1)
	v_fma_f64 v[22:23], -v[18:19], v[20:21], 1.0
	v_fmac_f64_e32 v[20:21], v[20:21], v[22:23]
	s_delay_alu instid0(VALU_DEP_1) | instskip(NEXT) | instid1(VALU_DEP_1)
	v_fma_f64 v[22:23], -v[18:19], v[20:21], 1.0
	v_fmac_f64_e32 v[20:21], v[20:21], v[22:23]
	v_div_scale_f64 v[22:23], vcc_lo, 1.0, v[16:17], 1.0
	s_delay_alu instid0(VALU_DEP_1) | instskip(NEXT) | instid1(VALU_DEP_1)
	v_mul_f64_e32 v[28:29], v[22:23], v[20:21]
	v_fma_f64 v[18:19], -v[18:19], v[28:29], v[22:23]
	s_delay_alu instid0(VALU_DEP_1) | instskip(NEXT) | instid1(VALU_DEP_1)
	v_div_fmas_f64 v[18:19], v[18:19], v[20:21], v[28:29]
	v_div_fixup_f64 v[16:17], v[18:19], v[16:17], 1.0
	s_delay_alu instid0(VALU_DEP_1)
	v_mul_f64_e32 v[18:19], v[2:3], v[16:17]
.LBB137_97:                             ;   in Loop: Header=BB137_11 Depth=1
	s_delay_alu instid0(VALU_DEP_1)
	v_mul_f64_e32 v[2:3], v[14:15], v[18:19]
	s_sub_nc_u64 s[24:25], 0, s[64:65]
	s_lshl_b64 s[48:49], s[78:79], 3
	s_sub_nc_u64 s[86:87], s[64:65], s[24:25]
	s_add_nc_u64 s[92:93], s[76:77], s[48:49]
	s_lshl_b64 s[24:25], s[86:87], 3
	s_lshl_b64 s[84:85], s[66:67], 3
	s_add_nc_u64 s[90:91], s[92:93], s[24:25]
	s_and_b32 s24, s28, s59
	s_add_nc_u64 s[76:77], s[18:19], s[84:85]
	v_cndmask_b32_e64 v20, 0, 1, s24
	s_and_not1_b32 vcc_lo, exec_lo, s24
	s_add_nc_u64 s[88:89], s[76:77], s[44:45]
	s_delay_alu instid0(VALU_DEP_2)
	v_fmac_f64_e32 v[2:3], v[4:5], v[16:17]
	s_clause 0x1
	global_store_b64 v7, v[2:3], s[82:83] offset:-8
	global_load_b64 v[2:3], v7, s[90:91] offset:-8
	s_wait_loadcnt 0x0
	v_mul_f64_e32 v[22:23], v[18:19], v[2:3]
	global_store_b64 v7, v[22:23], s[90:91] offset:-8
	s_cbranch_vccnz .LBB137_99
; %bb.98:                               ;   in Loop: Header=BB137_11 Depth=1
	v_mov_b32_e32 v21, s74
	s_clause 0x1
	global_store_b64 v7, v[18:19], s[88:89] offset:24
	global_store_b64 v21, v[16:17], s[88:89] offset:24 scale_offset
.LBB137_99:                             ;   in Loop: Header=BB137_11 Depth=1
	s_cmp_lg_u32 s64, 1
	s_cselect_b32 s24, -1, 0
	s_cmp_eq_u32 s64, 1
	s_cselect_b32 s25, -1, 0
	s_delay_alu instid0(SALU_CYCLE_1) | instskip(NEXT) | instid1(SALU_CYCLE_1)
	s_or_b32 s25, s104, s25
	s_and_b32 vcc_lo, exec_lo, s25
	s_cbranch_vccnz .LBB137_101
; %bb.100:                              ;   in Loop: Header=BB137_11 Depth=1
	s_ashr_i32 s69, s68, 31
	s_wait_xcnt 0x0
	v_mov_b32_e32 v21, s74
	s_add_nc_u64 s[44:45], s[80:81], s[68:69]
	s_delay_alu instid0(SALU_CYCLE_1) | instskip(NEXT) | instid1(SALU_CYCLE_1)
	s_lshl_b64 s[44:45], s[44:45], 3
	s_add_nc_u64 s[44:45], s[76:77], s[44:45]
	s_clause 0x1
	global_store_b64 v7, v[18:19], s[44:45] offset:24
	global_store_b64 v21, v[16:17], s[44:45] offset:24 scale_offset
.LBB137_101:                            ;   in Loop: Header=BB137_11 Depth=1
	v_mul_f64_e64 v[2:3], v[2:3], -v[16:17]
	v_mul_f64_e32 v[14:15], v[14:15], v[16:17]
	s_delay_alu instid0(VALU_DEP_2) | instskip(NEXT) | instid1(VALU_DEP_2)
	v_cmp_eq_f64_e32 vcc_lo, 0, v[2:3]
	v_fma_f64 v[4:5], v[4:5], v[18:19], -v[14:15]
	s_cbranch_vccnz .LBB137_105
; %bb.102:                              ;   in Loop: Header=BB137_11 Depth=1
	s_delay_alu instid0(VALU_DEP_1)
	v_cmp_eq_f64_e32 vcc_lo, 0, v[4:5]
	s_cbranch_vccnz .LBB137_106
; %bb.103:                              ;   in Loop: Header=BB137_11 Depth=1
	s_wait_xcnt 0x0
	v_cmp_gt_f64_e64 s44, |v[2:3]|, |v[4:5]|
	s_and_b32 vcc_lo, exec_lo, s44
	s_cbranch_vccnz .LBB137_107
; %bb.104:                              ;   in Loop: Header=BB137_11 Depth=1
	v_div_scale_f64 v[14:15], null, v[4:5], v[4:5], -v[2:3]
	v_div_scale_f64 v[22:23], vcc_lo, -v[2:3], v[4:5], -v[2:3]
	s_delay_alu instid0(VALU_DEP_2) | instskip(SKIP_1) | instid1(TRANS32_DEP_1)
	v_rcp_f64_e32 v[16:17], v[14:15]
	v_nop
	v_fma_f64 v[18:19], -v[14:15], v[16:17], 1.0
	s_delay_alu instid0(VALU_DEP_1) | instskip(NEXT) | instid1(VALU_DEP_1)
	v_fmac_f64_e32 v[16:17], v[16:17], v[18:19]
	v_fma_f64 v[18:19], -v[14:15], v[16:17], 1.0
	s_delay_alu instid0(VALU_DEP_1) | instskip(NEXT) | instid1(VALU_DEP_1)
	v_fmac_f64_e32 v[16:17], v[16:17], v[18:19]
	v_mul_f64_e32 v[18:19], v[22:23], v[16:17]
	s_delay_alu instid0(VALU_DEP_1) | instskip(NEXT) | instid1(VALU_DEP_1)
	v_fma_f64 v[14:15], -v[14:15], v[18:19], v[22:23]
	v_div_fmas_f64 v[14:15], v[14:15], v[16:17], v[18:19]
	s_delay_alu instid0(VALU_DEP_1) | instskip(NEXT) | instid1(VALU_DEP_1)
	v_div_fixup_f64 v[16:17], v[14:15], v[4:5], -v[2:3]
	v_fma_f64 v[14:15], v[16:17], v[16:17], 1.0
	s_delay_alu instid0(VALU_DEP_1) | instskip(SKIP_2) | instid1(SALU_CYCLE_1)
	v_cmp_gt_f64_e32 vcc_lo, 0x10000000, v[14:15]
	s_and_b32 s44, vcc_lo, exec_lo
	s_cselect_b32 s44, 0x100, 0
	v_ldexp_f64 v[14:15], v[14:15], s44
	s_cselect_b32 s44, 0xffffff80, 0
	s_delay_alu instid0(VALU_DEP_1) | instskip(SKIP_1) | instid1(TRANS32_DEP_1)
	v_rsq_f64_e32 v[18:19], v[14:15]
	v_cmp_class_f64_e64 vcc_lo, v[14:15], 0x260
	v_mul_f64_e32 v[22:23], v[14:15], v[18:19]
	v_mul_f64_e32 v[18:19], 0.5, v[18:19]
	s_delay_alu instid0(VALU_DEP_1) | instskip(NEXT) | instid1(VALU_DEP_1)
	v_fma_f64 v[28:29], -v[18:19], v[22:23], 0.5
	v_fmac_f64_e32 v[22:23], v[22:23], v[28:29]
	v_fmac_f64_e32 v[18:19], v[18:19], v[28:29]
	s_delay_alu instid0(VALU_DEP_2) | instskip(NEXT) | instid1(VALU_DEP_1)
	v_fma_f64 v[28:29], -v[22:23], v[22:23], v[14:15]
	v_fmac_f64_e32 v[22:23], v[28:29], v[18:19]
	s_delay_alu instid0(VALU_DEP_1) | instskip(NEXT) | instid1(VALU_DEP_1)
	v_fma_f64 v[28:29], -v[22:23], v[22:23], v[14:15]
	v_fmac_f64_e32 v[22:23], v[28:29], v[18:19]
	s_delay_alu instid0(VALU_DEP_1) | instskip(NEXT) | instid1(VALU_DEP_1)
	v_ldexp_f64 v[18:19], v[22:23], s44
	v_dual_cndmask_b32 v15, v19, v15 :: v_dual_cndmask_b32 v14, v18, v14
	s_delay_alu instid0(VALU_DEP_1) | instskip(NEXT) | instid1(VALU_DEP_1)
	v_div_scale_f64 v[18:19], null, v[14:15], v[14:15], 1.0
	v_rcp_f64_e32 v[22:23], v[18:19]
	v_nop
	s_delay_alu instid0(TRANS32_DEP_1) | instskip(NEXT) | instid1(VALU_DEP_1)
	v_fma_f64 v[28:29], -v[18:19], v[22:23], 1.0
	v_fmac_f64_e32 v[22:23], v[22:23], v[28:29]
	s_delay_alu instid0(VALU_DEP_1) | instskip(NEXT) | instid1(VALU_DEP_1)
	v_fma_f64 v[28:29], -v[18:19], v[22:23], 1.0
	v_fmac_f64_e32 v[22:23], v[22:23], v[28:29]
	v_div_scale_f64 v[28:29], vcc_lo, 1.0, v[14:15], 1.0
	s_delay_alu instid0(VALU_DEP_1) | instskip(NEXT) | instid1(VALU_DEP_1)
	v_mul_f64_e32 v[30:31], v[28:29], v[22:23]
	v_fma_f64 v[18:19], -v[18:19], v[30:31], v[28:29]
	s_delay_alu instid0(VALU_DEP_1) | instskip(NEXT) | instid1(VALU_DEP_1)
	v_div_fmas_f64 v[18:19], v[18:19], v[22:23], v[30:31]
	v_div_fixup_f64 v[14:15], v[18:19], v[14:15], 1.0
	s_delay_alu instid0(VALU_DEP_1)
	v_mul_f64_e32 v[16:17], v[16:17], v[14:15]
	s_cbranch_execz .LBB137_108
	s_branch .LBB137_109
.LBB137_105:                            ;   in Loop: Header=BB137_11 Depth=1
	v_mov_b64_e32 v[14:15], 1.0
	s_wait_xcnt 0x0
	v_mov_b64_e32 v[16:17], 0
	s_branch .LBB137_111
.LBB137_106:                            ;   in Loop: Header=BB137_11 Depth=1
	v_xor_b32_e32 v5, 0x80000000, v3
	v_mov_b32_e32 v4, v2
	s_wait_xcnt 0x0
                                        ; implicit-def: $vgpr14_vgpr15
                                        ; implicit-def: $vgpr16_vgpr17
	s_cbranch_execnz .LBB137_110
	s_branch .LBB137_111
.LBB137_107:                            ;   in Loop: Header=BB137_11 Depth=1
                                        ; implicit-def: $vgpr14_vgpr15
                                        ; implicit-def: $vgpr16_vgpr17
.LBB137_108:                            ;   in Loop: Header=BB137_11 Depth=1
	v_div_scale_f64 v[14:15], null, v[2:3], v[2:3], -v[4:5]
	v_div_scale_f64 v[22:23], vcc_lo, -v[4:5], v[2:3], -v[4:5]
	s_delay_alu instid0(VALU_DEP_2) | instskip(SKIP_1) | instid1(TRANS32_DEP_1)
	v_rcp_f64_e32 v[16:17], v[14:15]
	v_nop
	v_fma_f64 v[18:19], -v[14:15], v[16:17], 1.0
	s_delay_alu instid0(VALU_DEP_1) | instskip(NEXT) | instid1(VALU_DEP_1)
	v_fmac_f64_e32 v[16:17], v[16:17], v[18:19]
	v_fma_f64 v[18:19], -v[14:15], v[16:17], 1.0
	s_delay_alu instid0(VALU_DEP_1) | instskip(NEXT) | instid1(VALU_DEP_1)
	v_fmac_f64_e32 v[16:17], v[16:17], v[18:19]
	v_mul_f64_e32 v[18:19], v[22:23], v[16:17]
	s_delay_alu instid0(VALU_DEP_1) | instskip(NEXT) | instid1(VALU_DEP_1)
	v_fma_f64 v[14:15], -v[14:15], v[18:19], v[22:23]
	v_div_fmas_f64 v[14:15], v[14:15], v[16:17], v[18:19]
	s_delay_alu instid0(VALU_DEP_1) | instskip(NEXT) | instid1(VALU_DEP_1)
	v_div_fixup_f64 v[14:15], v[14:15], v[2:3], -v[4:5]
	v_fma_f64 v[16:17], v[14:15], v[14:15], 1.0
	s_delay_alu instid0(VALU_DEP_1) | instskip(SKIP_2) | instid1(SALU_CYCLE_1)
	v_cmp_gt_f64_e32 vcc_lo, 0x10000000, v[16:17]
	s_and_b32 s44, vcc_lo, exec_lo
	s_cselect_b32 s44, 0x100, 0
	v_ldexp_f64 v[16:17], v[16:17], s44
	s_cselect_b32 s44, 0xffffff80, 0
	s_delay_alu instid0(VALU_DEP_1) | instskip(SKIP_1) | instid1(TRANS32_DEP_1)
	v_rsq_f64_e32 v[18:19], v[16:17]
	v_cmp_class_f64_e64 vcc_lo, v[16:17], 0x260
	v_mul_f64_e32 v[22:23], v[16:17], v[18:19]
	v_mul_f64_e32 v[18:19], 0.5, v[18:19]
	s_delay_alu instid0(VALU_DEP_1) | instskip(NEXT) | instid1(VALU_DEP_1)
	v_fma_f64 v[28:29], -v[18:19], v[22:23], 0.5
	v_fmac_f64_e32 v[22:23], v[22:23], v[28:29]
	v_fmac_f64_e32 v[18:19], v[18:19], v[28:29]
	s_delay_alu instid0(VALU_DEP_2) | instskip(NEXT) | instid1(VALU_DEP_1)
	v_fma_f64 v[28:29], -v[22:23], v[22:23], v[16:17]
	v_fmac_f64_e32 v[22:23], v[28:29], v[18:19]
	s_delay_alu instid0(VALU_DEP_1) | instskip(NEXT) | instid1(VALU_DEP_1)
	v_fma_f64 v[28:29], -v[22:23], v[22:23], v[16:17]
	v_fmac_f64_e32 v[22:23], v[28:29], v[18:19]
	s_delay_alu instid0(VALU_DEP_1) | instskip(NEXT) | instid1(VALU_DEP_1)
	v_ldexp_f64 v[18:19], v[22:23], s44
	v_dual_cndmask_b32 v17, v19, v17 :: v_dual_cndmask_b32 v16, v18, v16
	s_delay_alu instid0(VALU_DEP_1) | instskip(NEXT) | instid1(VALU_DEP_1)
	v_div_scale_f64 v[18:19], null, v[16:17], v[16:17], 1.0
	v_rcp_f64_e32 v[22:23], v[18:19]
	v_nop
	s_delay_alu instid0(TRANS32_DEP_1) | instskip(NEXT) | instid1(VALU_DEP_1)
	v_fma_f64 v[28:29], -v[18:19], v[22:23], 1.0
	v_fmac_f64_e32 v[22:23], v[22:23], v[28:29]
	s_delay_alu instid0(VALU_DEP_1) | instskip(NEXT) | instid1(VALU_DEP_1)
	v_fma_f64 v[28:29], -v[18:19], v[22:23], 1.0
	v_fmac_f64_e32 v[22:23], v[22:23], v[28:29]
	v_div_scale_f64 v[28:29], vcc_lo, 1.0, v[16:17], 1.0
	s_delay_alu instid0(VALU_DEP_1) | instskip(NEXT) | instid1(VALU_DEP_1)
	v_mul_f64_e32 v[30:31], v[28:29], v[22:23]
	v_fma_f64 v[18:19], -v[18:19], v[30:31], v[28:29]
	s_delay_alu instid0(VALU_DEP_1) | instskip(NEXT) | instid1(VALU_DEP_1)
	v_div_fmas_f64 v[18:19], v[18:19], v[22:23], v[30:31]
	v_div_fixup_f64 v[16:17], v[18:19], v[16:17], 1.0
	s_delay_alu instid0(VALU_DEP_1)
	v_mul_f64_e32 v[14:15], v[14:15], v[16:17]
.LBB137_109:                            ;   in Loop: Header=BB137_11 Depth=1
	s_delay_alu instid0(VALU_DEP_1) | instskip(NEXT) | instid1(VALU_DEP_1)
	v_mul_f64_e32 v[18:19], v[2:3], v[16:17]
	v_fma_f64 v[4:5], v[4:5], v[14:15], -v[18:19]
	s_branch .LBB137_111
.LBB137_110:                            ;   in Loop: Header=BB137_11 Depth=1
	v_mov_b64_e32 v[14:15], 0
	v_mov_b64_e32 v[16:17], 1.0
.LBB137_111:                            ;   in Loop: Header=BB137_11 Depth=1
	s_clause 0x2
	global_store_b64 v7, v[4:5], s[92:93]
	global_load_b64 v[18:19], v7, s[90:91] offset:-8
	global_load_b64 v[4:5], v7, s[82:83] offset:-8
	s_cmp_eq_u32 s74, 2
	s_wait_loadcnt 0x1
	v_mul_f64_e32 v[22:23], v[14:15], v[18:19]
	s_wait_loadcnt 0x0
	s_delay_alu instid0(VALU_DEP_1)
	v_fmac_f64_e32 v[22:23], v[16:17], v[4:5]
	global_store_b64 v7, v[22:23], s[90:91] offset:-8
	s_cbranch_scc0 .LBB137_169
; %bb.112:                              ;   in Loop: Header=BB137_11 Depth=1
	s_and_b32 s24, s28, s24
	s_delay_alu instid0(SALU_CYCLE_1)
	v_cndmask_b32_e64 v21, 0, 1, s24
	s_and_not1_b32 vcc_lo, exec_lo, s24
	s_cbranch_vccz .LBB137_170
.LBB137_113:                            ;   in Loop: Header=BB137_11 Depth=1
	s_xor_b32 s24, s59, -1
	s_delay_alu instid0(SALU_CYCLE_1) | instskip(NEXT) | instid1(SALU_CYCLE_1)
	s_or_b32 s44, s104, s24
	s_and_b32 vcc_lo, exec_lo, s44
	s_cbranch_vccnz .LBB137_115
.LBB137_114:                            ;   in Loop: Header=BB137_11 Depth=1
	s_ashr_i32 s69, s68, 31
	s_wait_xcnt 0x0
	v_mov_b32_e32 v22, s74
	s_add_nc_u64 s[48:49], s[80:81], s[68:69]
	s_delay_alu instid0(SALU_CYCLE_1) | instskip(NEXT) | instid1(SALU_CYCLE_1)
	s_lshl_b64 s[48:49], s[48:49], 3
	s_add_nc_u64 s[48:49], s[76:77], s[48:49]
	s_clause 0x1
	global_store_b64 v7, v[14:15], s[48:49] offset:24
	global_store_b64 v22, v[16:17], s[48:49] offset:24 scale_offset
.LBB137_115:                            ;   in Loop: Header=BB137_11 Depth=1
	s_wait_xcnt 0x0
	v_mul_f64_e32 v[16:17], v[16:17], v[18:19]
	s_cmp_eq_u32 s56, 1
	s_mov_b32 s24, 0
	s_delay_alu instid0(VALU_DEP_1)
	v_fma_f64 v[4:5], v[14:15], v[4:5], -v[16:17]
	s_cbranch_scc1 .LBB137_148
; %bb.116:                              ;   in Loop: Header=BB137_11 Depth=1
	s_xor_b32 s52, s44, -1
	s_add_co_i32 s44, s78, s7
	s_sub_co_i32 s48, s78, s72
	s_lshl_b64 s[82:83], s[64:65], 4
	s_ashr_i32 s45, s44, 31
	v_readlane_b32 s78, v40, 2
	v_readlane_b32 s79, v40, 3
	s_add_nc_u64 s[88:89], s[82:83], s[62:63]
	s_lshl_b64 s[44:45], s[44:45], 3
	s_ashr_i32 s69, s68, 31
	s_add_nc_u64 s[76:77], s[88:89], s[44:45]
	s_lshl_b32 s49, s64, 1
	s_add_nc_u64 s[76:77], s[78:79], s[76:77]
	s_add_co_i32 s78, s49, -2
	s_add_nc_u64 s[80:81], s[86:87], s[68:69]
	s_ashr_i32 s49, s48, 31
	s_ashr_i32 s75, s74, 31
	s_add_nc_u64 s[80:81], s[80:81], s[48:49]
	s_add_nc_u64 s[44:45], s[62:63], s[44:45]
	s_lshl_b64 s[80:81], s[80:81], 3
	s_lshl_b64 s[90:91], s[74:75], 3
	s_add_nc_u64 s[86:87], s[80:81], s[84:85]
	s_add_nc_u64 s[74:75], s[20:21], s[44:45]
	s_add_nc_u64 s[44:45], s[82:83], s[84:85]
	s_add_nc_u64 s[84:85], s[22:23], s[60:61]
	s_lshl_b64 s[92:93], s[48:49], 3
	s_add_nc_u64 s[48:49], s[84:85], s[48:49]
	s_mul_u64 s[84:85], s[64:65], 24
	s_lshl_b64 s[48:49], s[48:49], 3
	s_ashr_i32 s73, s72, 31
	s_add_nc_u64 s[44:45], s[44:45], s[92:93]
	s_add_nc_u64 s[48:49], s[84:85], s[48:49]
	s_lshl_b64 s[84:85], s[72:73], 3
	s_add_nc_u64 s[80:81], s[86:87], s[90:91]
	s_add_nc_u64 s[82:83], s[46:47], s[86:87]
	;; [unrolled: 1-line block ×3, first 2 shown]
	s_sub_nc_u64 s[48:49], s[48:49], s[84:85]
	s_add_nc_u64 s[84:85], s[46:47], s[44:45]
	v_readlane_b32 s44, v40, 4
	v_readlane_b32 s45, v40, 5
	s_add_nc_u64 s[72:73], s[46:47], s[86:87]
	s_ashr_i32 s79, s78, 31
	s_xor_b32 s25, s25, -1
	s_lshl_b64 s[78:79], s[78:79], 3
	s_add_nc_u64 s[86:87], s[44:45], s[48:49]
	s_add_nc_u64 s[44:45], s[88:89], s[92:93]
	v_readlane_b32 s88, v40, 6
	v_readlane_b32 s89, v40, 7
	s_add_nc_u64 s[48:49], s[62:63], s[92:93]
	s_add_co_i32 s24, s56, -1
	s_mov_b32 s53, 1
	s_or_b64 s[78:79], s[78:79], 8
	s_add_nc_u64 s[80:81], s[46:47], s[80:81]
	s_add_nc_u64 s[88:89], s[88:89], s[44:45]
	;; [unrolled: 1-line block ×3, first 2 shown]
	s_mov_b64 s[92:93], 0
	s_branch .LBB137_118
.LBB137_117:                            ;   in Loop: Header=BB137_118 Depth=2
	s_wait_xcnt 0x0
	v_mul_f64_e32 v[16:17], v[16:17], v[18:19]
	s_add_co_i32 s53, s53, 1
	s_add_nc_u64 s[92:93], s[92:93], s[78:79]
	s_cmp_eq_u32 s56, s53
	s_delay_alu instid0(VALU_DEP_1)
	v_fma_f64 v[4:5], v[14:15], v[4:5], -v[16:17]
	s_cbranch_scc1 .LBB137_148
.LBB137_118:                            ;   Parent Loop BB137_11 Depth=1
                                        ; =>  This Inner Loop Header: Depth=2
	v_cmp_eq_f64_e32 vcc_lo, 0, v[2:3]
	s_cbranch_vccnz .LBB137_122
; %bb.119:                              ;   in Loop: Header=BB137_118 Depth=2
	s_delay_alu instid0(VALU_DEP_2)
	v_cmp_neq_f64_e32 vcc_lo, 0, v[4:5]
	s_cbranch_vccz .LBB137_123
; %bb.120:                              ;   in Loop: Header=BB137_118 Depth=2
	v_cmp_ngt_f64_e64 s44, |v[2:3]|, |v[4:5]|
	s_and_b32 vcc_lo, exec_lo, s44
	s_cbranch_vccz .LBB137_124
; %bb.121:                              ;   in Loop: Header=BB137_118 Depth=2
	v_div_scale_f64 v[14:15], null, v[4:5], v[4:5], -v[2:3]
	v_div_scale_f64 v[22:23], vcc_lo, -v[2:3], v[4:5], -v[2:3]
	s_delay_alu instid0(VALU_DEP_2) | instskip(SKIP_1) | instid1(TRANS32_DEP_1)
	v_rcp_f64_e32 v[16:17], v[14:15]
	v_nop
	v_fma_f64 v[18:19], -v[14:15], v[16:17], 1.0
	s_delay_alu instid0(VALU_DEP_1) | instskip(NEXT) | instid1(VALU_DEP_1)
	v_fmac_f64_e32 v[16:17], v[16:17], v[18:19]
	v_fma_f64 v[18:19], -v[14:15], v[16:17], 1.0
	s_delay_alu instid0(VALU_DEP_1) | instskip(NEXT) | instid1(VALU_DEP_1)
	v_fmac_f64_e32 v[16:17], v[16:17], v[18:19]
	v_mul_f64_e32 v[18:19], v[22:23], v[16:17]
	s_delay_alu instid0(VALU_DEP_1) | instskip(NEXT) | instid1(VALU_DEP_1)
	v_fma_f64 v[14:15], -v[14:15], v[18:19], v[22:23]
	v_div_fmas_f64 v[14:15], v[14:15], v[16:17], v[18:19]
	s_delay_alu instid0(VALU_DEP_1) | instskip(NEXT) | instid1(VALU_DEP_1)
	v_div_fixup_f64 v[16:17], v[14:15], v[4:5], -v[2:3]
	v_fma_f64 v[14:15], v[16:17], v[16:17], 1.0
	s_delay_alu instid0(VALU_DEP_1) | instskip(SKIP_2) | instid1(SALU_CYCLE_1)
	v_cmp_gt_f64_e32 vcc_lo, 0x10000000, v[14:15]
	s_and_b32 s44, vcc_lo, exec_lo
	s_cselect_b32 s44, 0x100, 0
	v_ldexp_f64 v[14:15], v[14:15], s44
	s_cselect_b32 s44, 0xffffff80, 0
	s_delay_alu instid0(VALU_DEP_1) | instskip(SKIP_1) | instid1(TRANS32_DEP_1)
	v_rsq_f64_e32 v[18:19], v[14:15]
	v_cmp_class_f64_e64 vcc_lo, v[14:15], 0x260
	v_mul_f64_e32 v[22:23], v[14:15], v[18:19]
	v_mul_f64_e32 v[18:19], 0.5, v[18:19]
	s_delay_alu instid0(VALU_DEP_1) | instskip(NEXT) | instid1(VALU_DEP_1)
	v_fma_f64 v[28:29], -v[18:19], v[22:23], 0.5
	v_fmac_f64_e32 v[22:23], v[22:23], v[28:29]
	v_fmac_f64_e32 v[18:19], v[18:19], v[28:29]
	s_delay_alu instid0(VALU_DEP_2) | instskip(NEXT) | instid1(VALU_DEP_1)
	v_fma_f64 v[28:29], -v[22:23], v[22:23], v[14:15]
	v_fmac_f64_e32 v[22:23], v[28:29], v[18:19]
	s_delay_alu instid0(VALU_DEP_1) | instskip(NEXT) | instid1(VALU_DEP_1)
	v_fma_f64 v[28:29], -v[22:23], v[22:23], v[14:15]
	v_fmac_f64_e32 v[22:23], v[28:29], v[18:19]
	s_delay_alu instid0(VALU_DEP_1) | instskip(NEXT) | instid1(VALU_DEP_1)
	v_ldexp_f64 v[18:19], v[22:23], s44
	v_dual_cndmask_b32 v15, v19, v15 :: v_dual_cndmask_b32 v14, v18, v14
	s_delay_alu instid0(VALU_DEP_1) | instskip(NEXT) | instid1(VALU_DEP_1)
	v_div_scale_f64 v[18:19], null, v[14:15], v[14:15], 1.0
	v_rcp_f64_e32 v[22:23], v[18:19]
	v_nop
	s_delay_alu instid0(TRANS32_DEP_1) | instskip(NEXT) | instid1(VALU_DEP_1)
	v_fma_f64 v[28:29], -v[18:19], v[22:23], 1.0
	v_fmac_f64_e32 v[22:23], v[22:23], v[28:29]
	s_delay_alu instid0(VALU_DEP_1) | instskip(NEXT) | instid1(VALU_DEP_1)
	v_fma_f64 v[28:29], -v[18:19], v[22:23], 1.0
	v_fmac_f64_e32 v[22:23], v[22:23], v[28:29]
	v_div_scale_f64 v[28:29], vcc_lo, 1.0, v[14:15], 1.0
	s_delay_alu instid0(VALU_DEP_1) | instskip(NEXT) | instid1(VALU_DEP_1)
	v_mul_f64_e32 v[30:31], v[28:29], v[22:23]
	v_fma_f64 v[18:19], -v[18:19], v[30:31], v[28:29]
	s_delay_alu instid0(VALU_DEP_1) | instskip(NEXT) | instid1(VALU_DEP_1)
	v_div_fmas_f64 v[18:19], v[18:19], v[22:23], v[30:31]
	v_div_fixup_f64 v[14:15], v[18:19], v[14:15], 1.0
	s_delay_alu instid0(VALU_DEP_1)
	v_mul_f64_e32 v[16:17], v[16:17], v[14:15]
	s_cbranch_execz .LBB137_125
	s_branch .LBB137_126
.LBB137_122:                            ;   in Loop: Header=BB137_118 Depth=2
	v_mov_b64_e32 v[14:15], 1.0
	v_mov_b64_e32 v[16:17], 0
	s_branch .LBB137_128
.LBB137_123:                            ;   in Loop: Header=BB137_118 Depth=2
	v_xor_b32_e32 v3, 0x80000000, v3
                                        ; implicit-def: $vgpr14_vgpr15
                                        ; implicit-def: $vgpr16_vgpr17
	s_delay_alu instid0(VALU_DEP_1)
	v_mov_b64_e32 v[4:5], v[2:3]
	s_cbranch_execnz .LBB137_127
	s_branch .LBB137_128
.LBB137_124:                            ;   in Loop: Header=BB137_118 Depth=2
                                        ; implicit-def: $vgpr14_vgpr15
                                        ; implicit-def: $vgpr16_vgpr17
.LBB137_125:                            ;   in Loop: Header=BB137_118 Depth=2
	v_div_scale_f64 v[14:15], null, v[2:3], v[2:3], -v[4:5]
	v_div_scale_f64 v[22:23], vcc_lo, -v[4:5], v[2:3], -v[4:5]
	s_delay_alu instid0(VALU_DEP_2) | instskip(SKIP_1) | instid1(TRANS32_DEP_1)
	v_rcp_f64_e32 v[16:17], v[14:15]
	v_nop
	v_fma_f64 v[18:19], -v[14:15], v[16:17], 1.0
	s_delay_alu instid0(VALU_DEP_1) | instskip(NEXT) | instid1(VALU_DEP_1)
	v_fmac_f64_e32 v[16:17], v[16:17], v[18:19]
	v_fma_f64 v[18:19], -v[14:15], v[16:17], 1.0
	s_delay_alu instid0(VALU_DEP_1) | instskip(NEXT) | instid1(VALU_DEP_1)
	v_fmac_f64_e32 v[16:17], v[16:17], v[18:19]
	v_mul_f64_e32 v[18:19], v[22:23], v[16:17]
	s_delay_alu instid0(VALU_DEP_1) | instskip(NEXT) | instid1(VALU_DEP_1)
	v_fma_f64 v[14:15], -v[14:15], v[18:19], v[22:23]
	v_div_fmas_f64 v[14:15], v[14:15], v[16:17], v[18:19]
	s_delay_alu instid0(VALU_DEP_1) | instskip(NEXT) | instid1(VALU_DEP_1)
	v_div_fixup_f64 v[14:15], v[14:15], v[2:3], -v[4:5]
	v_fma_f64 v[16:17], v[14:15], v[14:15], 1.0
	s_delay_alu instid0(VALU_DEP_1) | instskip(SKIP_2) | instid1(SALU_CYCLE_1)
	v_cmp_gt_f64_e32 vcc_lo, 0x10000000, v[16:17]
	s_and_b32 s44, vcc_lo, exec_lo
	s_cselect_b32 s44, 0x100, 0
	v_ldexp_f64 v[16:17], v[16:17], s44
	s_cselect_b32 s44, 0xffffff80, 0
	s_delay_alu instid0(VALU_DEP_1) | instskip(SKIP_1) | instid1(TRANS32_DEP_1)
	v_rsq_f64_e32 v[18:19], v[16:17]
	v_cmp_class_f64_e64 vcc_lo, v[16:17], 0x260
	v_mul_f64_e32 v[22:23], v[16:17], v[18:19]
	v_mul_f64_e32 v[18:19], 0.5, v[18:19]
	s_delay_alu instid0(VALU_DEP_1) | instskip(NEXT) | instid1(VALU_DEP_1)
	v_fma_f64 v[28:29], -v[18:19], v[22:23], 0.5
	v_fmac_f64_e32 v[22:23], v[22:23], v[28:29]
	v_fmac_f64_e32 v[18:19], v[18:19], v[28:29]
	s_delay_alu instid0(VALU_DEP_2) | instskip(NEXT) | instid1(VALU_DEP_1)
	v_fma_f64 v[28:29], -v[22:23], v[22:23], v[16:17]
	v_fmac_f64_e32 v[22:23], v[28:29], v[18:19]
	s_delay_alu instid0(VALU_DEP_1) | instskip(NEXT) | instid1(VALU_DEP_1)
	v_fma_f64 v[28:29], -v[22:23], v[22:23], v[16:17]
	v_fmac_f64_e32 v[22:23], v[28:29], v[18:19]
	s_delay_alu instid0(VALU_DEP_1) | instskip(NEXT) | instid1(VALU_DEP_1)
	v_ldexp_f64 v[18:19], v[22:23], s44
	v_dual_cndmask_b32 v17, v19, v17 :: v_dual_cndmask_b32 v16, v18, v16
	s_delay_alu instid0(VALU_DEP_1) | instskip(NEXT) | instid1(VALU_DEP_1)
	v_div_scale_f64 v[18:19], null, v[16:17], v[16:17], 1.0
	v_rcp_f64_e32 v[22:23], v[18:19]
	v_nop
	s_delay_alu instid0(TRANS32_DEP_1) | instskip(NEXT) | instid1(VALU_DEP_1)
	v_fma_f64 v[28:29], -v[18:19], v[22:23], 1.0
	v_fmac_f64_e32 v[22:23], v[22:23], v[28:29]
	s_delay_alu instid0(VALU_DEP_1) | instskip(NEXT) | instid1(VALU_DEP_1)
	v_fma_f64 v[28:29], -v[18:19], v[22:23], 1.0
	v_fmac_f64_e32 v[22:23], v[22:23], v[28:29]
	v_div_scale_f64 v[28:29], vcc_lo, 1.0, v[16:17], 1.0
	s_delay_alu instid0(VALU_DEP_1) | instskip(NEXT) | instid1(VALU_DEP_1)
	v_mul_f64_e32 v[30:31], v[28:29], v[22:23]
	v_fma_f64 v[18:19], -v[18:19], v[30:31], v[28:29]
	s_delay_alu instid0(VALU_DEP_1) | instskip(NEXT) | instid1(VALU_DEP_1)
	v_div_fmas_f64 v[18:19], v[18:19], v[22:23], v[30:31]
	v_div_fixup_f64 v[16:17], v[18:19], v[16:17], 1.0
	s_delay_alu instid0(VALU_DEP_1)
	v_mul_f64_e32 v[14:15], v[14:15], v[16:17]
.LBB137_126:                            ;   in Loop: Header=BB137_118 Depth=2
	s_delay_alu instid0(VALU_DEP_1) | instskip(NEXT) | instid1(VALU_DEP_1)
	v_mul_f64_e32 v[2:3], v[2:3], v[16:17]
	v_fma_f64 v[4:5], v[4:5], v[14:15], -v[2:3]
	s_branch .LBB137_128
.LBB137_127:                            ;   in Loop: Header=BB137_118 Depth=2
	v_mov_b64_e32 v[14:15], 0
	v_mov_b64_e32 v[16:17], 1.0
.LBB137_128:                            ;   in Loop: Header=BB137_118 Depth=2
	s_add_nc_u64 s[44:45], s[90:91], s[92:93]
	s_add_nc_u64 s[102:103], s[88:89], s[92:93]
	s_clause 0x1
	global_store_b64 v7, v[4:5], s[44:45]
	global_load_b64 v[18:19], v7, s[102:103]
	s_add_nc_u64 s[48:49], s[74:75], s[92:93]
	s_wait_xcnt 0x1
	s_add_nc_u64 s[44:45], s[76:77], s[92:93]
	global_load_b64 v[4:5], v7, s[48:49]
	v_cmp_ne_u32_e32 vcc_lo, 1, v20
	s_add_nc_u64 s[94:95], s[84:85], s[92:93]
	s_add_nc_u64 s[96:97], s[72:73], s[92:93]
	s_and_b32 vcc_lo, exec_lo, vcc_lo
	s_wait_loadcnt 0x1
	v_mul_f64_e32 v[2:3], v[14:15], v[18:19]
	s_wait_loadcnt 0x0
	s_delay_alu instid0(VALU_DEP_1)
	v_fmac_f64_e32 v[2:3], v[16:17], v[4:5]
	s_clause 0x1
	global_store_b64 v7, v[2:3], s[102:103]
	global_load_b64 v[2:3], v7, s[44:45]
	s_wait_loadcnt 0x0
	v_mul_f64_e32 v[22:23], v[14:15], v[2:3]
	global_store_b64 v7, v[22:23], s[44:45]
	s_cbranch_vccnz .LBB137_130
; %bb.129:                              ;   in Loop: Header=BB137_118 Depth=2
	s_clause 0x1
	global_store_b64 v7, v[14:15], s[94:95]
	global_store_b64 v7, v[16:17], s[96:97]
.LBB137_130:                            ;   in Loop: Header=BB137_118 Depth=2
	s_and_not1_b32 vcc_lo, exec_lo, s25
	s_add_nc_u64 s[98:99], s[82:83], s[92:93]
	s_add_nc_u64 s[100:101], s[80:81], s[92:93]
	s_cbranch_vccnz .LBB137_132
; %bb.131:                              ;   in Loop: Header=BB137_118 Depth=2
	s_clause 0x1
	global_store_b64 v7, v[14:15], s[98:99]
	global_store_b64 v7, v[16:17], s[100:101]
.LBB137_132:                            ;   in Loop: Header=BB137_118 Depth=2
	v_mul_f64_e64 v[2:3], v[2:3], -v[16:17]
	s_wait_xcnt 0x0
	v_mul_f64_e32 v[16:17], v[16:17], v[18:19]
	s_delay_alu instid0(VALU_DEP_2) | instskip(NEXT) | instid1(VALU_DEP_2)
	v_cmp_eq_f64_e32 vcc_lo, 0, v[2:3]
	v_fma_f64 v[4:5], v[14:15], v[4:5], -v[16:17]
	s_cbranch_vccnz .LBB137_136
; %bb.133:                              ;   in Loop: Header=BB137_118 Depth=2
	s_delay_alu instid0(VALU_DEP_1)
	v_cmp_neq_f64_e32 vcc_lo, 0, v[4:5]
	s_cbranch_vccz .LBB137_137
; %bb.134:                              ;   in Loop: Header=BB137_118 Depth=2
	v_cmp_ngt_f64_e64 s65, |v[2:3]|, |v[4:5]|
	s_and_b32 vcc_lo, exec_lo, s65
	s_cbranch_vccz .LBB137_138
; %bb.135:                              ;   in Loop: Header=BB137_118 Depth=2
	v_div_scale_f64 v[14:15], null, v[4:5], v[4:5], -v[2:3]
	v_div_scale_f64 v[22:23], vcc_lo, -v[2:3], v[4:5], -v[2:3]
	s_delay_alu instid0(VALU_DEP_2) | instskip(SKIP_1) | instid1(TRANS32_DEP_1)
	v_rcp_f64_e32 v[16:17], v[14:15]
	v_nop
	v_fma_f64 v[18:19], -v[14:15], v[16:17], 1.0
	s_delay_alu instid0(VALU_DEP_1) | instskip(NEXT) | instid1(VALU_DEP_1)
	v_fmac_f64_e32 v[16:17], v[16:17], v[18:19]
	v_fma_f64 v[18:19], -v[14:15], v[16:17], 1.0
	s_delay_alu instid0(VALU_DEP_1) | instskip(NEXT) | instid1(VALU_DEP_1)
	v_fmac_f64_e32 v[16:17], v[16:17], v[18:19]
	v_mul_f64_e32 v[18:19], v[22:23], v[16:17]
	s_delay_alu instid0(VALU_DEP_1) | instskip(NEXT) | instid1(VALU_DEP_1)
	v_fma_f64 v[14:15], -v[14:15], v[18:19], v[22:23]
	v_div_fmas_f64 v[14:15], v[14:15], v[16:17], v[18:19]
	s_delay_alu instid0(VALU_DEP_1) | instskip(NEXT) | instid1(VALU_DEP_1)
	v_div_fixup_f64 v[16:17], v[14:15], v[4:5], -v[2:3]
	v_fma_f64 v[14:15], v[16:17], v[16:17], 1.0
	s_delay_alu instid0(VALU_DEP_1) | instskip(SKIP_2) | instid1(SALU_CYCLE_1)
	v_cmp_gt_f64_e32 vcc_lo, 0x10000000, v[14:15]
	s_and_b32 s65, vcc_lo, exec_lo
	s_cselect_b32 s65, 0x100, 0
	v_ldexp_f64 v[14:15], v[14:15], s65
	s_cselect_b32 s65, 0xffffff80, 0
	s_delay_alu instid0(VALU_DEP_1) | instskip(SKIP_1) | instid1(TRANS32_DEP_1)
	v_rsq_f64_e32 v[18:19], v[14:15]
	v_cmp_class_f64_e64 vcc_lo, v[14:15], 0x260
	v_mul_f64_e32 v[22:23], v[14:15], v[18:19]
	v_mul_f64_e32 v[18:19], 0.5, v[18:19]
	s_delay_alu instid0(VALU_DEP_1) | instskip(NEXT) | instid1(VALU_DEP_1)
	v_fma_f64 v[28:29], -v[18:19], v[22:23], 0.5
	v_fmac_f64_e32 v[22:23], v[22:23], v[28:29]
	v_fmac_f64_e32 v[18:19], v[18:19], v[28:29]
	s_delay_alu instid0(VALU_DEP_2) | instskip(NEXT) | instid1(VALU_DEP_1)
	v_fma_f64 v[28:29], -v[22:23], v[22:23], v[14:15]
	v_fmac_f64_e32 v[22:23], v[28:29], v[18:19]
	s_delay_alu instid0(VALU_DEP_1) | instskip(NEXT) | instid1(VALU_DEP_1)
	v_fma_f64 v[28:29], -v[22:23], v[22:23], v[14:15]
	v_fmac_f64_e32 v[22:23], v[28:29], v[18:19]
	s_delay_alu instid0(VALU_DEP_1) | instskip(NEXT) | instid1(VALU_DEP_1)
	v_ldexp_f64 v[18:19], v[22:23], s65
	v_dual_cndmask_b32 v15, v19, v15 :: v_dual_cndmask_b32 v14, v18, v14
	s_delay_alu instid0(VALU_DEP_1) | instskip(NEXT) | instid1(VALU_DEP_1)
	v_div_scale_f64 v[18:19], null, v[14:15], v[14:15], 1.0
	v_rcp_f64_e32 v[22:23], v[18:19]
	v_nop
	s_delay_alu instid0(TRANS32_DEP_1) | instskip(NEXT) | instid1(VALU_DEP_1)
	v_fma_f64 v[28:29], -v[18:19], v[22:23], 1.0
	v_fmac_f64_e32 v[22:23], v[22:23], v[28:29]
	s_delay_alu instid0(VALU_DEP_1) | instskip(NEXT) | instid1(VALU_DEP_1)
	v_fma_f64 v[28:29], -v[18:19], v[22:23], 1.0
	v_fmac_f64_e32 v[22:23], v[22:23], v[28:29]
	v_div_scale_f64 v[28:29], vcc_lo, 1.0, v[14:15], 1.0
	s_delay_alu instid0(VALU_DEP_1) | instskip(NEXT) | instid1(VALU_DEP_1)
	v_mul_f64_e32 v[30:31], v[28:29], v[22:23]
	v_fma_f64 v[18:19], -v[18:19], v[30:31], v[28:29]
	s_delay_alu instid0(VALU_DEP_1) | instskip(NEXT) | instid1(VALU_DEP_1)
	v_div_fmas_f64 v[18:19], v[18:19], v[22:23], v[30:31]
	v_div_fixup_f64 v[14:15], v[18:19], v[14:15], 1.0
	s_delay_alu instid0(VALU_DEP_1)
	v_mul_f64_e32 v[16:17], v[16:17], v[14:15]
	s_cbranch_execz .LBB137_139
	s_branch .LBB137_140
.LBB137_136:                            ;   in Loop: Header=BB137_118 Depth=2
	v_mov_b64_e32 v[14:15], 1.0
	v_mov_b64_e32 v[16:17], 0
	s_branch .LBB137_142
.LBB137_137:                            ;   in Loop: Header=BB137_118 Depth=2
	v_xor_b32_e32 v5, 0x80000000, v3
	v_mov_b32_e32 v4, v2
                                        ; implicit-def: $vgpr14_vgpr15
                                        ; implicit-def: $vgpr16_vgpr17
	s_cbranch_execnz .LBB137_141
	s_branch .LBB137_142
.LBB137_138:                            ;   in Loop: Header=BB137_118 Depth=2
                                        ; implicit-def: $vgpr14_vgpr15
                                        ; implicit-def: $vgpr16_vgpr17
.LBB137_139:                            ;   in Loop: Header=BB137_118 Depth=2
	v_div_scale_f64 v[14:15], null, v[2:3], v[2:3], -v[4:5]
	v_div_scale_f64 v[22:23], vcc_lo, -v[4:5], v[2:3], -v[4:5]
	s_delay_alu instid0(VALU_DEP_2) | instskip(SKIP_1) | instid1(TRANS32_DEP_1)
	v_rcp_f64_e32 v[16:17], v[14:15]
	v_nop
	v_fma_f64 v[18:19], -v[14:15], v[16:17], 1.0
	s_delay_alu instid0(VALU_DEP_1) | instskip(NEXT) | instid1(VALU_DEP_1)
	v_fmac_f64_e32 v[16:17], v[16:17], v[18:19]
	v_fma_f64 v[18:19], -v[14:15], v[16:17], 1.0
	s_delay_alu instid0(VALU_DEP_1) | instskip(NEXT) | instid1(VALU_DEP_1)
	v_fmac_f64_e32 v[16:17], v[16:17], v[18:19]
	v_mul_f64_e32 v[18:19], v[22:23], v[16:17]
	s_delay_alu instid0(VALU_DEP_1) | instskip(NEXT) | instid1(VALU_DEP_1)
	v_fma_f64 v[14:15], -v[14:15], v[18:19], v[22:23]
	v_div_fmas_f64 v[14:15], v[14:15], v[16:17], v[18:19]
	s_delay_alu instid0(VALU_DEP_1) | instskip(NEXT) | instid1(VALU_DEP_1)
	v_div_fixup_f64 v[14:15], v[14:15], v[2:3], -v[4:5]
	v_fma_f64 v[16:17], v[14:15], v[14:15], 1.0
	s_delay_alu instid0(VALU_DEP_1) | instskip(SKIP_2) | instid1(SALU_CYCLE_1)
	v_cmp_gt_f64_e32 vcc_lo, 0x10000000, v[16:17]
	s_and_b32 s65, vcc_lo, exec_lo
	s_cselect_b32 s65, 0x100, 0
	v_ldexp_f64 v[16:17], v[16:17], s65
	s_cselect_b32 s65, 0xffffff80, 0
	s_delay_alu instid0(VALU_DEP_1) | instskip(SKIP_1) | instid1(TRANS32_DEP_1)
	v_rsq_f64_e32 v[18:19], v[16:17]
	v_cmp_class_f64_e64 vcc_lo, v[16:17], 0x260
	v_mul_f64_e32 v[22:23], v[16:17], v[18:19]
	v_mul_f64_e32 v[18:19], 0.5, v[18:19]
	s_delay_alu instid0(VALU_DEP_1) | instskip(NEXT) | instid1(VALU_DEP_1)
	v_fma_f64 v[28:29], -v[18:19], v[22:23], 0.5
	v_fmac_f64_e32 v[22:23], v[22:23], v[28:29]
	v_fmac_f64_e32 v[18:19], v[18:19], v[28:29]
	s_delay_alu instid0(VALU_DEP_2) | instskip(NEXT) | instid1(VALU_DEP_1)
	v_fma_f64 v[28:29], -v[22:23], v[22:23], v[16:17]
	v_fmac_f64_e32 v[22:23], v[28:29], v[18:19]
	s_delay_alu instid0(VALU_DEP_1) | instskip(NEXT) | instid1(VALU_DEP_1)
	v_fma_f64 v[28:29], -v[22:23], v[22:23], v[16:17]
	v_fmac_f64_e32 v[22:23], v[28:29], v[18:19]
	s_delay_alu instid0(VALU_DEP_1) | instskip(NEXT) | instid1(VALU_DEP_1)
	v_ldexp_f64 v[18:19], v[22:23], s65
	v_dual_cndmask_b32 v17, v19, v17 :: v_dual_cndmask_b32 v16, v18, v16
	s_delay_alu instid0(VALU_DEP_1) | instskip(NEXT) | instid1(VALU_DEP_1)
	v_div_scale_f64 v[18:19], null, v[16:17], v[16:17], 1.0
	v_rcp_f64_e32 v[22:23], v[18:19]
	v_nop
	s_delay_alu instid0(TRANS32_DEP_1) | instskip(NEXT) | instid1(VALU_DEP_1)
	v_fma_f64 v[28:29], -v[18:19], v[22:23], 1.0
	v_fmac_f64_e32 v[22:23], v[22:23], v[28:29]
	s_delay_alu instid0(VALU_DEP_1) | instskip(NEXT) | instid1(VALU_DEP_1)
	v_fma_f64 v[28:29], -v[18:19], v[22:23], 1.0
	v_fmac_f64_e32 v[22:23], v[22:23], v[28:29]
	v_div_scale_f64 v[28:29], vcc_lo, 1.0, v[16:17], 1.0
	s_delay_alu instid0(VALU_DEP_1) | instskip(NEXT) | instid1(VALU_DEP_1)
	v_mul_f64_e32 v[30:31], v[28:29], v[22:23]
	v_fma_f64 v[18:19], -v[18:19], v[30:31], v[28:29]
	s_delay_alu instid0(VALU_DEP_1) | instskip(NEXT) | instid1(VALU_DEP_1)
	v_div_fmas_f64 v[18:19], v[18:19], v[22:23], v[30:31]
	v_div_fixup_f64 v[16:17], v[18:19], v[16:17], 1.0
	s_delay_alu instid0(VALU_DEP_1)
	v_mul_f64_e32 v[14:15], v[14:15], v[16:17]
.LBB137_140:                            ;   in Loop: Header=BB137_118 Depth=2
	s_delay_alu instid0(VALU_DEP_1) | instskip(NEXT) | instid1(VALU_DEP_1)
	v_mul_f64_e32 v[18:19], v[2:3], v[16:17]
	v_fma_f64 v[4:5], v[4:5], v[14:15], -v[18:19]
	s_branch .LBB137_142
.LBB137_141:                            ;   in Loop: Header=BB137_118 Depth=2
	v_mov_b64_e32 v[14:15], 0
	v_mov_b64_e32 v[16:17], 1.0
.LBB137_142:                            ;   in Loop: Header=BB137_118 Depth=2
	s_clause 0x2
	global_store_b64 v7, v[4:5], s[48:49]
	global_load_b64 v[18:19], v7, s[44:45]
	global_load_b64 v[4:5], v7, s[102:103]
	s_cmp_ge_i32 s53, s24
	s_wait_loadcnt 0x1
	v_mul_f64_e32 v[22:23], v[14:15], v[18:19]
	s_wait_loadcnt 0x0
	s_delay_alu instid0(VALU_DEP_1)
	v_fmac_f64_e32 v[22:23], v[16:17], v[4:5]
	global_store_b64 v7, v[22:23], s[44:45]
	s_cbranch_scc0 .LBB137_145
; %bb.143:                              ;   in Loop: Header=BB137_118 Depth=2
	v_cmp_ne_u32_e32 vcc_lo, 1, v21
	s_cbranch_vccz .LBB137_146
.LBB137_144:                            ;   in Loop: Header=BB137_118 Depth=2
	s_and_not1_b32 vcc_lo, exec_lo, s52
	s_cbranch_vccnz .LBB137_117
	s_branch .LBB137_147
.LBB137_145:                            ;   in Loop: Header=BB137_118 Depth=2
	s_wait_xcnt 0x0
	s_add_nc_u64 s[44:45], s[86:87], s[92:93]
	global_load_b64 v[2:3], v7, s[44:45]
	s_wait_loadcnt 0x0
	v_mul_f64_e32 v[22:23], v[14:15], v[2:3]
	v_mul_f64_e64 v[2:3], v[2:3], -v[16:17]
	global_store_b64 v7, v[22:23], s[44:45]
	v_cmp_ne_u32_e32 vcc_lo, 1, v21
	s_cbranch_vccnz .LBB137_144
.LBB137_146:                            ;   in Loop: Header=BB137_118 Depth=2
	s_clause 0x1
	global_store_b64 v7, v[14:15], s[94:95]
	global_store_b64 v7, v[16:17], s[96:97]
	s_and_not1_b32 vcc_lo, exec_lo, s52
	s_cbranch_vccnz .LBB137_117
.LBB137_147:                            ;   in Loop: Header=BB137_118 Depth=2
	s_clause 0x1
	global_store_b64 v7, v[14:15], s[98:99]
	global_store_b64 v7, v[16:17], s[100:101]
	s_branch .LBB137_117
.LBB137_148:                            ;   in Loop: Header=BB137_11 Depth=1
	s_and_b32 s25, s59, exec_lo
	s_cselect_b32 s24, s24, 0
	s_delay_alu instid0(SALU_CYCLE_1)
	v_mov_b32_e32 v2, s24
	global_store_b64 v2, v[4:5], s[70:71] scale_offset
.LBB137_149:                            ;   in Loop: Header=BB137_11 Depth=1
	s_wait_xcnt 0x0
	s_or_b32 exec_lo, exec_lo, s57
	s_delay_alu instid0(SALU_CYCLE_1)
	s_and_not1_b32 vcc_lo, exec_lo, vcc_hi
	s_wait_storecnt 0x0
	s_barrier_signal -1
	s_barrier_wait -1
	s_cbranch_vccz .LBB137_152
; %bb.150:                              ;   in Loop: Header=BB137_11 Depth=1
	s_and_not1_b32 vcc_lo, exec_lo, s50
	s_cbranch_vccz .LBB137_158
.LBB137_151:                            ;   in Loop: Header=BB137_11 Depth=1
	s_and_not1_b32 vcc_lo, exec_lo, s51
	s_cbranch_vccnz .LBB137_10
	s_branch .LBB137_164
.LBB137_152:                            ;   in Loop: Header=BB137_11 Depth=1
	s_and_saveexec_b32 s24, s0
	s_cbranch_execz .LBB137_157
; %bb.153:                              ;   in Loop: Header=BB137_11 Depth=1
	s_load_b32 s57, s[42:43], 0xc
	v_readlane_b32 s70, v40, 8
	v_readlane_b32 s71, v40, 9
	s_lshl_b64 s[48:49], s[60:61], 4
	s_add_co_i32 s52, s56, -1
	s_cmp_eq_u32 s64, 0
	s_add_nc_u64 s[44:45], s[36:37], s[48:49]
	s_add_nc_u64 s[48:49], s[70:71], s[48:49]
	s_cselect_b32 s70, s56, 0
	s_cselect_b32 s78, s52, 0
	s_lshl_b32 s69, s64, 1
	s_ashr_i32 s59, s58, 31
	s_ashr_i32 s65, s64, 31
	s_add_co_i32 s80, s69, -2
	s_lshl_b64 s[82:83], s[58:59], 3
	s_ashr_i32 s79, s78, 31
	s_lshl_b64 s[52:53], s[64:65], 1
	s_ashr_i32 s71, s70, 31
	s_ashr_i32 s81, s80, 31
	s_sub_nc_u64 s[82:83], s[82:83], s[62:63]
	s_lshl_b64 s[84:85], s[78:79], 3
	s_lshl_b64 s[86:87], s[66:67], 3
	v_dual_add_nc_u32 v14, s70, v24 :: v_dual_mov_b32 v16, v24
	v_mov_b32_e32 v27, v0
	s_add_nc_u64 s[72:73], s[52:53], s[70:71]
	s_lshl_b64 s[76:77], s[80:81], 4
	s_wait_kmcnt 0x0
	s_and_b32 s52, s57, 0xffff
	s_add_nc_u64 s[78:79], s[82:83], 40
	s_add_nc_u64 s[82:83], s[84:85], s[86:87]
	s_lshl_b64 s[84:85], s[80:81], 3
	s_mov_b32 s25, 0
	s_or_b64 s[74:75], s[80:81], 1
	s_or_b64 s[76:77], s[76:77], 16
	s_mul_i32 s53, s11, s52
	s_add_nc_u64 s[80:81], s[18:19], s[82:83]
	s_or_b64 s[82:83], s[84:85], 8
.LBB137_154:                            ;   Parent Loop BB137_11 Depth=1
                                        ; =>  This Loop Header: Depth=2
                                        ;       Child Loop BB137_155 Depth 3
	v_mad_u32 v2, v27, s11, s70
	v_dual_ashrrev_i32 v17, 31, v16 :: v_dual_ashrrev_i32 v15, 31, v14
	s_mov_b64 s[84:85], s[80:81]
	s_mov_b32 s57, s56
	s_delay_alu instid0(VALU_DEP_1) | instskip(NEXT) | instid1(VALU_DEP_2)
	v_add_nc_u64_e32 v[18:19], s[72:73], v[16:17]
	v_lshl_add_u64 v[20:21], v[14:15], 4, s[48:49]
	global_load_b128 v[2:5], v2, s[44:45] scale_offset
.LBB137_155:                            ;   Parent Loop BB137_11 Depth=1
                                        ;     Parent Loop BB137_154 Depth=2
                                        ; =>    This Inner Loop Header: Depth=3
	v_lshl_add_u64 v[22:23], v[18:19], 4, s[44:45]
	s_add_nc_u64 s[86:87], s[84:85], s[78:79]
	v_add_nc_u64_e32 v[18:19], s[74:75], v[18:19]
	s_clause 0x1
	global_load_b64 v[36:37], v7, s[84:85] offset:32
	global_load_b64 v[38:39], v7, s[86:87]
	global_load_b128 v[28:31], v[22:23], off offset:-16
	s_add_co_i32 s57, s57, -1
	s_wait_xcnt 0x2
	s_add_nc_u64 s[84:85], s[84:85], s[82:83]
	s_cmp_eq_u32 s57, 0
	s_wait_loadcnt 0x0
	v_mul_f64_e32 v[32:33], v[28:29], v[38:39]
	v_mul_f64_e32 v[34:35], v[30:31], v[38:39]
	s_delay_alu instid0(VALU_DEP_2) | instskip(NEXT) | instid1(VALU_DEP_2)
	v_fma_f64 v[32:33], v[2:3], v[36:37], -v[32:33]
	v_fma_f64 v[34:35], v[4:5], v[36:37], -v[34:35]
	v_mul_f64_e32 v[2:3], v[2:3], v[38:39]
	v_mul_f64_e32 v[4:5], v[4:5], v[38:39]
	global_store_b128 v[20:21], v[32:35], off offset:-8
	v_fmac_f64_e32 v[2:3], v[28:29], v[36:37]
	v_fmac_f64_e32 v[4:5], v[30:31], v[36:37]
	s_wait_xcnt 0x0
	v_add_nc_u64_e32 v[20:21], s[76:77], v[20:21]
	s_cbranch_scc0 .LBB137_155
; %bb.156:                              ;   in Loop: Header=BB137_154 Depth=2
	v_dual_add_nc_u32 v27, s52, v27 :: v_dual_add_nc_u32 v16, s53, v16
	v_add_nc_u32_e32 v14, s53, v14
	global_store_b128 v[22:23], v[2:5], off offset:-16
	v_cmp_le_i32_e32 vcc_lo, s29, v27
	s_or_b32 s25, vcc_lo, s25
	s_wait_xcnt 0x0
	s_and_not1_b32 exec_lo, exec_lo, s25
	s_cbranch_execnz .LBB137_154
.LBB137_157:                            ;   in Loop: Header=BB137_11 Depth=1
	s_or_b32 exec_lo, exec_lo, s24
	s_delay_alu instid0(SALU_CYCLE_1)
	s_and_not1_b32 vcc_lo, exec_lo, s50
	s_cbranch_vccnz .LBB137_151
.LBB137_158:                            ;   in Loop: Header=BB137_11 Depth=1
	s_and_saveexec_b32 s24, s1
	s_cbranch_execz .LBB137_163
; %bb.159:                              ;   in Loop: Header=BB137_11 Depth=1
	s_mul_i32 s44, s60, s9
	s_load_b32 s53, s[42:43], 0xc
	s_ashr_i32 s45, s44, 31
	s_add_co_i32 s48, s56, -1
	s_lshl_b64 s[44:45], s[44:45], 4
	s_cmp_eq_u32 s64, 0
	s_mov_b32 s25, 0
	s_cselect_b32 s57, s56, 0
	s_cselect_b32 s48, s48, 0
	s_lshl_b32 s65, s64, 1
	s_mul_i32 s52, s57, s9
	s_add_co_i32 s57, s57, s65
	s_add_co_i32 s72, s48, s68
	s_add_co_i32 s57, s57, -1
	s_ashr_i32 s59, s58, 31
	v_mad_u32 v16, s9, s57, v0
	s_ashr_i32 s73, s72, 31
	s_add_co_i32 s74, s65, -2
	s_lshl_b64 s[70:71], s[66:67], 3
	s_lshl_b64 s[48:49], s[58:59], 3
	;; [unrolled: 1-line block ×3, first 2 shown]
	s_ashr_i32 s75, s74, 31
	v_dual_mov_b32 v18, v0 :: v_dual_add_nc_u32 v17, s52, v0
	s_sub_nc_u64 s[48:49], s[48:49], s[62:63]
	s_add_nc_u64 s[70:71], s[70:71], s[72:73]
	s_lshl_b64 s[72:73], s[74:75], 3
	s_add_nc_u64 s[44:45], s[34:35], s[44:45]
	s_add_nc_u64 s[48:49], s[48:49], 40
	s_wait_kmcnt 0x0
	s_and_b32 s53, s53, 0xffff
	s_add_nc_u64 s[70:71], s[18:19], s[70:71]
	s_or_b64 s[72:73], s[72:73], 8
	s_mul_i32 s7, s9, s7
.LBB137_160:                            ;   Parent Loop BB137_11 Depth=1
                                        ; =>  This Loop Header: Depth=2
                                        ;       Child Loop BB137_161 Depth 3
	v_add_nc_u32_e32 v2, s52, v18
	s_mov_b32 s57, 0
	s_mov_b64 s[74:75], s[70:71]
	s_mov_b32 s59, s56
	global_load_b128 v[2:5], v2, s[44:45] scale_offset
.LBB137_161:                            ;   Parent Loop BB137_11 Depth=1
                                        ;     Parent Loop BB137_160 Depth=2
                                        ; =>    This Inner Loop Header: Depth=3
	s_wait_xcnt 0x1
	v_add_nc_u32_e32 v14, s57, v16
	s_add_nc_u64 s[76:77], s[74:75], s[48:49]
	s_add_co_i32 s59, s59, -1
	s_clause 0x1
	global_load_b64 v[32:33], v7, s[74:75] offset:32
	global_load_b64 v[34:35], v7, s[76:77]
	global_load_b128 v[20:23], v14, s[44:45] scale_offset
	s_wait_xcnt 0x2
	s_add_nc_u64 s[74:75], s[74:75], s[72:73]
	v_add_nc_u32_e32 v15, s57, v17
	s_add_co_i32 s57, s57, s7
	s_cmp_eq_u32 s59, 0
	s_wait_loadcnt 0x0
	v_mul_f64_e32 v[28:29], v[20:21], v[34:35]
	v_mul_f64_e32 v[30:31], v[22:23], v[34:35]
	s_delay_alu instid0(VALU_DEP_2) | instskip(NEXT) | instid1(VALU_DEP_2)
	v_fma_f64 v[28:29], v[2:3], v[32:33], -v[28:29]
	v_fma_f64 v[30:31], v[4:5], v[32:33], -v[30:31]
	v_mul_f64_e32 v[2:3], v[2:3], v[34:35]
	v_mul_f64_e32 v[4:5], v[4:5], v[34:35]
	global_store_b128 v15, v[28:31], s[44:45] scale_offset
	v_fmac_f64_e32 v[2:3], v[20:21], v[32:33]
	v_fmac_f64_e32 v[4:5], v[22:23], v[32:33]
	s_cbranch_scc0 .LBB137_161
; %bb.162:                              ;   in Loop: Header=BB137_160 Depth=2
	v_dual_add_nc_u32 v18, s53, v18 :: v_dual_add_nc_u32 v17, s53, v17
	s_wait_xcnt 0x0
	v_dual_ashrrev_i32 v15, 31, v14 :: v_dual_add_nc_u32 v16, s53, v16
	s_delay_alu instid0(VALU_DEP_2) | instskip(NEXT) | instid1(VALU_DEP_2)
	v_cmp_le_i32_e32 vcc_lo, s30, v18
	v_lshl_add_u64 v[14:15], v[14:15], 4, s[44:45]
	s_or_b32 s25, vcc_lo, s25
	global_store_b128 v[14:15], v[2:5], off
	s_wait_xcnt 0x0
	s_and_not1_b32 exec_lo, exec_lo, s25
	s_cbranch_execnz .LBB137_160
.LBB137_163:                            ;   in Loop: Header=BB137_11 Depth=1
	s_or_b32 exec_lo, exec_lo, s24
	s_delay_alu instid0(SALU_CYCLE_1)
	s_and_not1_b32 vcc_lo, exec_lo, s51
	s_cbranch_vccnz .LBB137_10
.LBB137_164:                            ;   in Loop: Header=BB137_11 Depth=1
	s_and_saveexec_b32 s7, s6
	s_cbranch_execz .LBB137_9
; %bb.165:                              ;   in Loop: Header=BB137_11 Depth=1
	s_load_b32 s25, s[42:43], 0xc
	s_lshl_b64 s[52:53], s[60:61], 4
	s_add_co_i32 s49, s56, -1
	s_cmp_eq_u32 s64, 0
	v_mov_b32_e32 v27, v0
	s_cselect_b32 s49, s49, 0
	s_cselect_b32 s48, s56, 0
	s_ashr_i32 s59, s58, 31
	s_lshl_b64 s[60:61], s[66:67], 3
	s_lshl_b32 s57, s64, 1
	s_add_co_i32 s66, s49, s68
	s_lshl_b64 s[58:59], s[58:59], 3
	s_add_co_i32 s68, s57, -2
	s_ashr_i32 s67, s66, 31
	s_ashr_i32 s65, s64, 31
	s_sub_nc_u64 s[58:59], s[58:59], s[62:63]
	s_lshl_b64 s[62:63], s[66:67], 3
	s_ashr_i32 s69, s68, 31
	v_dual_add_nc_u32 v14, s48, v25 :: v_dual_mov_b32 v16, v25
	s_add_nc_u64 s[60:61], s[60:61], s[62:63]
	s_wait_kmcnt 0x0
	s_and_b32 s25, s25, 0xffff
	s_lshl_b64 s[62:63], s[68:69], 3
	s_lshl_b64 s[64:65], s[64:65], 1
	s_ashr_i32 s49, s48, 31
	s_lshl_b64 s[70:71], s[68:69], 4
	s_mov_b32 s24, 0
	s_add_nc_u64 s[44:45], s[40:41], s[52:53]
	s_add_nc_u64 s[58:59], s[58:59], 40
	;; [unrolled: 1-line block ×3, first 2 shown]
	s_or_b64 s[62:63], s[62:63], 8
	s_add_nc_u64 s[64:65], s[64:65], s[48:49]
	s_mul_i32 s49, s39, s25
	s_or_b64 s[66:67], s[68:69], 1
	s_add_nc_u64 s[68:69], s[54:55], s[52:53]
	s_or_b64 s[70:71], s[70:71], 16
.LBB137_166:                            ;   Parent Loop BB137_11 Depth=1
                                        ; =>  This Loop Header: Depth=2
                                        ;       Child Loop BB137_167 Depth 3
	v_mad_u32 v2, v27, s39, s48
	v_dual_ashrrev_i32 v17, 31, v16 :: v_dual_ashrrev_i32 v15, 31, v14
	s_mov_b64 s[72:73], s[60:61]
	s_mov_b32 s52, s56
	s_delay_alu instid0(VALU_DEP_1) | instskip(NEXT) | instid1(VALU_DEP_2)
	v_add_nc_u64_e32 v[18:19], s[64:65], v[16:17]
	v_lshl_add_u64 v[20:21], v[14:15], 4, s[68:69]
	global_load_b128 v[2:5], v2, s[44:45] scale_offset
.LBB137_167:                            ;   Parent Loop BB137_11 Depth=1
                                        ;     Parent Loop BB137_166 Depth=2
                                        ; =>    This Inner Loop Header: Depth=3
	v_lshl_add_u64 v[22:23], v[18:19], 4, s[44:45]
	s_add_nc_u64 s[74:75], s[72:73], s[58:59]
	v_add_nc_u64_e32 v[18:19], s[66:67], v[18:19]
	s_clause 0x1
	global_load_b64 v[36:37], v7, s[72:73] offset:32
	global_load_b64 v[38:39], v7, s[74:75]
	global_load_b128 v[28:31], v[22:23], off offset:-16
	s_add_co_i32 s52, s52, -1
	s_wait_xcnt 0x2
	s_add_nc_u64 s[72:73], s[72:73], s[62:63]
	s_cmp_eq_u32 s52, 0
	s_wait_loadcnt 0x0
	v_mul_f64_e32 v[32:33], v[28:29], v[38:39]
	v_mul_f64_e32 v[34:35], v[30:31], v[38:39]
	s_delay_alu instid0(VALU_DEP_2) | instskip(NEXT) | instid1(VALU_DEP_2)
	v_fma_f64 v[32:33], v[2:3], v[36:37], -v[32:33]
	v_fma_f64 v[34:35], v[4:5], v[36:37], -v[34:35]
	v_mul_f64_e32 v[2:3], v[2:3], v[38:39]
	v_mul_f64_e32 v[4:5], v[4:5], v[38:39]
	global_store_b128 v[20:21], v[32:35], off offset:-8
	v_fmac_f64_e32 v[2:3], v[28:29], v[36:37]
	v_fmac_f64_e32 v[4:5], v[30:31], v[36:37]
	s_wait_xcnt 0x0
	v_add_nc_u64_e32 v[20:21], s[70:71], v[20:21]
	s_cbranch_scc0 .LBB137_167
; %bb.168:                              ;   in Loop: Header=BB137_166 Depth=2
	v_dual_add_nc_u32 v27, s25, v27 :: v_dual_add_nc_u32 v16, s49, v16
	v_add_nc_u32_e32 v14, s49, v14
	global_store_b128 v[22:23], v[2:5], off offset:-16
	v_cmp_le_i32_e32 vcc_lo, s31, v27
	s_or_b32 s24, vcc_lo, s24
	s_wait_xcnt 0x0
	s_and_not1_b32 exec_lo, exec_lo, s24
	s_cbranch_execnz .LBB137_166
	s_branch .LBB137_9
.LBB137_169:                            ;   in Loop: Header=BB137_11 Depth=1
	v_mov_b32_e32 v21, s7
	global_load_b64 v[2:3], v21, s[82:83] offset:-8 scale_offset
	s_wait_loadcnt 0x0
	s_wait_xcnt 0x1
	v_mul_f64_e32 v[22:23], v[14:15], v[2:3]
	v_mul_f64_e64 v[2:3], v[2:3], -v[16:17]
	global_store_b64 v21, v[22:23], s[82:83] offset:-8 scale_offset
	s_and_b32 s24, s28, s24
	s_wait_xcnt 0x0
	v_cndmask_b32_e64 v21, 0, 1, s24
	s_and_not1_b32 vcc_lo, exec_lo, s24
	s_cbranch_vccnz .LBB137_113
.LBB137_170:                            ;   in Loop: Header=BB137_11 Depth=1
	s_wait_xcnt 0x0
	v_mov_b32_e32 v22, s74
	s_clause 0x1
	global_store_b64 v7, v[14:15], s[88:89] offset:24
	global_store_b64 v22, v[16:17], s[88:89] offset:24 scale_offset
	s_xor_b32 s24, s59, -1
	s_delay_alu instid0(SALU_CYCLE_1) | instskip(NEXT) | instid1(SALU_CYCLE_1)
	s_or_b32 s44, s104, s24
	s_and_b32 vcc_lo, exec_lo, s44
	s_cbranch_vccz .LBB137_114
	s_branch .LBB137_115
.LBB137_171:
	s_endpgm
	.section	.rodata,"a",@progbits
	.p2align	6, 0x0
	.amdhsa_kernel _ZN9rocsolver6v33100L13bdsqr_computeILi256E19rocblas_complex_numIdEdPS3_S4_S4_EEviiiiPT1_lS6_lT2_iilT3_iilT4_iiliS5_S5_S5_S5_PiS6_ilSA_
		.amdhsa_group_segment_fixed_size 2072
		.amdhsa_private_segment_fixed_size 0
		.amdhsa_kernarg_size 456
		.amdhsa_user_sgpr_count 2
		.amdhsa_user_sgpr_dispatch_ptr 0
		.amdhsa_user_sgpr_queue_ptr 0
		.amdhsa_user_sgpr_kernarg_segment_ptr 1
		.amdhsa_user_sgpr_dispatch_id 0
		.amdhsa_user_sgpr_kernarg_preload_length 0
		.amdhsa_user_sgpr_kernarg_preload_offset 0
		.amdhsa_user_sgpr_private_segment_size 0
		.amdhsa_wavefront_size32 1
		.amdhsa_uses_dynamic_stack 0
		.amdhsa_enable_private_segment 0
		.amdhsa_system_sgpr_workgroup_id_x 1
		.amdhsa_system_sgpr_workgroup_id_y 1
		.amdhsa_system_sgpr_workgroup_id_z 1
		.amdhsa_system_sgpr_workgroup_info 0
		.amdhsa_system_vgpr_workitem_id 0
		.amdhsa_next_free_vgpr 41
		.amdhsa_next_free_sgpr 105
		.amdhsa_named_barrier_count 0
		.amdhsa_reserve_vcc 1
		.amdhsa_float_round_mode_32 0
		.amdhsa_float_round_mode_16_64 0
		.amdhsa_float_denorm_mode_32 3
		.amdhsa_float_denorm_mode_16_64 3
		.amdhsa_fp16_overflow 0
		.amdhsa_memory_ordered 1
		.amdhsa_forward_progress 1
		.amdhsa_inst_pref_size 72
		.amdhsa_round_robin_scheduling 0
		.amdhsa_exception_fp_ieee_invalid_op 0
		.amdhsa_exception_fp_denorm_src 0
		.amdhsa_exception_fp_ieee_div_zero 0
		.amdhsa_exception_fp_ieee_overflow 0
		.amdhsa_exception_fp_ieee_underflow 0
		.amdhsa_exception_fp_ieee_inexact 0
		.amdhsa_exception_int_div_zero 0
	.end_amdhsa_kernel
	.section	.text._ZN9rocsolver6v33100L13bdsqr_computeILi256E19rocblas_complex_numIdEdPS3_S4_S4_EEviiiiPT1_lS6_lT2_iilT3_iilT4_iiliS5_S5_S5_S5_PiS6_ilSA_,"axG",@progbits,_ZN9rocsolver6v33100L13bdsqr_computeILi256E19rocblas_complex_numIdEdPS3_S4_S4_EEviiiiPT1_lS6_lT2_iilT3_iilT4_iiliS5_S5_S5_S5_PiS6_ilSA_,comdat
.Lfunc_end137:
	.size	_ZN9rocsolver6v33100L13bdsqr_computeILi256E19rocblas_complex_numIdEdPS3_S4_S4_EEviiiiPT1_lS6_lT2_iilT3_iilT4_iiliS5_S5_S5_S5_PiS6_ilSA_, .Lfunc_end137-_ZN9rocsolver6v33100L13bdsqr_computeILi256E19rocblas_complex_numIdEdPS3_S4_S4_EEviiiiPT1_lS6_lT2_iilT3_iilT4_iiliS5_S5_S5_S5_PiS6_ilSA_
                                        ; -- End function
	.set _ZN9rocsolver6v33100L13bdsqr_computeILi256E19rocblas_complex_numIdEdPS3_S4_S4_EEviiiiPT1_lS6_lT2_iilT3_iilT4_iiliS5_S5_S5_S5_PiS6_ilSA_.num_vgpr, 41
	.set _ZN9rocsolver6v33100L13bdsqr_computeILi256E19rocblas_complex_numIdEdPS3_S4_S4_EEviiiiPT1_lS6_lT2_iilT3_iilT4_iiliS5_S5_S5_S5_PiS6_ilSA_.num_agpr, 0
	.set _ZN9rocsolver6v33100L13bdsqr_computeILi256E19rocblas_complex_numIdEdPS3_S4_S4_EEviiiiPT1_lS6_lT2_iilT3_iilT4_iiliS5_S5_S5_S5_PiS6_ilSA_.numbered_sgpr, 105
	.set _ZN9rocsolver6v33100L13bdsqr_computeILi256E19rocblas_complex_numIdEdPS3_S4_S4_EEviiiiPT1_lS6_lT2_iilT3_iilT4_iiliS5_S5_S5_S5_PiS6_ilSA_.num_named_barrier, 0
	.set _ZN9rocsolver6v33100L13bdsqr_computeILi256E19rocblas_complex_numIdEdPS3_S4_S4_EEviiiiPT1_lS6_lT2_iilT3_iilT4_iiliS5_S5_S5_S5_PiS6_ilSA_.private_seg_size, 0
	.set _ZN9rocsolver6v33100L13bdsqr_computeILi256E19rocblas_complex_numIdEdPS3_S4_S4_EEviiiiPT1_lS6_lT2_iilT3_iilT4_iiliS5_S5_S5_S5_PiS6_ilSA_.uses_vcc, 1
	.set _ZN9rocsolver6v33100L13bdsqr_computeILi256E19rocblas_complex_numIdEdPS3_S4_S4_EEviiiiPT1_lS6_lT2_iilT3_iilT4_iiliS5_S5_S5_S5_PiS6_ilSA_.uses_flat_scratch, 0
	.set _ZN9rocsolver6v33100L13bdsqr_computeILi256E19rocblas_complex_numIdEdPS3_S4_S4_EEviiiiPT1_lS6_lT2_iilT3_iilT4_iiliS5_S5_S5_S5_PiS6_ilSA_.has_dyn_sized_stack, 0
	.set _ZN9rocsolver6v33100L13bdsqr_computeILi256E19rocblas_complex_numIdEdPS3_S4_S4_EEviiiiPT1_lS6_lT2_iilT3_iilT4_iiliS5_S5_S5_S5_PiS6_ilSA_.has_recursion, 0
	.set _ZN9rocsolver6v33100L13bdsqr_computeILi256E19rocblas_complex_numIdEdPS3_S4_S4_EEviiiiPT1_lS6_lT2_iilT3_iilT4_iiliS5_S5_S5_S5_PiS6_ilSA_.has_indirect_call, 0
	.section	.AMDGPU.csdata,"",@progbits
; Kernel info:
; codeLenInByte = 9212
; TotalNumSgprs: 107
; NumVgprs: 41
; ScratchSize: 0
; MemoryBound: 0
; FloatMode: 240
; IeeeMode: 1
; LDSByteSize: 2072 bytes/workgroup (compile time only)
; SGPRBlocks: 0
; VGPRBlocks: 2
; NumSGPRsForWavesPerEU: 107
; NumVGPRsForWavesPerEU: 41
; NamedBarCnt: 0
; Occupancy: 16
; WaveLimiterHint : 1
; COMPUTE_PGM_RSRC2:SCRATCH_EN: 0
; COMPUTE_PGM_RSRC2:USER_SGPR: 2
; COMPUTE_PGM_RSRC2:TRAP_HANDLER: 0
; COMPUTE_PGM_RSRC2:TGID_X_EN: 1
; COMPUTE_PGM_RSRC2:TGID_Y_EN: 1
; COMPUTE_PGM_RSRC2:TGID_Z_EN: 1
; COMPUTE_PGM_RSRC2:TIDIG_COMP_CNT: 0
	.section	.text._ZN9rocsolver6v33100L12bdsqr_rotateI19rocblas_complex_numIdEdPS3_S4_S4_EEviiiiT1_iilT2_iilT3_iiliPiPT0_ilS8_,"axG",@progbits,_ZN9rocsolver6v33100L12bdsqr_rotateI19rocblas_complex_numIdEdPS3_S4_S4_EEviiiiT1_iilT2_iilT3_iiliPiPT0_ilS8_,comdat
	.globl	_ZN9rocsolver6v33100L12bdsqr_rotateI19rocblas_complex_numIdEdPS3_S4_S4_EEviiiiT1_iilT2_iilT3_iiliPiPT0_ilS8_ ; -- Begin function _ZN9rocsolver6v33100L12bdsqr_rotateI19rocblas_complex_numIdEdPS3_S4_S4_EEviiiiT1_iilT2_iilT3_iiliPiPT0_ilS8_
	.p2align	8
	.type	_ZN9rocsolver6v33100L12bdsqr_rotateI19rocblas_complex_numIdEdPS3_S4_S4_EEviiiiT1_iilT2_iilT3_iiliPiPT0_ilS8_,@function
_ZN9rocsolver6v33100L12bdsqr_rotateI19rocblas_complex_numIdEdPS3_S4_S4_EEviiiiT1_iilT2_iilT3_iiliPiPT0_ilS8_: ; @_ZN9rocsolver6v33100L12bdsqr_rotateI19rocblas_complex_numIdEdPS3_S4_S4_EEviiiiT1_iilT2_iilT3_iiliPiPT0_ilS8_
; %bb.0:
	s_load_b128 s[12:15], s[0:1], 0x78
	s_bfe_u32 s2, ttmp6, 0x40014
	s_lshr_b32 s3, ttmp7, 16
	s_add_co_i32 s2, s2, 1
	s_bfe_u32 s4, ttmp6, 0x40008
	s_mul_i32 s2, s3, s2
	s_getreg_b32 s26, hwreg(HW_REG_IB_STS2, 6, 4)
	s_add_co_i32 s4, s4, s2
	s_cmp_eq_u32 s26, 0
	s_mov_b32 s25, 0
	s_cselect_b32 s24, s3, s4
	s_wait_kmcnt 0x0
	s_load_b32 s2, s[14:15], s24 offset:0x8 scale_offset
	s_wait_kmcnt 0x0
	s_cmp_lg_u32 s2, 0
	s_cbranch_scc1 .LBB138_25
; %bb.1:
	s_load_b256 s[4:11], s[0:1], 0x10
	s_mov_b64 s[20:21], 0
	s_mov_b64 s[22:23], 0
	s_wait_kmcnt 0x0
	s_cmp_eq_u64 s[4:5], 0
	s_cbranch_scc1 .LBB138_3
; %bb.2:
	s_mul_u64 s[2:3], s[8:9], s[24:25]
	s_ashr_i32 s9, s6, 31
	s_lshl_b64 s[2:3], s[2:3], 4
	s_mov_b32 s8, s6
	s_add_nc_u64 s[2:3], s[4:5], s[2:3]
	s_lshl_b64 s[4:5], s[8:9], 4
	s_delay_alu instid0(SALU_CYCLE_1)
	s_add_nc_u64 s[22:23], s[2:3], s[4:5]
.LBB138_3:
	s_clause 0x1
	s_load_b64 s[2:3], s[0:1], 0x30
	s_load_b128 s[16:19], s[0:1], 0x38
	s_cmp_eq_u64 s[10:11], 0
	s_cbranch_scc1 .LBB138_5
; %bb.4:
	s_wait_kmcnt 0x0
	s_mul_u64 s[4:5], s[16:17], s[24:25]
	s_ashr_i32 s9, s2, 31
	s_lshl_b64 s[4:5], s[4:5], 4
	s_mov_b32 s8, s2
	s_add_nc_u64 s[4:5], s[10:11], s[4:5]
	s_lshl_b64 s[8:9], s[8:9], 4
	s_delay_alu instid0(SALU_CYCLE_1)
	s_add_nc_u64 s[20:21], s[4:5], s[8:9]
.LBB138_5:
	s_wait_kmcnt 0x0
	s_load_b64 s[16:17], s[0:1], 0x48
	s_cmp_eq_u64 s[18:19], 0
	s_mov_b64 s[4:5], 0
	s_cbranch_scc1 .LBB138_7
; %bb.6:
	s_load_b64 s[4:5], s[0:1], 0x50
	s_wait_kmcnt 0x0
	s_ashr_i32 s9, s16, 31
	s_mov_b32 s8, s16
	s_delay_alu instid0(SALU_CYCLE_1) | instskip(SKIP_1) | instid1(SALU_CYCLE_1)
	s_lshl_b64 s[8:9], s[8:9], 4
	s_mul_u64 s[4:5], s[4:5], s[24:25]
	s_lshl_b64 s[4:5], s[4:5], 4
	s_delay_alu instid0(SALU_CYCLE_1) | instskip(NEXT) | instid1(SALU_CYCLE_1)
	s_add_nc_u64 s[4:5], s[18:19], s[4:5]
	s_add_nc_u64 s[4:5], s[4:5], s[8:9]
.LBB138_7:
	s_load_b128 s[8:11], s[0:1], 0x60
	s_bfe_u32 s2, ttmp6, 0x40010
	s_and_b32 s6, ttmp7, 0xffff
	s_add_co_i32 s2, s2, 1
	s_bfe_u32 s14, ttmp6, 0x40004
	s_mul_i32 s2, s6, s2
	s_mul_u64 s[12:13], s[12:13], s[24:25]
	s_add_co_i32 s14, s14, s2
	s_cmp_eq_u32 s26, 0
	s_cselect_b32 s28, s6, s14
	s_lshl_b64 s[12:13], s[12:13], 3
	s_wait_kmcnt 0x0
	s_add_nc_u64 s[10:11], s[10:11], s[12:13]
	s_load_b64 s[12:13], s[10:11], 0x10
	s_wait_kmcnt 0x0
	v_cvt_i32_f64_e32 v10, s[12:13]
	s_delay_alu instid0(VALU_DEP_1)
	v_cmp_ge_i32_e32 vcc_lo, s28, v10
	s_cbranch_vccnz .LBB138_25
; %bb.8:
	s_clause 0x3
	s_load_b128 s[12:15], s[0:1], 0x0
	s_load_b32 s2, s[0:1], 0x94
	s_load_b32 s29, s[0:1], 0x58
	s_load_b32 s30, s[0:1], 0x70
	s_bfe_u32 s6, ttmp6, 0x4000c
	s_and_b32 s16, ttmp6, 15
	s_add_co_i32 s6, s6, 1
	s_wait_xcnt 0x0
	s_add_nc_u64 s[0:1], s[0:1], 0x88
	s_mul_i32 s6, ttmp9, s6
	s_load_b32 s31, s[0:1], 0x4
	s_add_co_i32 s16, s16, s6
	v_mov_b32_e32 v14, 0
	s_wait_kmcnt 0x0
	s_mul_i32 s12, s24, s12
	s_and_b32 s2, 0xffff, s2
	s_lshl_b32 s18, s12, 1
	s_delay_alu instid0(SALU_CYCLE_1) | instskip(NEXT) | instid1(SALU_CYCLE_1)
	s_ashr_i32 s19, s18, 31
	s_lshl_b64 s[18:19], s[18:19], 2
	s_cmp_eq_u32 s26, 0
	s_cselect_b32 s6, ttmp9, s16
	s_cmp_eq_u32 s13, 0
	v_mad_u32 v11, s6, s2, v0
	s_cselect_b32 s33, -1, 0
	s_cmp_lg_u64 s[22:23], 0
	s_cselect_b32 s1, -1, 0
	s_delay_alu instid0(VALU_DEP_1)
	v_cmp_gt_i32_e32 vcc_lo, s13, v11
	v_cmp_gt_i32_e64 s0, s14, v11
	v_mul_lo_u32 v12, v11, s7
	v_mul_lo_u32 v13, v11, s17
	s_add_nc_u64 s[6:7], s[8:9], s[18:19]
	s_and_b32 s34, vcc_lo, s1
	s_cmp_lg_u64 s[20:21], 0
	v_cmp_gt_i32_e32 vcc_lo, s15, v11
	s_cselect_b32 s1, -1, 0
	s_delay_alu instid0(SALU_CYCLE_1) | instskip(SKIP_2) | instid1(SALU_CYCLE_1)
	s_and_b32 s35, s0, s1
	s_cmp_lg_u64 s[4:5], 0
	s_cselect_b32 s0, -1, 0
	s_and_b32 s36, vcc_lo, s0
	s_branch .LBB138_12
.LBB138_9:                              ;   in Loop: Header=BB138_12 Depth=1
	v_sub_nc_u64_e64 v[4:5], v[4:5], s[16:17]
	s_delay_alu instid0(VALU_DEP_1)
	v_add_nc_u64_e32 v[4:5], s[8:9], v[4:5]
	global_store_b128 v[4:5], v[0:3], off
.LBB138_10:                             ;   in Loop: Header=BB138_12 Depth=1
	s_wait_xcnt 0x0
	s_or_b32 exec_lo, exec_lo, s25
.LBB138_11:                             ;   in Loop: Header=BB138_12 Depth=1
	s_add_co_i32 s28, s31, s28
	s_delay_alu instid0(SALU_CYCLE_1)
	v_cmp_lt_i32_e32 vcc_lo, s28, v10
	s_cbranch_vccz .LBB138_25
.LBB138_12:                             ; =>This Loop Header: Depth=1
                                        ;     Child Loop BB138_16 Depth 2
                                        ;     Child Loop BB138_20 Depth 2
	;; [unrolled: 1-line block ×3, first 2 shown]
	s_lshl_b32 s0, s28, 2
	s_delay_alu instid0(SALU_CYCLE_1) | instskip(NEXT) | instid1(SALU_CYCLE_1)
	s_ashr_i32 s1, s0, 31
	s_lshl_b64 s[0:1], s[0:1], 2
	s_wait_xcnt 0x0
	s_add_nc_u64 s[8:9], s[6:7], s[0:1]
	s_load_b96 s[0:2], s[8:9], 0x0
	s_wait_kmcnt 0x0
	s_cmp_le_i32 s2, s1
	s_cbranch_scc1 .LBB138_11
; %bb.13:                               ;   in Loop: Header=BB138_12 Depth=1
	s_wait_xcnt 0x0
	s_load_b32 s8, s[8:9], 0xc
	s_wait_kmcnt 0x0
	s_cmp_lt_i32 s8, s29
	s_wait_xcnt 0x0
	s_cselect_b32 s8, -1, 0
	s_cmp_lg_u32 s0, 0
	s_cselect_b32 s9, -1, 0
	s_delay_alu instid0(SALU_CYCLE_1) | instskip(NEXT) | instid1(SALU_CYCLE_1)
	s_and_b32 s8, s8, s9
	s_and_not1_b32 vcc_lo, exec_lo, s8
	s_cbranch_vccnz .LBB138_11
; %bb.14:                               ;   in Loop: Header=BB138_12 Depth=1
	s_mul_i32 s12, s1, s30
	s_delay_alu instid0(SALU_CYCLE_1)
	s_ashr_i32 s13, s12, 31
	s_cmp_gt_i32 s0, 0
	s_cselect_b32 s37, -1, 0
	s_sub_co_i32 s8, s2, s1
	s_and_saveexec_b32 s9, s34
	s_cbranch_execz .LBB138_18
; %bb.15:                               ;   in Loop: Header=BB138_12 Depth=1
	s_and_b32 s14, s37, exec_lo
	s_cselect_b32 s14, s1, s2
	s_mov_b32 s24, s2
	v_add3_u32 v6, s14, s0, v12
	v_add_nc_u32_e32 v4, s14, v12
	s_add_co_i32 s14, s8, -1
	s_and_b32 s15, s37, exec_lo
	s_cselect_b32 s14, 0, s14
	v_ashrrev_i32_e32 v7, 31, v6
	global_load_b128 v[0:3], v4, s[22:23] scale_offset
	v_ashrrev_i32_e32 v5, 31, v4
	s_ashr_i32 s15, s14, 31
	s_ashr_i32 s25, s2, 31
	;; [unrolled: 1-line block ×3, first 2 shown]
	s_mov_b32 s26, s1
	s_wait_xcnt 0x0
	v_lshlrev_b64_e32 v[4:5], 4, v[4:5]
	v_lshlrev_b64_e32 v[6:7], 4, v[6:7]
	s_lshl_b64 s[14:15], s[14:15], 3
	s_lshl_b64 s[16:17], s[12:13], 3
	;; [unrolled: 1-line block ×4, first 2 shown]
	s_ashr_i32 s19, s0, 31
	v_or_b32_e32 v4, 8, v4
	s_mov_b32 s18, s0
	s_add_nc_u64 s[16:17], s[14:15], s[16:17]
	s_sub_nc_u64 s[24:25], s[24:25], s[26:27]
	s_lshl_b64 s[14:15], s[18:19], 4
	s_add_nc_u64 s[16:17], s[10:11], s[16:17]
	s_lshl_b64 s[18:19], s[18:19], 3
	s_add_nc_u64 s[24:25], s[24:25], 40
	s_mov_b32 s38, s8
	s_mov_b64 s[26:27], s[22:23]
.LBB138_16:                             ;   Parent Loop BB138_12 Depth=1
                                        ; =>  This Inner Loop Header: Depth=2
	s_wait_xcnt 0x0
	v_add_nc_u64_e32 v[8:9], s[26:27], v[6:7]
	s_add_nc_u64 s[40:41], s[16:17], s[24:25]
	s_add_co_i32 s38, s38, -1
	s_clause 0x1
	global_load_b64 v[24:25], v14, s[16:17] offset:32
	global_load_b64 v[26:27], v14, s[40:41]
	global_load_b128 v[16:19], v[8:9], off
	s_cmp_eq_u32 s38, 0
	s_wait_xcnt 0x2
	s_add_nc_u64 s[16:17], s[16:17], s[18:19]
	s_wait_loadcnt 0x0
	s_wait_xcnt 0x0
	v_mul_f64_e32 v[8:9], v[16:17], v[26:27]
	v_mul_f64_e32 v[22:23], v[18:19], v[26:27]
	s_delay_alu instid0(VALU_DEP_2) | instskip(NEXT) | instid1(VALU_DEP_2)
	v_fma_f64 v[20:21], v[0:1], v[24:25], -v[8:9]
	v_fma_f64 v[22:23], v[2:3], v[24:25], -v[22:23]
	v_mul_f64_e32 v[0:1], v[0:1], v[26:27]
	v_mul_f64_e32 v[2:3], v[2:3], v[26:27]
	v_add_nc_u64_e32 v[8:9], s[26:27], v[4:5]
	s_add_nc_u64 s[26:27], s[26:27], s[14:15]
	global_store_b128 v[8:9], v[20:23], off offset:-8
	v_fmac_f64_e32 v[0:1], v[16:17], v[24:25]
	v_fmac_f64_e32 v[2:3], v[18:19], v[24:25]
	s_cbranch_scc0 .LBB138_16
; %bb.17:                               ;   in Loop: Header=BB138_12 Depth=1
	v_sub_nc_u64_e64 v[4:5], v[6:7], s[14:15]
	s_delay_alu instid0(VALU_DEP_1)
	v_add_nc_u64_e32 v[4:5], s[26:27], v[4:5]
	global_store_b128 v[4:5], v[0:3], off
.LBB138_18:                             ;   in Loop: Header=BB138_12 Depth=1
	s_wait_xcnt 0x0
	s_or_b32 exec_lo, exec_lo, s9
	s_lshl_b32 s9, s8, 1
	s_delay_alu instid0(SALU_CYCLE_1)
	s_add_co_i32 s9, s9, 2
	s_and_b32 s14, s33, exec_lo
	s_cselect_b32 s24, 0, s9
	s_and_saveexec_b32 s25, s35
	s_cbranch_execz .LBB138_22
; %bb.19:                               ;   in Loop: Header=BB138_12 Depth=1
	s_and_b32 s9, s37, exec_lo
	s_cselect_b32 s9, s1, s2
	s_add_co_i32 s14, s8, -1
	s_mul_i32 s26, s9, s3
	s_and_b32 s15, s37, exec_lo
	v_dual_mov_b32 v5, v11 :: v_dual_add_nc_u32 v0, s26, v11
	s_cselect_b32 s14, 0, s14
	s_add_co_i32 s15, s0, s9
	s_add_co_i32 s14, s24, s14
	global_load_b128 v[0:3], v0, s[20:21] scale_offset
	s_ashr_i32 s9, s8, 31
	s_mul_i32 s27, s3, s15
	s_ashr_i32 s15, s14, 31
	s_lshl_b64 s[16:17], s[8:9], 3
	s_lshl_b64 s[18:19], s[12:13], 3
	;; [unrolled: 1-line block ×3, first 2 shown]
	s_add_nc_u64 s[14:15], s[16:17], 40
	s_add_nc_u64 s[16:17], s[18:19], s[40:41]
	s_ashr_i32 s19, s0, 31
	s_mov_b32 s18, s0
	s_mul_i32 s38, s3, s0
	s_add_nc_u64 s[16:17], s[10:11], s[16:17]
	s_lshl_b64 s[18:19], s[18:19], 3
	s_mov_b32 s9, s8
.LBB138_20:                             ;   Parent Loop BB138_12 Depth=1
                                        ; =>  This Inner Loop Header: Depth=2
	s_wait_xcnt 0x1
	v_add_nc_u32_e32 v4, s27, v5
	s_add_nc_u64 s[40:41], s[16:17], s[14:15]
	s_add_co_i32 s9, s9, -1
	s_clause 0x1
	global_load_b64 v[20:21], v14, s[16:17] offset:32
	global_load_b64 v[22:23], v14, s[40:41]
	global_load_b128 v[6:9], v4, s[20:21] scale_offset
	s_cmp_eq_u32 s9, 0
	s_wait_xcnt 0x2
	s_add_nc_u64 s[16:17], s[16:17], s[18:19]
	s_wait_loadcnt 0x0
	v_mul_f64_e32 v[16:17], v[6:7], v[22:23]
	v_mul_f64_e32 v[18:19], v[8:9], v[22:23]
	s_delay_alu instid0(VALU_DEP_2) | instskip(SKIP_1) | instid1(VALU_DEP_1)
	v_fma_f64 v[16:17], v[0:1], v[20:21], -v[16:17]
	v_mul_f64_e32 v[0:1], v[0:1], v[22:23]
	v_fmac_f64_e32 v[0:1], v[6:7], v[20:21]
	v_add_nc_u32_e32 v6, s26, v5
	v_fma_f64 v[18:19], v[2:3], v[20:21], -v[18:19]
	v_dual_mul_f64 v[2:3], v[2:3], v[22:23] :: v_dual_add_nc_u32 v5, s38, v5
	global_store_b128 v6, v[16:19], s[20:21] scale_offset
	v_fmac_f64_e32 v[2:3], v[8:9], v[20:21]
	s_cbranch_scc0 .LBB138_20
; %bb.21:                               ;   in Loop: Header=BB138_12 Depth=1
	v_ashrrev_i32_e32 v5, 31, v4
	s_wait_xcnt 0x1
	s_delay_alu instid0(VALU_DEP_1)
	v_lshl_add_u64 v[4:5], v[4:5], 4, s[20:21]
	global_store_b128 v[4:5], v[0:3], off
.LBB138_22:                             ;   in Loop: Header=BB138_12 Depth=1
	s_wait_xcnt 0x0
	s_or_b32 exec_lo, exec_lo, s25
	s_and_saveexec_b32 s25, s36
	s_cbranch_execz .LBB138_10
; %bb.23:                               ;   in Loop: Header=BB138_12 Depth=1
	s_lshl_b64 s[12:13], s[12:13], 3
	s_and_b32 s9, s37, exec_lo
	s_cselect_b32 s9, s1, s2
	s_mov_b32 s16, s0
	v_add3_u32 v4, s9, s0, v13
	v_add_nc_u32_e32 v6, s9, v13
	s_add_co_i32 s9, s8, -1
	s_and_b32 s14, s37, exec_lo
	s_cselect_b32 s9, 0, s9
	v_ashrrev_i32_e32 v5, 31, v4
	global_load_b128 v[0:3], v6, s[4:5] scale_offset
	s_add_co_i32 s14, s24, s9
	s_ashr_i32 s9, s8, 31
	s_ashr_i32 s17, s0, 31
	v_lshlrev_b64_e32 v[4:5], 4, v[4:5]
	v_ashrrev_i32_e32 v7, 31, v6
	s_add_nc_u64 s[12:13], s[10:11], s[12:13]
	s_mov_b32 s24, s0
	s_lshl_b64 s[16:17], s[16:17], 4
	s_lshl_b64 s[18:19], s[8:9], 3
	s_mov_b64 s[8:9], s[4:5]
	v_or_b32_e32 v8, 8, v4
	s_wait_xcnt 0x0
	v_lshlrev_b64_e32 v[6:7], 4, v[6:7]
	s_delay_alu instid0(VALU_DEP_1)
	v_dual_mov_b32 v9, v5 :: v_dual_bitop2_b32 v6, 8, v6 bitop3:0x54
.LBB138_24:                             ;   Parent Loop BB138_12 Depth=1
                                        ; =>  This Inner Loop Header: Depth=2
	s_wait_xcnt 0x0
	s_delay_alu instid0(VALU_DEP_1) | instskip(SKIP_3) | instid1(SALU_CYCLE_1)
	v_add_nc_u64_e32 v[20:21], s[8:9], v[8:9]
	s_ashr_i32 s15, s14, 31
	s_add_co_i32 s1, s1, 1
	s_lshl_b64 s[26:27], s[14:15], 3
	s_add_nc_u64 s[26:27], s[12:13], s[26:27]
	s_delay_alu instid0(SALU_CYCLE_1)
	s_add_nc_u64 s[26:27], s[26:27], s[18:19]
	global_load_b128 v[16:19], v[20:21], off offset:-8
	global_load_b64 v[24:25], v14, s[26:27] offset:40
	v_mov_b32_e32 v15, s14
	s_add_co_i32 s14, s14, s24
	s_cmp_eq_u32 s1, s2
	s_wait_loadcnt 0x0
	s_wait_xcnt 0x1
	v_mul_f64_e32 v[20:21], v[16:17], v[24:25]
	global_load_b64 v[26:27], v15, s[12:13] offset:32 scale_offset
	v_mul_f64_e32 v[22:23], v[18:19], v[24:25]
	s_wait_loadcnt 0x0
	v_fma_f64 v[20:21], v[0:1], v[26:27], -v[20:21]
	s_delay_alu instid0(VALU_DEP_2) | instskip(SKIP_2) | instid1(VALU_DEP_2)
	v_fma_f64 v[22:23], v[2:3], v[26:27], -v[22:23]
	v_mul_f64_e32 v[0:1], v[0:1], v[24:25]
	v_mul_f64_e32 v[2:3], v[2:3], v[24:25]
	v_fmac_f64_e32 v[0:1], v[16:17], v[26:27]
	s_delay_alu instid0(VALU_DEP_2)
	v_fmac_f64_e32 v[2:3], v[18:19], v[26:27]
	v_add_nc_u64_e32 v[16:17], s[8:9], v[6:7]
	s_add_nc_u64 s[8:9], s[8:9], s[16:17]
	global_store_b128 v[16:17], v[20:23], off offset:-8
	s_cbranch_scc0 .LBB138_24
	s_branch .LBB138_9
.LBB138_25:
	s_endpgm
	.section	.rodata,"a",@progbits
	.p2align	6, 0x0
	.amdhsa_kernel _ZN9rocsolver6v33100L12bdsqr_rotateI19rocblas_complex_numIdEdPS3_S4_S4_EEviiiiT1_iilT2_iilT3_iiliPiPT0_ilS8_
		.amdhsa_group_segment_fixed_size 0
		.amdhsa_private_segment_fixed_size 0
		.amdhsa_kernarg_size 392
		.amdhsa_user_sgpr_count 2
		.amdhsa_user_sgpr_dispatch_ptr 0
		.amdhsa_user_sgpr_queue_ptr 0
		.amdhsa_user_sgpr_kernarg_segment_ptr 1
		.amdhsa_user_sgpr_dispatch_id 0
		.amdhsa_user_sgpr_kernarg_preload_length 0
		.amdhsa_user_sgpr_kernarg_preload_offset 0
		.amdhsa_user_sgpr_private_segment_size 0
		.amdhsa_wavefront_size32 1
		.amdhsa_uses_dynamic_stack 0
		.amdhsa_enable_private_segment 0
		.amdhsa_system_sgpr_workgroup_id_x 1
		.amdhsa_system_sgpr_workgroup_id_y 1
		.amdhsa_system_sgpr_workgroup_id_z 1
		.amdhsa_system_sgpr_workgroup_info 0
		.amdhsa_system_vgpr_workitem_id 0
		.amdhsa_next_free_vgpr 28
		.amdhsa_next_free_sgpr 42
		.amdhsa_named_barrier_count 0
		.amdhsa_reserve_vcc 1
		.amdhsa_float_round_mode_32 0
		.amdhsa_float_round_mode_16_64 0
		.amdhsa_float_denorm_mode_32 3
		.amdhsa_float_denorm_mode_16_64 3
		.amdhsa_fp16_overflow 0
		.amdhsa_memory_ordered 1
		.amdhsa_forward_progress 1
		.amdhsa_inst_pref_size 14
		.amdhsa_round_robin_scheduling 0
		.amdhsa_exception_fp_ieee_invalid_op 0
		.amdhsa_exception_fp_denorm_src 0
		.amdhsa_exception_fp_ieee_div_zero 0
		.amdhsa_exception_fp_ieee_overflow 0
		.amdhsa_exception_fp_ieee_underflow 0
		.amdhsa_exception_fp_ieee_inexact 0
		.amdhsa_exception_int_div_zero 0
	.end_amdhsa_kernel
	.section	.text._ZN9rocsolver6v33100L12bdsqr_rotateI19rocblas_complex_numIdEdPS3_S4_S4_EEviiiiT1_iilT2_iilT3_iiliPiPT0_ilS8_,"axG",@progbits,_ZN9rocsolver6v33100L12bdsqr_rotateI19rocblas_complex_numIdEdPS3_S4_S4_EEviiiiT1_iilT2_iilT3_iiliPiPT0_ilS8_,comdat
.Lfunc_end138:
	.size	_ZN9rocsolver6v33100L12bdsqr_rotateI19rocblas_complex_numIdEdPS3_S4_S4_EEviiiiT1_iilT2_iilT3_iiliPiPT0_ilS8_, .Lfunc_end138-_ZN9rocsolver6v33100L12bdsqr_rotateI19rocblas_complex_numIdEdPS3_S4_S4_EEviiiiT1_iilT2_iilT3_iiliPiPT0_ilS8_
                                        ; -- End function
	.set _ZN9rocsolver6v33100L12bdsqr_rotateI19rocblas_complex_numIdEdPS3_S4_S4_EEviiiiT1_iilT2_iilT3_iiliPiPT0_ilS8_.num_vgpr, 28
	.set _ZN9rocsolver6v33100L12bdsqr_rotateI19rocblas_complex_numIdEdPS3_S4_S4_EEviiiiT1_iilT2_iilT3_iiliPiPT0_ilS8_.num_agpr, 0
	.set _ZN9rocsolver6v33100L12bdsqr_rotateI19rocblas_complex_numIdEdPS3_S4_S4_EEviiiiT1_iilT2_iilT3_iiliPiPT0_ilS8_.numbered_sgpr, 42
	.set _ZN9rocsolver6v33100L12bdsqr_rotateI19rocblas_complex_numIdEdPS3_S4_S4_EEviiiiT1_iilT2_iilT3_iiliPiPT0_ilS8_.num_named_barrier, 0
	.set _ZN9rocsolver6v33100L12bdsqr_rotateI19rocblas_complex_numIdEdPS3_S4_S4_EEviiiiT1_iilT2_iilT3_iiliPiPT0_ilS8_.private_seg_size, 0
	.set _ZN9rocsolver6v33100L12bdsqr_rotateI19rocblas_complex_numIdEdPS3_S4_S4_EEviiiiT1_iilT2_iilT3_iiliPiPT0_ilS8_.uses_vcc, 1
	.set _ZN9rocsolver6v33100L12bdsqr_rotateI19rocblas_complex_numIdEdPS3_S4_S4_EEviiiiT1_iilT2_iilT3_iiliPiPT0_ilS8_.uses_flat_scratch, 0
	.set _ZN9rocsolver6v33100L12bdsqr_rotateI19rocblas_complex_numIdEdPS3_S4_S4_EEviiiiT1_iilT2_iilT3_iiliPiPT0_ilS8_.has_dyn_sized_stack, 0
	.set _ZN9rocsolver6v33100L12bdsqr_rotateI19rocblas_complex_numIdEdPS3_S4_S4_EEviiiiT1_iilT2_iilT3_iiliPiPT0_ilS8_.has_recursion, 0
	.set _ZN9rocsolver6v33100L12bdsqr_rotateI19rocblas_complex_numIdEdPS3_S4_S4_EEviiiiT1_iilT2_iilT3_iiliPiPT0_ilS8_.has_indirect_call, 0
	.section	.AMDGPU.csdata,"",@progbits
; Kernel info:
; codeLenInByte = 1728
; TotalNumSgprs: 44
; NumVgprs: 28
; ScratchSize: 0
; MemoryBound: 0
; FloatMode: 240
; IeeeMode: 1
; LDSByteSize: 0 bytes/workgroup (compile time only)
; SGPRBlocks: 0
; VGPRBlocks: 1
; NumSGPRsForWavesPerEU: 44
; NumVGPRsForWavesPerEU: 28
; NamedBarCnt: 0
; Occupancy: 16
; WaveLimiterHint : 1
; COMPUTE_PGM_RSRC2:SCRATCH_EN: 0
; COMPUTE_PGM_RSRC2:USER_SGPR: 2
; COMPUTE_PGM_RSRC2:TRAP_HANDLER: 0
; COMPUTE_PGM_RSRC2:TGID_X_EN: 1
; COMPUTE_PGM_RSRC2:TGID_Y_EN: 1
; COMPUTE_PGM_RSRC2:TGID_Z_EN: 1
; COMPUTE_PGM_RSRC2:TIDIG_COMP_CNT: 0
	.section	.text._ZN9rocsolver6v33100L22bdsqr_update_endpointsI19rocblas_complex_numIdEdEEviPT0_lPiS5_lS6_,"axG",@progbits,_ZN9rocsolver6v33100L22bdsqr_update_endpointsI19rocblas_complex_numIdEdEEviPT0_lPiS5_lS6_,comdat
	.globl	_ZN9rocsolver6v33100L22bdsqr_update_endpointsI19rocblas_complex_numIdEdEEviPT0_lPiS5_lS6_ ; -- Begin function _ZN9rocsolver6v33100L22bdsqr_update_endpointsI19rocblas_complex_numIdEdEEviPT0_lPiS5_lS6_
	.p2align	8
	.type	_ZN9rocsolver6v33100L22bdsqr_update_endpointsI19rocblas_complex_numIdEdEEviPT0_lPiS5_lS6_,@function
_ZN9rocsolver6v33100L22bdsqr_update_endpointsI19rocblas_complex_numIdEdEEviPT0_lPiS5_lS6_: ; @_ZN9rocsolver6v33100L22bdsqr_update_endpointsI19rocblas_complex_numIdEdEEviPT0_lPiS5_lS6_
; %bb.0:
	s_load_b128 s[12:15], s[0:1], 0x28
	s_bfe_u32 s2, ttmp6, 0x40014
	s_lshr_b32 s3, ttmp7, 16
	s_add_co_i32 s2, s2, 1
	s_bfe_u32 s5, ttmp6, 0x40008
	s_mul_i32 s4, s3, s2
	s_getreg_b32 s2, hwreg(HW_REG_IB_STS2, 6, 4)
	s_add_co_i32 s5, s5, s4
	s_cmp_eq_u32 s2, 0
	s_mov_b32 s17, 0
	s_cselect_b32 s16, s3, s5
	s_wait_kmcnt 0x0
	s_load_b32 s3, s[14:15], s16 offset:0x8 scale_offset
	s_wait_kmcnt 0x0
	s_cmp_lg_u32 s3, 0
	s_cbranch_scc1 .LBB139_28
; %bb.1:
	s_load_b256 s[4:11], s[0:1], 0x8
	s_bfe_u32 s3, ttmp6, 0x40010
	s_and_b32 s14, ttmp7, 0xffff
	s_add_co_i32 s3, s3, 1
	s_bfe_u32 s15, ttmp6, 0x40004
	s_mul_i32 s3, s14, s3
	s_delay_alu instid0(SALU_CYCLE_1)
	s_add_co_i32 s15, s15, s3
	s_cmp_eq_u32 s2, 0
	s_mul_u64 s[2:3], s[12:13], s[16:17]
	s_cselect_b32 s20, s14, s15
	s_lshl_b64 s[2:3], s[2:3], 3
	s_wait_kmcnt 0x0
	s_add_nc_u64 s[2:3], s[10:11], s[2:3]
	s_load_b128 s[12:15], s[2:3], 0x8
	s_wait_kmcnt 0x0
	v_cvt_i32_f64_e32 v8, s[14:15]
	s_delay_alu instid0(VALU_DEP_1)
	v_cmp_ge_i32_e32 vcc_lo, s20, v8
	s_cbranch_vccnz .LBB139_28
; %bb.2:
	v_cvt_f64_i32_e32 v[4:5], v8
	s_clause 0x1
	s_load_b32 s10, s[0:1], 0x0
	s_load_b32 s21, s[0:1], 0x3c
	s_wait_xcnt 0x0
	s_mul_u64 s[0:1], s[6:7], s[16:17]
	v_mov_b64_e32 v[6:7], 0
	s_lshl_b64 s[0:1], s[0:1], 3
	v_mov_b32_e32 v9, 0
	s_add_nc_u64 s[4:5], s[4:5], s[0:1]
	s_wait_kmcnt 0x0
	s_mul_i32 s10, s16, s10
	s_delay_alu instid0(SALU_CYCLE_1) | instskip(NEXT) | instid1(SALU_CYCLE_1)
	s_lshl_b32 s6, s10, 1
	s_ashr_i32 s7, s6, 31
	s_delay_alu instid0(SALU_CYCLE_1) | instskip(NEXT) | instid1(SALU_CYCLE_1)
	s_lshl_b64 s[6:7], s[6:7], 2
	s_add_nc_u64 s[6:7], s[8:9], s[6:7]
	s_add_nc_u64 s[8:9], s[4:5], -8
	s_branch .LBB139_4
.LBB139_3:                              ;   in Loop: Header=BB139_4 Depth=1
	s_add_co_i32 s20, s21, s20
	s_wait_xcnt 0x0
	v_dual_mov_b32 v0, s22 :: v_dual_mov_b32 v1, s15
	v_cmp_lt_i32_e32 vcc_lo, s20, v8
	global_store_b64 v9, v[0:1], s[10:11] offset:4
	s_cbranch_vccz .LBB139_28
.LBB139_4:                              ; =>This Loop Header: Depth=1
                                        ;     Child Loop BB139_9 Depth 2
                                        ;     Child Loop BB139_14 Depth 2
	;; [unrolled: 1-line block ×3, first 2 shown]
	s_lshl_b32 s0, s20, 2
	s_delay_alu instid0(SALU_CYCLE_1) | instskip(NEXT) | instid1(SALU_CYCLE_1)
	s_ashr_i32 s1, s0, 31
	s_lshl_b64 s[0:1], s[0:1], 2
	s_wait_xcnt 0x0
	s_add_nc_u64 s[10:11], s[6:7], s[0:1]
	global_load_b128 v[0:3], v9, s[10:11]
	s_wait_loadcnt 0x0
	v_cmp_eq_u32_e64 s0, 0, v0
	v_readfirstlane_b32 s16, v1
	v_readfirstlane_b32 s14, v2
	v_mov_b32_e32 v2, v3
	s_and_b32 vcc_lo, exec_lo, s0
	s_cbranch_vccnz .LBB139_6
; %bb.5:                                ;   in Loop: Header=BB139_4 Depth=1
	s_sub_co_i32 s1, s14, s16
	s_delay_alu instid0(SALU_CYCLE_1)
	v_add_nc_u32_e32 v2, s1, v3
	global_store_b32 v9, v2, s[10:11] offset:12
.LBB139_6:                              ;   in Loop: Header=BB139_4 Depth=1
	s_cmp_le_i32 s14, s16
	s_cbranch_scc1 .LBB139_16
; %bb.7:                                ;   in Loop: Header=BB139_4 Depth=1
	s_ashr_i32 s17, s16, 31
	s_delay_alu instid0(SALU_CYCLE_1) | instskip(NEXT) | instid1(SALU_CYCLE_1)
	s_lshl_b64 s[18:19], s[16:17], 3
	s_add_nc_u64 s[18:19], s[4:5], s[18:19]
	s_branch .LBB139_9
.LBB139_8:                              ;   in Loop: Header=BB139_9 Depth=2
	s_add_co_i32 s16, s16, 1
	global_store_b64 v9, v[6:7], s[18:19]
	s_cmp_ge_i32 s16, s14
	s_wait_xcnt 0x0
	s_add_nc_u64 s[18:19], s[18:19], 8
	s_cselect_b32 s1, -1, 0
	s_mov_b32 s22, s14
	s_and_not1_b32 vcc_lo, exec_lo, s1
	s_cbranch_vccz .LBB139_11
.LBB139_9:                              ;   Parent Loop BB139_4 Depth=1
                                        ; =>  This Inner Loop Header: Depth=2
	global_load_b64 v[0:1], v9, s[18:19]
	s_wait_loadcnt 0x0
	v_cmp_nlt_f64_e64 s1, |v[0:1]|, s[12:13]
	s_and_b32 vcc_lo, exec_lo, s1
	s_mov_b32 s1, -1
	s_cbranch_vccz .LBB139_8
; %bb.10:                               ;   in Loop: Header=BB139_9 Depth=2
	s_mov_b32 s22, s16
                                        ; implicit-def: $sgpr16
                                        ; implicit-def: $sgpr18_sgpr19
	s_and_not1_b32 vcc_lo, exec_lo, s1
	s_cbranch_vccnz .LBB139_9
.LBB139_11:                             ;   in Loop: Header=BB139_4 Depth=1
	s_cmp_le_i32 s14, s22
	s_cbranch_scc1 .LBB139_17
.LBB139_12:                             ;   in Loop: Header=BB139_4 Depth=1
	s_ashr_i32 s15, s14, 31
	s_delay_alu instid0(SALU_CYCLE_1) | instskip(NEXT) | instid1(SALU_CYCLE_1)
	s_lshl_b64 s[16:17], s[14:15], 3
	s_add_nc_u64 s[16:17], s[8:9], s[16:17]
	s_branch .LBB139_14
.LBB139_13:                             ;   in Loop: Header=BB139_14 Depth=2
	s_add_co_i32 s14, s14, -1
	global_store_b64 v9, v[6:7], s[16:17]
	s_cmp_le_i32 s14, s22
	s_wait_xcnt 0x0
	s_add_nc_u64 s[16:17], s[16:17], -8
	s_cselect_b32 s1, -1, 0
	s_mov_b32 s15, s22
	s_and_not1_b32 vcc_lo, exec_lo, s1
	s_cbranch_vccz .LBB139_18
.LBB139_14:                             ;   Parent Loop BB139_4 Depth=1
                                        ; =>  This Inner Loop Header: Depth=2
	global_load_b64 v[0:1], v9, s[16:17]
	s_wait_loadcnt 0x0
	v_cmp_nlt_f64_e64 s1, |v[0:1]|, s[12:13]
	s_and_b32 vcc_lo, exec_lo, s1
	s_mov_b32 s1, -1
	s_cbranch_vccz .LBB139_13
; %bb.15:                               ;   in Loop: Header=BB139_14 Depth=2
	s_mov_b32 s15, s14
                                        ; implicit-def: $sgpr14
                                        ; implicit-def: $sgpr16_sgpr17
	s_and_not1_b32 vcc_lo, exec_lo, s1
	s_cbranch_vccnz .LBB139_14
	s_branch .LBB139_18
.LBB139_16:                             ;   in Loop: Header=BB139_4 Depth=1
	s_mov_b32 s22, s16
	s_delay_alu instid0(SALU_CYCLE_1)
	s_cmp_le_i32 s14, s22
	s_cbranch_scc0 .LBB139_12
.LBB139_17:                             ;   in Loop: Header=BB139_4 Depth=1
	s_mov_b32 s15, s14
.LBB139_18:                             ;   in Loop: Header=BB139_4 Depth=1
	s_delay_alu instid0(SALU_CYCLE_1) | instskip(SKIP_1) | instid1(SALU_CYCLE_1)
	s_cmp_lt_i32 s22, s15
	s_cselect_b32 s1, -1, 0
	s_and_b32 s0, s0, s1
	s_delay_alu instid0(SALU_CYCLE_1)
	s_and_not1_b32 vcc_lo, exec_lo, s0
	s_mov_b32 s0, s22
	s_cbranch_vccz .LBB139_20
	s_branch .LBB139_3
.LBB139_19:                             ;   in Loop: Header=BB139_20 Depth=2
	s_mov_b32 s0, s1
	s_delay_alu instid0(SALU_CYCLE_1)
	s_cmp_lt_i32 s0, s15
	s_cbranch_scc0 .LBB139_3
.LBB139_20:                             ;   Parent Loop BB139_4 Depth=1
                                        ; =>  This Inner Loop Header: Depth=2
	s_wait_xcnt 0x0
	v_mov_b32_e32 v0, s0
	s_mov_b32 s14, -1
	global_load_b64 v[0:1], v0, s[4:5] scale_offset
	s_wait_loadcnt 0x0
	v_cmp_lt_f64_e64 s1, |v[0:1]|, s[12:13]
	s_and_b32 vcc_lo, exec_lo, s1
                                        ; implicit-def: $sgpr1
	s_cbranch_vccnz .LBB139_22
; %bb.21:                               ;   in Loop: Header=BB139_20 Depth=2
	s_add_co_i32 s1, s0, 1
	s_mov_b32 s14, 0
.LBB139_22:                             ;   in Loop: Header=BB139_20 Depth=2
	s_delay_alu instid0(SALU_CYCLE_1)
	s_and_not1_b32 vcc_lo, exec_lo, s14
	s_cbranch_vccnz .LBB139_19
; %bb.23:                               ;   in Loop: Header=BB139_20 Depth=2
	s_ashr_i32 s1, s0, 31
	s_wait_xcnt 0x1
	s_lshl_b64 s[16:17], s[0:1], 3
	s_cmp_ge_i32 s22, s0
	s_add_nc_u64 s[16:17], s[4:5], s[16:17]
	global_store_b64 v9, v[6:7], s[16:17]
	s_cbranch_scc1 .LBB139_27
; %bb.24:                               ;   in Loop: Header=BB139_20 Depth=2
	s_mov_b32 s14, exec_lo
                                        ; implicit-def: $vgpr0_vgpr1
	s_delay_alu instid0(SALU_CYCLE_1) | instskip(NEXT) | instid1(VALU_DEP_1)
	v_mbcnt_lo_u32_b32 v3, s14, 0
	v_cmp_eq_u32_e32 vcc_lo, 0, v3
	s_wait_xcnt 0x0
	s_and_saveexec_b32 s1, vcc_lo
	s_cbranch_execz .LBB139_26
; %bb.25:                               ;   in Loop: Header=BB139_20 Depth=2
	s_bcnt1_i32_b32 s14, s14
	s_delay_alu instid0(SALU_CYCLE_1)
	v_cvt_f64_u32_e32 v[0:1], s14
	global_atomic_add_f64 v[0:1], v9, v[0:1], s[2:3] offset:24 th:TH_ATOMIC_RETURN scope:SCOPE_DEV
.LBB139_26:                             ;   in Loop: Header=BB139_20 Depth=2
	s_wait_xcnt 0x0
	s_or_b32 exec_lo, exec_lo, s1
	v_cvt_f64_u32_e32 v[10:11], v3
	s_wait_loadcnt 0x0
	v_readfirstlane_b32 s17, v1
	v_readfirstlane_b32 s16, v0
	s_delay_alu instid0(VALU_DEP_1) | instskip(NEXT) | instid1(VALU_DEP_1)
	v_add_f64_e32 v[0:1], s[16:17], v[10:11]
	v_cndmask_b32_e64 v1, v1, s17, vcc_lo
	s_delay_alu instid0(VALU_DEP_2) | instskip(NEXT) | instid1(VALU_DEP_1)
	v_cndmask_b32_e64 v0, v0, s16, vcc_lo
	v_add_f64_e32 v[0:1], v[0:1], v[4:5]
	s_delay_alu instid0(VALU_DEP_1) | instskip(NEXT) | instid1(VALU_DEP_1)
	v_cvt_i32_f64_e32 v0, v[0:1]
	v_dual_mov_b32 v1, s0 :: v_dual_lshlrev_b32 v10, 2, v0
	s_delay_alu instid0(VALU_DEP_1) | instskip(NEXT) | instid1(VALU_DEP_1)
	v_dual_mov_b32 v0, s22 :: v_dual_ashrrev_i32 v11, 31, v10
	v_lshl_add_u64 v[10:11], v[10:11], 2, s[6:7]
	global_store_b96 v[10:11], v[0:2], off offset:4
.LBB139_27:                             ;   in Loop: Header=BB139_20 Depth=2
	s_add_co_i32 s0, s0, 1
	s_delay_alu instid0(SALU_CYCLE_1)
	s_mov_b32 s22, s0
	s_cmp_lt_i32 s0, s15
	s_cbranch_scc1 .LBB139_20
	s_branch .LBB139_3
.LBB139_28:
	s_endpgm
	.section	.rodata,"a",@progbits
	.p2align	6, 0x0
	.amdhsa_kernel _ZN9rocsolver6v33100L22bdsqr_update_endpointsI19rocblas_complex_numIdEdEEviPT0_lPiS5_lS6_
		.amdhsa_group_segment_fixed_size 0
		.amdhsa_private_segment_fixed_size 0
		.amdhsa_kernarg_size 312
		.amdhsa_user_sgpr_count 2
		.amdhsa_user_sgpr_dispatch_ptr 0
		.amdhsa_user_sgpr_queue_ptr 0
		.amdhsa_user_sgpr_kernarg_segment_ptr 1
		.amdhsa_user_sgpr_dispatch_id 0
		.amdhsa_user_sgpr_kernarg_preload_length 0
		.amdhsa_user_sgpr_kernarg_preload_offset 0
		.amdhsa_user_sgpr_private_segment_size 0
		.amdhsa_wavefront_size32 1
		.amdhsa_uses_dynamic_stack 0
		.amdhsa_enable_private_segment 0
		.amdhsa_system_sgpr_workgroup_id_x 1
		.amdhsa_system_sgpr_workgroup_id_y 1
		.amdhsa_system_sgpr_workgroup_id_z 1
		.amdhsa_system_sgpr_workgroup_info 0
		.amdhsa_system_vgpr_workitem_id 0
		.amdhsa_next_free_vgpr 12
		.amdhsa_next_free_sgpr 23
		.amdhsa_named_barrier_count 0
		.amdhsa_reserve_vcc 1
		.amdhsa_float_round_mode_32 0
		.amdhsa_float_round_mode_16_64 0
		.amdhsa_float_denorm_mode_32 3
		.amdhsa_float_denorm_mode_16_64 3
		.amdhsa_fp16_overflow 0
		.amdhsa_memory_ordered 1
		.amdhsa_forward_progress 1
		.amdhsa_inst_pref_size 8
		.amdhsa_round_robin_scheduling 0
		.amdhsa_exception_fp_ieee_invalid_op 0
		.amdhsa_exception_fp_denorm_src 0
		.amdhsa_exception_fp_ieee_div_zero 0
		.amdhsa_exception_fp_ieee_overflow 0
		.amdhsa_exception_fp_ieee_underflow 0
		.amdhsa_exception_fp_ieee_inexact 0
		.amdhsa_exception_int_div_zero 0
	.end_amdhsa_kernel
	.section	.text._ZN9rocsolver6v33100L22bdsqr_update_endpointsI19rocblas_complex_numIdEdEEviPT0_lPiS5_lS6_,"axG",@progbits,_ZN9rocsolver6v33100L22bdsqr_update_endpointsI19rocblas_complex_numIdEdEEviPT0_lPiS5_lS6_,comdat
.Lfunc_end139:
	.size	_ZN9rocsolver6v33100L22bdsqr_update_endpointsI19rocblas_complex_numIdEdEEviPT0_lPiS5_lS6_, .Lfunc_end139-_ZN9rocsolver6v33100L22bdsqr_update_endpointsI19rocblas_complex_numIdEdEEviPT0_lPiS5_lS6_
                                        ; -- End function
	.set _ZN9rocsolver6v33100L22bdsqr_update_endpointsI19rocblas_complex_numIdEdEEviPT0_lPiS5_lS6_.num_vgpr, 12
	.set _ZN9rocsolver6v33100L22bdsqr_update_endpointsI19rocblas_complex_numIdEdEEviPT0_lPiS5_lS6_.num_agpr, 0
	.set _ZN9rocsolver6v33100L22bdsqr_update_endpointsI19rocblas_complex_numIdEdEEviPT0_lPiS5_lS6_.numbered_sgpr, 23
	.set _ZN9rocsolver6v33100L22bdsqr_update_endpointsI19rocblas_complex_numIdEdEEviPT0_lPiS5_lS6_.num_named_barrier, 0
	.set _ZN9rocsolver6v33100L22bdsqr_update_endpointsI19rocblas_complex_numIdEdEEviPT0_lPiS5_lS6_.private_seg_size, 0
	.set _ZN9rocsolver6v33100L22bdsqr_update_endpointsI19rocblas_complex_numIdEdEEviPT0_lPiS5_lS6_.uses_vcc, 1
	.set _ZN9rocsolver6v33100L22bdsqr_update_endpointsI19rocblas_complex_numIdEdEEviPT0_lPiS5_lS6_.uses_flat_scratch, 0
	.set _ZN9rocsolver6v33100L22bdsqr_update_endpointsI19rocblas_complex_numIdEdEEviPT0_lPiS5_lS6_.has_dyn_sized_stack, 0
	.set _ZN9rocsolver6v33100L22bdsqr_update_endpointsI19rocblas_complex_numIdEdEEviPT0_lPiS5_lS6_.has_recursion, 0
	.set _ZN9rocsolver6v33100L22bdsqr_update_endpointsI19rocblas_complex_numIdEdEEviPT0_lPiS5_lS6_.has_indirect_call, 0
	.section	.AMDGPU.csdata,"",@progbits
; Kernel info:
; codeLenInByte = 1000
; TotalNumSgprs: 25
; NumVgprs: 12
; ScratchSize: 0
; MemoryBound: 0
; FloatMode: 240
; IeeeMode: 1
; LDSByteSize: 0 bytes/workgroup (compile time only)
; SGPRBlocks: 0
; VGPRBlocks: 0
; NumSGPRsForWavesPerEU: 25
; NumVGPRsForWavesPerEU: 12
; NamedBarCnt: 0
; Occupancy: 16
; WaveLimiterHint : 1
; COMPUTE_PGM_RSRC2:SCRATCH_EN: 0
; COMPUTE_PGM_RSRC2:USER_SGPR: 2
; COMPUTE_PGM_RSRC2:TRAP_HANDLER: 0
; COMPUTE_PGM_RSRC2:TGID_X_EN: 1
; COMPUTE_PGM_RSRC2:TGID_Y_EN: 1
; COMPUTE_PGM_RSRC2:TGID_Z_EN: 1
; COMPUTE_PGM_RSRC2:TIDIG_COMP_CNT: 0
	.section	.text._ZN9rocsolver6v33100L19bdsqr_chk_completedI19rocblas_complex_numIdEdEEviiPiPT0_lS4_,"axG",@progbits,_ZN9rocsolver6v33100L19bdsqr_chk_completedI19rocblas_complex_numIdEdEEviiPiPT0_lS4_,comdat
	.globl	_ZN9rocsolver6v33100L19bdsqr_chk_completedI19rocblas_complex_numIdEdEEviiPiPT0_lS4_ ; -- Begin function _ZN9rocsolver6v33100L19bdsqr_chk_completedI19rocblas_complex_numIdEdEEviiPiPT0_lS4_
	.p2align	8
	.type	_ZN9rocsolver6v33100L19bdsqr_chk_completedI19rocblas_complex_numIdEdEEviiPiPT0_lS4_,@function
_ZN9rocsolver6v33100L19bdsqr_chk_completedI19rocblas_complex_numIdEdEEviiPiPT0_lS4_: ; @_ZN9rocsolver6v33100L19bdsqr_chk_completedI19rocblas_complex_numIdEdEEviiPiPT0_lS4_
; %bb.0:
	s_load_b256 s[4:11], s[0:1], 0x8
	s_bfe_u32 s2, ttmp6, 0x40010
	s_bfe_u32 s3, ttmp6, 0x40004
	s_add_co_i32 s2, s2, 1
	s_getreg_b32 s12, hwreg(HW_REG_IB_STS2, 6, 4)
	s_mul_i32 s2, ttmp7, s2
	s_delay_alu instid0(SALU_CYCLE_1) | instskip(SKIP_2) | instid1(SALU_CYCLE_1)
	s_add_co_i32 s3, s3, s2
	s_cmp_eq_u32 s12, 0
	s_cselect_b32 s12, ttmp7, s3
	s_ashr_i32 s13, s12, 31
	s_delay_alu instid0(SALU_CYCLE_1)
	s_lshl_b64 s[2:3], s[12:13], 2
	s_wait_kmcnt 0x0
	s_add_nc_u64 s[2:3], s[10:11], s[2:3]
	s_load_b32 s14, s[2:3], 0x8
	s_wait_kmcnt 0x0
	s_cmp_lg_u32 s14, 0
	s_cbranch_scc0 .LBB140_2
.LBB140_1:
	s_endpgm
.LBB140_2:
	s_mul_u64 s[8:9], s[8:9], s[12:13]
	v_mov_b32_e32 v2, 0
	s_lshl_b64 s[8:9], s[8:9], 3
	s_delay_alu instid0(SALU_CYCLE_1)
	s_add_nc_u64 s[8:9], s[6:7], s[8:9]
	s_load_b32 s6, s[10:11], 0x4
	s_load_b128 s[16:19], s[8:9], 0x10
	v_mov_b32_e32 v3, v2
	s_wait_kmcnt 0x0
	v_add_f64_e64 v[0:1], s[16:17], s[18:19]
	s_delay_alu instid0(VALU_DEP_1) | instskip(NEXT) | instid1(VALU_DEP_1)
	v_cvt_i32_f64_e32 v4, v[0:1]
	v_cvt_f64_i32_e32 v[0:1], v4
	v_cmp_ge_i32_e32 vcc_lo, s6, v4
	global_store_b128 v2, v[0:3], s[8:9] offset:16
	s_cbranch_vccnz .LBB140_6
; %bb.3:
	v_mov_b32_e32 v5, s6
	s_mov_b32 s6, 0
.LBB140_4:                              ; =>This Inner Loop Header: Depth=1
	s_wait_xcnt 0x0
	global_atomic_cmpswap_b32 v5, v2, v[4:5], s[10:11] offset:4 th:TH_ATOMIC_RETURN scope:SCOPE_DEV
	s_wait_loadcnt 0x0
	v_cmp_ge_i32_e32 vcc_lo, v5, v4
	s_or_b32 s6, vcc_lo, s6
	s_wait_xcnt 0x0
	s_and_not1_b32 exec_lo, exec_lo, s6
	s_cbranch_execnz .LBB140_4
; %bb.5:
	s_or_b32 exec_lo, exec_lo, s6
.LBB140_6:
	v_cmp_gt_i32_e32 vcc_lo, 1, v4
	s_cbranch_vccnz .LBB140_14
; %bb.7:
	s_load_b64 s[0:1], s[0:1], 0x0
	v_mov_b32_e32 v0, 0
	s_wait_kmcnt 0x0
	s_mul_i32 s0, s12, s0
	s_delay_alu instid0(SALU_CYCLE_1) | instskip(NEXT) | instid1(SALU_CYCLE_1)
	s_lshl_b32 s6, s0, 1
	s_ashr_i32 s7, s6, 31
	s_delay_alu instid0(SALU_CYCLE_1) | instskip(NEXT) | instid1(SALU_CYCLE_1)
	s_lshl_b64 s[6:7], s[6:7], 2
	s_add_nc_u64 s[4:5], s[4:5], s[6:7]
	s_delay_alu instid0(SALU_CYCLE_1)
	s_add_nc_u64 s[4:5], s[4:5], 12
	s_branch .LBB140_9
.LBB140_8:                              ;   in Loop: Header=BB140_9 Depth=1
	v_add_nc_u32_e32 v4, -1, v4
	s_wait_xcnt 0x0
	s_add_nc_u64 s[4:5], s[4:5], 16
	s_mov_b32 s0, 0
	s_delay_alu instid0(VALU_DEP_1)
	v_cmp_eq_u32_e64 s6, 0, v4
	s_and_not1_b32 vcc_lo, exec_lo, s6
	s_cbranch_vccz .LBB140_13
.LBB140_9:                              ; =>This Inner Loop Header: Depth=1
	global_load_b64 v[2:3], v0, s[4:5] offset:-8
	s_mov_b32 s0, -1
	s_wait_loadcnt 0x0
	v_cmp_ge_i32_e32 vcc_lo, v2, v3
	s_cbranch_vccnz .LBB140_11
; %bb.10:                               ;   in Loop: Header=BB140_9 Depth=1
	global_load_b32 v1, v0, s[4:5]
	s_wait_loadcnt 0x0
	v_cmp_le_i32_e64 s0, s1, v1
.LBB140_11:                             ;   in Loop: Header=BB140_9 Depth=1
	s_delay_alu instid0(VALU_DEP_1)
	s_and_not1_b32 vcc_lo, exec_lo, s0
	s_cbranch_vccz .LBB140_8
; %bb.12:
	s_mov_b32 s0, -1
                                        ; implicit-def: $vgpr4
                                        ; implicit-def: $sgpr4_sgpr5
.LBB140_13:
	s_delay_alu instid0(SALU_CYCLE_1) | instskip(NEXT) | instid1(SALU_CYCLE_1)
	s_xor_b32 s0, s0, -1
	s_and_b32 vcc_lo, exec_lo, s0
	s_cbranch_vccz .LBB140_1
	s_branch .LBB140_15
.LBB140_14:
	s_cbranch_execz .LBB140_1
.LBB140_15:
	s_mov_b32 s0, exec_lo
	s_wait_xcnt 0x0
	v_dual_mov_b32 v0, 0 :: v_dual_mov_b32 v2, 1
	v_mbcnt_lo_u32_b32 v1, s0, 0
	s_mov_b32 s1, exec_lo
	global_store_b32 v0, v2, s[2:3] offset:8
	s_wait_xcnt 0x0
	v_cmpx_eq_u32_e32 0, v1
	s_cbranch_execz .LBB140_1
; %bb.16:
	s_bcnt1_i32_b32 s0, s0
	s_delay_alu instid0(SALU_CYCLE_1)
	v_mov_b32_e32 v1, s0
	global_atomic_add_u32 v0, v1, s[10:11] scope:SCOPE_DEV
	s_endpgm
	.section	.rodata,"a",@progbits
	.p2align	6, 0x0
	.amdhsa_kernel _ZN9rocsolver6v33100L19bdsqr_chk_completedI19rocblas_complex_numIdEdEEviiPiPT0_lS4_
		.amdhsa_group_segment_fixed_size 0
		.amdhsa_private_segment_fixed_size 0
		.amdhsa_kernarg_size 40
		.amdhsa_user_sgpr_count 2
		.amdhsa_user_sgpr_dispatch_ptr 0
		.amdhsa_user_sgpr_queue_ptr 0
		.amdhsa_user_sgpr_kernarg_segment_ptr 1
		.amdhsa_user_sgpr_dispatch_id 0
		.amdhsa_user_sgpr_kernarg_preload_length 0
		.amdhsa_user_sgpr_kernarg_preload_offset 0
		.amdhsa_user_sgpr_private_segment_size 0
		.amdhsa_wavefront_size32 1
		.amdhsa_uses_dynamic_stack 0
		.amdhsa_enable_private_segment 0
		.amdhsa_system_sgpr_workgroup_id_x 1
		.amdhsa_system_sgpr_workgroup_id_y 1
		.amdhsa_system_sgpr_workgroup_id_z 0
		.amdhsa_system_sgpr_workgroup_info 0
		.amdhsa_system_vgpr_workitem_id 0
		.amdhsa_next_free_vgpr 6
		.amdhsa_next_free_sgpr 20
		.amdhsa_named_barrier_count 0
		.amdhsa_reserve_vcc 1
		.amdhsa_float_round_mode_32 0
		.amdhsa_float_round_mode_16_64 0
		.amdhsa_float_denorm_mode_32 3
		.amdhsa_float_denorm_mode_16_64 3
		.amdhsa_fp16_overflow 0
		.amdhsa_memory_ordered 1
		.amdhsa_forward_progress 1
		.amdhsa_inst_pref_size 4
		.amdhsa_round_robin_scheduling 0
		.amdhsa_exception_fp_ieee_invalid_op 0
		.amdhsa_exception_fp_denorm_src 0
		.amdhsa_exception_fp_ieee_div_zero 0
		.amdhsa_exception_fp_ieee_overflow 0
		.amdhsa_exception_fp_ieee_underflow 0
		.amdhsa_exception_fp_ieee_inexact 0
		.amdhsa_exception_int_div_zero 0
	.end_amdhsa_kernel
	.section	.text._ZN9rocsolver6v33100L19bdsqr_chk_completedI19rocblas_complex_numIdEdEEviiPiPT0_lS4_,"axG",@progbits,_ZN9rocsolver6v33100L19bdsqr_chk_completedI19rocblas_complex_numIdEdEEviiPiPT0_lS4_,comdat
.Lfunc_end140:
	.size	_ZN9rocsolver6v33100L19bdsqr_chk_completedI19rocblas_complex_numIdEdEEviiPiPT0_lS4_, .Lfunc_end140-_ZN9rocsolver6v33100L19bdsqr_chk_completedI19rocblas_complex_numIdEdEEviiPiPT0_lS4_
                                        ; -- End function
	.set _ZN9rocsolver6v33100L19bdsqr_chk_completedI19rocblas_complex_numIdEdEEviiPiPT0_lS4_.num_vgpr, 6
	.set _ZN9rocsolver6v33100L19bdsqr_chk_completedI19rocblas_complex_numIdEdEEviiPiPT0_lS4_.num_agpr, 0
	.set _ZN9rocsolver6v33100L19bdsqr_chk_completedI19rocblas_complex_numIdEdEEviiPiPT0_lS4_.numbered_sgpr, 20
	.set _ZN9rocsolver6v33100L19bdsqr_chk_completedI19rocblas_complex_numIdEdEEviiPiPT0_lS4_.num_named_barrier, 0
	.set _ZN9rocsolver6v33100L19bdsqr_chk_completedI19rocblas_complex_numIdEdEEviiPiPT0_lS4_.private_seg_size, 0
	.set _ZN9rocsolver6v33100L19bdsqr_chk_completedI19rocblas_complex_numIdEdEEviiPiPT0_lS4_.uses_vcc, 1
	.set _ZN9rocsolver6v33100L19bdsqr_chk_completedI19rocblas_complex_numIdEdEEviiPiPT0_lS4_.uses_flat_scratch, 0
	.set _ZN9rocsolver6v33100L19bdsqr_chk_completedI19rocblas_complex_numIdEdEEviiPiPT0_lS4_.has_dyn_sized_stack, 0
	.set _ZN9rocsolver6v33100L19bdsqr_chk_completedI19rocblas_complex_numIdEdEEviiPiPT0_lS4_.has_recursion, 0
	.set _ZN9rocsolver6v33100L19bdsqr_chk_completedI19rocblas_complex_numIdEdEEviiPiPT0_lS4_.has_indirect_call, 0
	.section	.AMDGPU.csdata,"",@progbits
; Kernel info:
; codeLenInByte = 508
; TotalNumSgprs: 22
; NumVgprs: 6
; ScratchSize: 0
; MemoryBound: 0
; FloatMode: 240
; IeeeMode: 1
; LDSByteSize: 0 bytes/workgroup (compile time only)
; SGPRBlocks: 0
; VGPRBlocks: 0
; NumSGPRsForWavesPerEU: 22
; NumVGPRsForWavesPerEU: 6
; NamedBarCnt: 0
; Occupancy: 16
; WaveLimiterHint : 0
; COMPUTE_PGM_RSRC2:SCRATCH_EN: 0
; COMPUTE_PGM_RSRC2:USER_SGPR: 2
; COMPUTE_PGM_RSRC2:TRAP_HANDLER: 0
; COMPUTE_PGM_RSRC2:TGID_X_EN: 1
; COMPUTE_PGM_RSRC2:TGID_Y_EN: 1
; COMPUTE_PGM_RSRC2:TGID_Z_EN: 0
; COMPUTE_PGM_RSRC2:TIDIG_COMP_CNT: 0
	.section	.text._ZN9rocsolver6v33100L14bdsqr_finalizeI19rocblas_complex_numIdEdPS3_S4_S4_EEviiiiPT0_lS6_lT1_iilT2_iilT3_iilPiSA_SA_,"axG",@progbits,_ZN9rocsolver6v33100L14bdsqr_finalizeI19rocblas_complex_numIdEdPS3_S4_S4_EEviiiiPT0_lS6_lT1_iilT2_iilT3_iilPiSA_SA_,comdat
	.globl	_ZN9rocsolver6v33100L14bdsqr_finalizeI19rocblas_complex_numIdEdPS3_S4_S4_EEviiiiPT0_lS6_lT1_iilT2_iilT3_iilPiSA_SA_ ; -- Begin function _ZN9rocsolver6v33100L14bdsqr_finalizeI19rocblas_complex_numIdEdPS3_S4_S4_EEviiiiPT0_lS6_lT1_iilT2_iilT3_iilPiSA_SA_
	.p2align	8
	.type	_ZN9rocsolver6v33100L14bdsqr_finalizeI19rocblas_complex_numIdEdPS3_S4_S4_EEviiiiPT0_lS6_lT1_iilT2_iilT3_iilPiSA_SA_,@function
_ZN9rocsolver6v33100L14bdsqr_finalizeI19rocblas_complex_numIdEdPS3_S4_S4_EEviiiiPT0_lS6_lT1_iilT2_iilT3_iilPiSA_SA_: ; @_ZN9rocsolver6v33100L14bdsqr_finalizeI19rocblas_complex_numIdEdPS3_S4_S4_EEviiiiPT0_lS6_lT1_iilT2_iilT3_iilPiSA_SA_
; %bb.0:
	s_load_b256 s[36:43], s[2:3], 0x70
	s_bfe_u32 s4, ttmp6, 0x40010
	s_bfe_u32 s5, ttmp6, 0x40004
	s_add_co_i32 s4, s4, 1
	s_getreg_b32 s6, hwreg(HW_REG_IB_STS2, 6, 4)
	s_mul_i32 s4, ttmp7, s4
	s_mov_b32 s32, 0
	s_add_co_i32 s5, s5, s4
	s_cmp_eq_u32 s6, 0
	s_cselect_b32 s8, ttmp7, s5
	s_delay_alu instid0(SALU_CYCLE_1) | instskip(NEXT) | instid1(SALU_CYCLE_1)
	s_ashr_i32 s9, s8, 31
	s_lshl_b64 s[22:23], s[8:9], 2
	s_wait_kmcnt 0x0
	s_add_nc_u64 s[4:5], s[42:43], s[22:23]
	s_load_b32 s4, s[4:5], 0x8
	s_wait_kmcnt 0x0
	s_cmp_gt_i32 s4, 1
	s_cbranch_scc1 .LBB141_311
; %bb.1:
	s_clause 0x2
	s_load_b64 s[10:11], s[2:3], 0x9c
	s_load_b256 s[44:51], s[2:3], 0x30
	s_load_b256 s[52:59], s[2:3], 0x10
	s_mov_b64 s[28:29], 0
	s_mov_b64 s[34:35], 0
	s_wait_kmcnt 0x0
	s_and_b32 s11, s11, 0xffff
	s_cmp_eq_u64 s[44:45], 0
	s_cbranch_scc1 .LBB141_3
; %bb.2:
	s_mul_u64 s[4:5], s[48:49], s[8:9]
	s_ashr_i32 s7, s46, 31
	s_lshl_b64 s[4:5], s[4:5], 4
	s_mov_b32 s6, s46
	s_add_nc_u64 s[4:5], s[44:45], s[4:5]
	s_lshl_b64 s[6:7], s[6:7], 4
	s_delay_alu instid0(SALU_CYCLE_1)
	s_add_nc_u64 s[34:35], s[4:5], s[6:7]
.LBB141_3:
	s_clause 0x1
	s_load_b64 s[42:43], s[2:3], 0x50
	s_load_b128 s[4:7], s[2:3], 0x58
	s_cmp_eq_u64 s[50:51], 0
	s_cbranch_scc1 .LBB141_5
; %bb.4:
	s_wait_kmcnt 0x0
	s_mul_u64 s[4:5], s[4:5], s[8:9]
	s_ashr_i32 s13, s42, 31
	s_lshl_b64 s[4:5], s[4:5], 4
	s_mov_b32 s12, s42
	s_add_nc_u64 s[4:5], s[50:51], s[4:5]
	s_lshl_b64 s[12:13], s[12:13], 4
	s_delay_alu instid0(SALU_CYCLE_1)
	s_add_nc_u64 s[28:29], s[4:5], s[12:13]
.LBB141_5:
	s_load_b64 s[48:49], s[2:3], 0x68
	s_wait_kmcnt 0x0
	s_cmp_eq_u64 s[6:7], 0
	s_mov_b64 s[44:45], 0
	s_cbranch_scc1 .LBB141_7
; %bb.6:
	s_mul_u64 s[4:5], s[36:37], s[8:9]
	s_ashr_i32 s13, s48, 31
	s_lshl_b64 s[4:5], s[4:5], 4
	s_mov_b32 s12, s48
	s_add_nc_u64 s[4:5], s[6:7], s[4:5]
	s_lshl_b64 s[6:7], s[12:13], 4
	s_delay_alu instid0(SALU_CYCLE_1)
	s_add_nc_u64 s[44:45], s[4:5], s[6:7]
.LBB141_7:
	v_and_b32_e32 v43, 0x3ff, v0
	v_bfe_u32 v44, v0, 10, 10
	s_and_b32 s21, s10, 0xffff
	s_load_b128 s[24:27], s[2:3], 0x0
	v_bfe_u32 v45, v0, 20, 10
	s_lshr_b32 s4, s10, 16
	v_mad_u32_u24 v0, v44, s21, v43
	s_mul_i32 s46, s4, s21
	s_mul_u64 s[4:5], s[54:55], s[8:9]
	s_delay_alu instid0(SALU_CYCLE_1) | instskip(NEXT) | instid1(VALU_DEP_1)
	s_lshl_b64 s[50:51], s[4:5], 3
	v_mad_u32 v41, s46, v45, v0
	s_and_b32 s5, s11, 0xffff
	s_add_nc_u64 s[36:37], s[52:53], s[50:51]
	s_mul_i32 s46, s46, s5
	s_delay_alu instid0(VALU_DEP_1)
	v_cmp_eq_u32_e64 s4, 0, v41
	s_wait_kmcnt 0x0
	s_cmp_lt_i32 s24, 1
	s_cbranch_scc1 .LBB141_22
; %bb.8:
	s_mul_u64 s[6:7], s[58:59], s[8:9]
	s_add_co_i32 s9, s24, -1
	s_lshl_b64 s[6:7], s[6:7], 3
	v_cmp_gt_u32_e64 s5, s25, v41
	v_mov_b32_e32 v1, 0
	s_cmp_lg_u32 s25, 0
	s_mov_b32 s11, 0
	s_add_nc_u64 s[6:7], s[56:57], s[6:7]
	s_cselect_b32 s18, -1, 0
	s_ashr_i32 s13, s47, 31
	s_mov_b32 s12, s47
	s_mov_b32 s10, s11
	;; [unrolled: 1-line block ×3, first 2 shown]
	s_branch .LBB141_11
.LBB141_9:                              ;   in Loop: Header=BB141_11 Depth=1
	s_wait_xcnt 0x0
	s_or_b32 exec_lo, exec_lo, s16
.LBB141_10:                             ;   in Loop: Header=BB141_11 Depth=1
	s_add_co_i32 s10, s10, 1
	s_delay_alu instid0(SALU_CYCLE_1)
	s_cmp_eq_u32 s10, s24
	s_cbranch_scc1 .LBB141_23
.LBB141_11:                             ; =>This Loop Header: Depth=1
                                        ;     Child Loop BB141_18 Depth 2
	s_cmp_ge_i32 s10, s9
	s_cbranch_scc1 .LBB141_14
; %bb.12:                               ;   in Loop: Header=BB141_11 Depth=1
	s_wait_xcnt 0x0
	s_lshl_b64 s[14:15], s[10:11], 3
	s_delay_alu instid0(SALU_CYCLE_1)
	s_add_nc_u64 s[14:15], s[6:7], s[14:15]
	global_load_b64 v[2:3], v1, s[14:15]
	s_wait_loadcnt 0x0
	v_cmp_eq_f64_e32 vcc_lo, 0, v[2:3]
	s_cbranch_vccnz .LBB141_14
; %bb.13:                               ;   in Loop: Header=BB141_11 Depth=1
	s_add_co_i32 s42, s42, 1
.LBB141_14:                             ;   in Loop: Header=BB141_11 Depth=1
	s_wait_xcnt 0x0
	s_lshl_b64 s[14:15], s[10:11], 3
	s_delay_alu instid0(SALU_CYCLE_1)
	s_add_nc_u64 s[14:15], s[36:37], s[14:15]
	global_load_b64 v[2:3], v1, s[14:15]
	s_wait_loadcnt 0x0
	v_cmp_ngt_f64_e32 vcc_lo, 0, v[2:3]
	s_cbranch_vccnz .LBB141_10
; %bb.15:                               ;   in Loop: Header=BB141_11 Depth=1
	s_and_not1_b32 vcc_lo, exec_lo, s18
	s_cbranch_vccnz .LBB141_20
; %bb.16:                               ;   in Loop: Header=BB141_11 Depth=1
	s_wait_xcnt 0x0
	s_and_saveexec_b32 s19, s5
	s_cbranch_execz .LBB141_19
; %bb.17:                               ;   in Loop: Header=BB141_11 Depth=1
	v_mov_b32_e32 v0, v41
	s_lshl_b64 s[16:17], s[10:11], 4
	s_mov_b32 s20, 0
	s_add_nc_u64 s[16:17], s[34:35], s[16:17]
.LBB141_18:                             ;   Parent Loop BB141_11 Depth=1
                                        ; =>  This Inner Loop Header: Depth=2
	s_delay_alu instid0(VALU_DEP_1) | instskip(SKIP_1) | instid1(VALU_DEP_1)
	v_mul_u64_e32 v[2:3], s[12:13], v[0:1]
	v_add_nc_u32_e32 v0, s46, v0
	v_cmp_le_u32_e32 vcc_lo, s25, v0
	s_or_b32 s20, vcc_lo, s20
	s_delay_alu instid0(VALU_DEP_3)
	v_lshl_add_u64 v[6:7], v[2:3], 4, s[16:17]
	global_load_b128 v[2:5], v[6:7], off
	s_wait_loadcnt 0x0
	v_xor_b32_e32 v3, 0x80000000, v3
	v_xor_b32_e32 v5, 0x80000000, v5
	global_store_b128 v[6:7], v[2:5], off
	s_wait_xcnt 0x0
	s_and_not1_b32 exec_lo, exec_lo, s20
	s_cbranch_execnz .LBB141_18
.LBB141_19:                             ;   in Loop: Header=BB141_11 Depth=1
	s_or_b32 exec_lo, exec_lo, s19
	s_wait_storecnt 0x0
	s_barrier_signal -1
	s_barrier_wait -1
.LBB141_20:                             ;   in Loop: Header=BB141_11 Depth=1
	s_wait_xcnt 0x0
	s_and_saveexec_b32 s16, s4
	s_cbranch_execz .LBB141_9
; %bb.21:                               ;   in Loop: Header=BB141_11 Depth=1
	global_load_b64 v[2:3], v1, s[14:15]
	s_wait_loadcnt 0x0
	v_xor_b32_e32 v3, 0x80000000, v3
	global_store_b64 v1, v[2:3], s[14:15]
	s_branch .LBB141_9
.LBB141_22:
	s_mov_b32 s42, 0
.LBB141_23:
	s_delay_alu instid0(SALU_CYCLE_1)
	s_cmp_lt_i32 s42, 1
	s_mov_b32 s4, -1
	s_cbranch_scc0 .LBB141_308
; %bb.24:
	s_load_b64 s[4:5], s[0:1], 0x4
	s_wait_xcnt 0x0
	s_mul_i32 s0, s8, s24
	s_mov_b32 s54, 0
	s_lshl_b32 s0, s0, 1
	s_wait_storecnt 0x0
	s_ashr_i32 s1, s0, 31
	s_barrier_signal -1
	s_lshl_b64 s[0:1], s[0:1], 2
	s_cmp_lg_u64 s[40:41], 0
	s_add_nc_u64 s[0:1], s[40:41], s[0:1]
	s_barrier_wait -1
	s_cselect_b32 s41, s1, 0
	s_cselect_b32 s40, s0, 0
	s_wait_kmcnt 0x0
	s_lshr_b32 s0, s4, 16
	v_mul_u32_u24_e32 v1, s5, v44
	s_mul_i32 s0, s0, s5
	s_cmp_lg_u64 s[40:41], 0
	v_mul_lo_u32 v0, s0, v43
	s_delay_alu instid0(VALU_DEP_1)
	v_add3_u32 v42, v0, v1, v45
	s_cbranch_scc0 .LBB141_43
; %bb.25:
	s_or_b32 s0, s26, s25
	s_delay_alu instid0(SALU_CYCLE_1) | instskip(SKIP_4) | instid1(SALU_CYCLE_1)
	s_or_b32 s0, s0, s27
	s_cmp_gt_i32 s24, 0
	s_cselect_b32 s57, -1, 0
	s_cmp_lg_u64 s[52:53], 0
	s_cselect_b32 s1, -1, 0
	s_and_b32 s48, s57, s1
	s_cmp_eq_u32 s0, 0
	s_cbranch_scc1 .LBB141_44
; %bb.26:
	s_mov_b32 s58, -1
	s_mov_b32 s56, 0
	s_and_b32 vcc_lo, exec_lo, s48
	s_cbranch_vccz .LBB141_142
; %bb.27:
	s_mov_b32 s0, exec_lo
	s_barrier_signal -1
	s_barrier_wait -1
	v_cmpx_gt_u32_e64 s24, v41
	s_cbranch_execz .LBB141_30
; %bb.28:
	v_mov_b32_e32 v0, v41
	s_mov_b32 s1, 0
.LBB141_29:                             ; =>This Inner Loop Header: Depth=1
	global_store_b32 v0, v0, s[40:41] scale_offset
	s_wait_xcnt 0x0
	v_add_nc_u32_e32 v0, s46, v0
	s_delay_alu instid0(VALU_DEP_1) | instskip(SKIP_1) | instid1(SALU_CYCLE_1)
	v_cmp_le_u32_e32 vcc_lo, s24, v0
	s_or_b32 s1, vcc_lo, s1
	s_and_not1_b32 exec_lo, exec_lo, s1
	s_cbranch_execnz .LBB141_29
.LBB141_30:
	s_or_b32 exec_lo, exec_lo, s0
	v_or3_b32 v0, v44, v45, v43
	s_mov_b32 s14, exec_lo
	s_wait_storecnt 0x0
	s_barrier_signal -1
	s_barrier_wait -1
	v_cmpx_eq_u32_e32 0, v0
	s_cbranch_execz .LBB141_126
; %bb.31:
	s_cmp_lt_u32 s24, 0x2be
	s_cbranch_scc1 .LBB141_45
; %bb.32:
	v_mov_b32_e32 v4, 0
	s_mov_b64 s[0:1], 0xfffffffffffff50c
	s_mov_b64 s[4:5], 0xffffffffffffea18
	s_add_nc_u64 s[6:7], s[40:41], 0xaf4
	s_movk_i32 s15, 0x2bd
	s_movk_i32 s16, 0x57a
	s_mov_b64 s[8:9], s[36:37]
	s_branch .LBB141_34
.LBB141_33:                             ;   in Loop: Header=BB141_34 Depth=1
	v_mov_b32_e32 v2, s10
	s_add_co_i32 s15, s15, 1
	s_add_co_i32 s16, s16, 1
	s_add_nc_u64 s[6:7], s[6:7], 4
	s_add_nc_u64 s[8:9], s[8:9], 8
	s_cmp_eq_u32 s15, s24
	s_clause 0x1
	global_store_b64 v2, v[0:1], s[36:37] scale_offset
	global_store_b32 v2, v5, s[40:41] scale_offset
	s_cbranch_scc1 .LBB141_45
.LBB141_34:                             ; =>This Loop Header: Depth=1
                                        ;     Child Loop BB141_35 Depth 2
	s_wait_xcnt 0x0
	v_mov_b32_e32 v2, s15
	s_mov_b64 s[10:11], s[8:9]
	s_mov_b64 s[12:13], s[6:7]
	s_mov_b32 s17, s16
	s_clause 0x1
	global_load_b64 v[0:1], v2, s[36:37] scale_offset
	global_load_b32 v5, v2, s[40:41] scale_offset
.LBB141_35:                             ;   Parent Loop BB141_34 Depth=1
                                        ; =>  This Inner Loop Header: Depth=2
	global_load_b64 v[2:3], v4, s[10:11]
	s_mov_b32 s19, -1
	s_mov_b32 s20, -1
                                        ; implicit-def: $sgpr18
	s_wait_loadcnt 0x0
	v_cmp_nlt_f64_e32 vcc_lo, v[2:3], v[0:1]
	s_cbranch_vccnz .LBB141_37
; %bb.36:                               ;   in Loop: Header=BB141_35 Depth=2
	global_load_b32 v6, v4, s[12:13] offset:-2804
	s_add_co_i32 s18, s17, 0xfffffd43
	s_add_nc_u64 s[30:31], s[12:13], s[0:1]
	s_cmp_lt_i32 s18, 0x57a
	global_store_b64 v4, v[2:3], s[10:11] offset:5608
	s_wait_xcnt 0x0
	s_add_nc_u64 s[10:11], s[10:11], s[4:5]
	s_mov_b32 s19, 0
	s_cselect_b32 s20, -1, 0
	s_wait_loadcnt 0x0
	global_store_b32 v4, v6, s[12:13]
	s_wait_xcnt 0x0
	s_mov_b64 s[12:13], s[30:31]
.LBB141_37:                             ;   in Loop: Header=BB141_35 Depth=2
	s_and_not1_b32 vcc_lo, exec_lo, s20
	s_cbranch_vccz .LBB141_39
; %bb.38:                               ;   in Loop: Header=BB141_35 Depth=2
	s_mov_b32 s17, s18
	s_branch .LBB141_35
.LBB141_39:                             ;   in Loop: Header=BB141_34 Depth=1
	s_and_not1_b32 vcc_lo, exec_lo, s19
	s_wait_xcnt 0x0
	s_mov_b32 s11, -1
                                        ; implicit-def: $sgpr10
	s_cbranch_vccz .LBB141_41
; %bb.40:                               ;   in Loop: Header=BB141_34 Depth=1
	s_add_co_i32 s10, s18, 0xfffffd43
	s_mov_b32 s11, 0
.LBB141_41:                             ;   in Loop: Header=BB141_34 Depth=1
	s_delay_alu instid0(SALU_CYCLE_1)
	s_and_not1_b32 vcc_lo, exec_lo, s11
	s_cbranch_vccnz .LBB141_33
; %bb.42:                               ;   in Loop: Header=BB141_34 Depth=1
	s_add_co_i32 s10, s17, 0xfffffd43
	s_branch .LBB141_33
.LBB141_43:
	s_branch .LBB141_284
.LBB141_44:
	s_mov_b32 s56, 0
	s_cbranch_execnz .LBB141_168
	s_branch .LBB141_279
.LBB141_45:
	s_cmp_lt_i32 s24, 0x12e
	s_cbranch_scc1 .LBB141_57
; %bb.46:
	v_mov_b32_e32 v4, 0
	s_mov_b64 s[0:1], 0xfffffffffffffb4c
	s_mov_b64 s[4:5], 0xfffffffffffff698
	s_add_nc_u64 s[6:7], s[40:41], 0x4b4
	s_movk_i32 s15, 0x12d
	s_movk_i32 s16, 0x25a
	s_mov_b64 s[8:9], s[36:37]
	s_branch .LBB141_48
.LBB141_47:                             ;   in Loop: Header=BB141_48 Depth=1
	v_mov_b32_e32 v2, s10
	s_add_co_i32 s15, s15, 1
	s_add_co_i32 s16, s16, 1
	s_add_nc_u64 s[6:7], s[6:7], 4
	s_add_nc_u64 s[8:9], s[8:9], 8
	s_cmp_lg_u32 s15, s24
	s_clause 0x1
	global_store_b64 v2, v[0:1], s[36:37] scale_offset
	global_store_b32 v2, v5, s[40:41] scale_offset
	s_cbranch_scc0 .LBB141_57
.LBB141_48:                             ; =>This Loop Header: Depth=1
                                        ;     Child Loop BB141_49 Depth 2
	s_wait_xcnt 0x0
	v_mov_b32_e32 v2, s15
	s_mov_b64 s[10:11], s[8:9]
	s_mov_b64 s[12:13], s[6:7]
	s_mov_b32 s17, s16
	s_clause 0x1
	global_load_b64 v[0:1], v2, s[36:37] scale_offset
	global_load_b32 v5, v2, s[40:41] scale_offset
.LBB141_49:                             ;   Parent Loop BB141_48 Depth=1
                                        ; =>  This Inner Loop Header: Depth=2
	global_load_b64 v[2:3], v4, s[10:11]
	s_mov_b32 s19, -1
	s_mov_b32 s20, -1
                                        ; implicit-def: $sgpr18
	s_wait_loadcnt 0x0
	v_cmp_nlt_f64_e32 vcc_lo, v[2:3], v[0:1]
	s_cbranch_vccnz .LBB141_51
; %bb.50:                               ;   in Loop: Header=BB141_49 Depth=2
	global_load_b32 v6, v4, s[12:13] offset:-1204
	s_add_co_i32 s18, s17, 0xfffffed3
	s_add_nc_u64 s[30:31], s[12:13], s[0:1]
	s_cmp_lt_i32 s18, 0x25a
	global_store_b64 v4, v[2:3], s[10:11] offset:2408
	s_wait_xcnt 0x0
	s_add_nc_u64 s[10:11], s[10:11], s[4:5]
	s_mov_b32 s19, 0
	s_cselect_b32 s20, -1, 0
	s_wait_loadcnt 0x0
	global_store_b32 v4, v6, s[12:13]
	s_wait_xcnt 0x0
	s_mov_b64 s[12:13], s[30:31]
.LBB141_51:                             ;   in Loop: Header=BB141_49 Depth=2
	s_and_not1_b32 vcc_lo, exec_lo, s20
	s_cbranch_vccz .LBB141_53
; %bb.52:                               ;   in Loop: Header=BB141_49 Depth=2
	s_mov_b32 s17, s18
	s_branch .LBB141_49
.LBB141_53:                             ;   in Loop: Header=BB141_48 Depth=1
	s_and_not1_b32 vcc_lo, exec_lo, s19
	s_wait_xcnt 0x0
	s_mov_b32 s11, -1
                                        ; implicit-def: $sgpr10
	s_cbranch_vccz .LBB141_55
; %bb.54:                               ;   in Loop: Header=BB141_48 Depth=1
	s_add_co_i32 s10, s18, 0xfffffed3
	s_mov_b32 s11, 0
.LBB141_55:                             ;   in Loop: Header=BB141_48 Depth=1
	s_delay_alu instid0(SALU_CYCLE_1)
	s_and_not1_b32 vcc_lo, exec_lo, s11
	s_cbranch_vccnz .LBB141_47
; %bb.56:                               ;   in Loop: Header=BB141_48 Depth=1
	s_add_co_i32 s10, s17, 0xfffffed3
	s_branch .LBB141_47
.LBB141_57:
	s_cmp_lt_i32 s24, 0x85
	s_cbranch_scc1 .LBB141_69
; %bb.58:
	v_mov_b32_e32 v4, 0
	s_mov_b64 s[0:1], 0xfffffffffffffdf0
	s_mov_b64 s[4:5], 0xfffffffffffffbe0
	s_add_nc_u64 s[6:7], s[40:41], 0x210
	s_movk_i32 s15, 0x84
	s_movk_i32 s16, 0x108
	s_mov_b64 s[8:9], s[36:37]
	s_branch .LBB141_60
.LBB141_59:                             ;   in Loop: Header=BB141_60 Depth=1
	v_mov_b32_e32 v2, s10
	s_add_co_i32 s15, s15, 1
	s_add_co_i32 s16, s16, 1
	s_add_nc_u64 s[6:7], s[6:7], 4
	s_add_nc_u64 s[8:9], s[8:9], 8
	s_cmp_lg_u32 s15, s24
	s_clause 0x1
	global_store_b64 v2, v[0:1], s[36:37] scale_offset
	global_store_b32 v2, v5, s[40:41] scale_offset
	s_cbranch_scc0 .LBB141_69
.LBB141_60:                             ; =>This Loop Header: Depth=1
                                        ;     Child Loop BB141_61 Depth 2
	s_wait_xcnt 0x0
	v_mov_b32_e32 v2, s15
	s_mov_b64 s[10:11], s[8:9]
	s_mov_b64 s[12:13], s[6:7]
	s_mov_b32 s17, s16
	s_clause 0x1
	global_load_b64 v[0:1], v2, s[36:37] scale_offset
	global_load_b32 v5, v2, s[40:41] scale_offset
.LBB141_61:                             ;   Parent Loop BB141_60 Depth=1
                                        ; =>  This Inner Loop Header: Depth=2
	global_load_b64 v[2:3], v4, s[10:11]
	s_mov_b32 s19, -1
	s_mov_b32 s20, -1
                                        ; implicit-def: $sgpr18
	s_wait_loadcnt 0x0
	v_cmp_nlt_f64_e32 vcc_lo, v[2:3], v[0:1]
	s_cbranch_vccnz .LBB141_63
; %bb.62:                               ;   in Loop: Header=BB141_61 Depth=2
	global_load_b32 v6, v4, s[12:13] offset:-528
	s_add_co_i32 s18, s17, 0xffffff7c
	s_add_nc_u64 s[30:31], s[12:13], s[0:1]
	s_cmp_lt_i32 s18, 0x108
	global_store_b64 v4, v[2:3], s[10:11] offset:1056
	s_wait_xcnt 0x0
	s_add_nc_u64 s[10:11], s[10:11], s[4:5]
	s_mov_b32 s19, 0
	s_cselect_b32 s20, -1, 0
	s_wait_loadcnt 0x0
	global_store_b32 v4, v6, s[12:13]
	s_wait_xcnt 0x0
	s_mov_b64 s[12:13], s[30:31]
.LBB141_63:                             ;   in Loop: Header=BB141_61 Depth=2
	s_and_not1_b32 vcc_lo, exec_lo, s20
	s_cbranch_vccz .LBB141_65
; %bb.64:                               ;   in Loop: Header=BB141_61 Depth=2
	s_mov_b32 s17, s18
	s_branch .LBB141_61
.LBB141_65:                             ;   in Loop: Header=BB141_60 Depth=1
	s_and_not1_b32 vcc_lo, exec_lo, s19
	s_wait_xcnt 0x0
	s_mov_b32 s11, -1
                                        ; implicit-def: $sgpr10
	s_cbranch_vccz .LBB141_67
; %bb.66:                               ;   in Loop: Header=BB141_60 Depth=1
	s_add_co_i32 s10, s18, 0xffffff7c
	s_mov_b32 s11, 0
.LBB141_67:                             ;   in Loop: Header=BB141_60 Depth=1
	s_delay_alu instid0(SALU_CYCLE_1)
	s_and_not1_b32 vcc_lo, exec_lo, s11
	s_cbranch_vccnz .LBB141_59
; %bb.68:                               ;   in Loop: Header=BB141_60 Depth=1
	s_add_co_i32 s10, s17, 0xffffff7c
	s_branch .LBB141_59
.LBB141_69:
	s_cmp_lt_i32 s24, 58
	s_cbranch_scc1 .LBB141_81
; %bb.70:
	v_mov_b32_e32 v4, 0
	s_mov_b64 s[0:1], 0xffffffffffffff1c
	s_mov_b64 s[4:5], 0xfffffffffffffe38
	s_add_nc_u64 s[6:7], s[40:41], 0xe4
	s_mov_b32 s15, 57
	s_movk_i32 s16, 0x72
	s_mov_b64 s[8:9], s[36:37]
	s_branch .LBB141_72
.LBB141_71:                             ;   in Loop: Header=BB141_72 Depth=1
	v_mov_b32_e32 v2, s10
	s_add_co_i32 s15, s15, 1
	s_add_co_i32 s16, s16, 1
	s_add_nc_u64 s[6:7], s[6:7], 4
	s_add_nc_u64 s[8:9], s[8:9], 8
	s_cmp_lg_u32 s15, s24
	s_clause 0x1
	global_store_b64 v2, v[0:1], s[36:37] scale_offset
	global_store_b32 v2, v5, s[40:41] scale_offset
	s_cbranch_scc0 .LBB141_81
.LBB141_72:                             ; =>This Loop Header: Depth=1
                                        ;     Child Loop BB141_73 Depth 2
	s_wait_xcnt 0x0
	v_mov_b32_e32 v2, s15
	s_mov_b64 s[10:11], s[8:9]
	s_mov_b64 s[12:13], s[6:7]
	s_mov_b32 s17, s16
	s_clause 0x1
	global_load_b64 v[0:1], v2, s[36:37] scale_offset
	global_load_b32 v5, v2, s[40:41] scale_offset
.LBB141_73:                             ;   Parent Loop BB141_72 Depth=1
                                        ; =>  This Inner Loop Header: Depth=2
	global_load_b64 v[2:3], v4, s[10:11]
	s_mov_b32 s19, -1
	s_mov_b32 s20, -1
                                        ; implicit-def: $sgpr18
	s_wait_loadcnt 0x0
	v_cmp_nlt_f64_e32 vcc_lo, v[2:3], v[0:1]
	s_cbranch_vccnz .LBB141_75
; %bb.74:                               ;   in Loop: Header=BB141_73 Depth=2
	global_load_b32 v6, v4, s[12:13] offset:-228
	s_sub_co_i32 s18, s17, 57
	s_add_nc_u64 s[30:31], s[12:13], s[0:1]
	s_cmp_lt_i32 s18, 0x72
	global_store_b64 v4, v[2:3], s[10:11] offset:456
	s_wait_xcnt 0x0
	s_add_nc_u64 s[10:11], s[10:11], s[4:5]
	s_mov_b32 s19, 0
	s_cselect_b32 s20, -1, 0
	s_wait_loadcnt 0x0
	global_store_b32 v4, v6, s[12:13]
	s_wait_xcnt 0x0
	s_mov_b64 s[12:13], s[30:31]
.LBB141_75:                             ;   in Loop: Header=BB141_73 Depth=2
	s_and_not1_b32 vcc_lo, exec_lo, s20
	s_cbranch_vccz .LBB141_77
; %bb.76:                               ;   in Loop: Header=BB141_73 Depth=2
	s_mov_b32 s17, s18
	s_branch .LBB141_73
.LBB141_77:                             ;   in Loop: Header=BB141_72 Depth=1
	s_and_not1_b32 vcc_lo, exec_lo, s19
	s_wait_xcnt 0x0
	s_mov_b32 s11, -1
                                        ; implicit-def: $sgpr10
	s_cbranch_vccz .LBB141_79
; %bb.78:                               ;   in Loop: Header=BB141_72 Depth=1
	s_sub_co_i32 s10, s18, 57
	s_mov_b32 s11, 0
.LBB141_79:                             ;   in Loop: Header=BB141_72 Depth=1
	s_delay_alu instid0(SALU_CYCLE_1)
	s_and_not1_b32 vcc_lo, exec_lo, s11
	s_cbranch_vccnz .LBB141_71
; %bb.80:                               ;   in Loop: Header=BB141_72 Depth=1
	s_sub_co_i32 s10, s17, 57
	s_branch .LBB141_71
.LBB141_81:
	s_cmp_lt_i32 s24, 24
	s_cbranch_scc1 .LBB141_93
; %bb.82:
	v_mov_b32_e32 v4, 0
	s_mov_b64 s[0:1], 0xffffffffffffffa4
	s_mov_b64 s[4:5], 0xffffffffffffff48
	s_add_nc_u64 s[6:7], s[40:41], 0x5c
	s_mov_b32 s15, 23
	s_mov_b32 s16, 46
	s_mov_b64 s[8:9], s[36:37]
	s_branch .LBB141_84
.LBB141_83:                             ;   in Loop: Header=BB141_84 Depth=1
	v_mov_b32_e32 v2, s10
	s_add_co_i32 s15, s15, 1
	s_add_co_i32 s16, s16, 1
	s_add_nc_u64 s[6:7], s[6:7], 4
	s_add_nc_u64 s[8:9], s[8:9], 8
	s_cmp_lg_u32 s15, s24
	s_clause 0x1
	global_store_b64 v2, v[0:1], s[36:37] scale_offset
	global_store_b32 v2, v5, s[40:41] scale_offset
	s_cbranch_scc0 .LBB141_93
.LBB141_84:                             ; =>This Loop Header: Depth=1
                                        ;     Child Loop BB141_85 Depth 2
	s_wait_xcnt 0x0
	v_mov_b32_e32 v2, s15
	s_mov_b64 s[10:11], s[8:9]
	s_mov_b64 s[12:13], s[6:7]
	s_mov_b32 s17, s16
	s_clause 0x1
	global_load_b64 v[0:1], v2, s[36:37] scale_offset
	global_load_b32 v5, v2, s[40:41] scale_offset
.LBB141_85:                             ;   Parent Loop BB141_84 Depth=1
                                        ; =>  This Inner Loop Header: Depth=2
	global_load_b64 v[2:3], v4, s[10:11]
	s_mov_b32 s19, -1
	s_mov_b32 s20, -1
                                        ; implicit-def: $sgpr18
	s_wait_loadcnt 0x0
	v_cmp_nlt_f64_e32 vcc_lo, v[2:3], v[0:1]
	s_cbranch_vccnz .LBB141_87
; %bb.86:                               ;   in Loop: Header=BB141_85 Depth=2
	global_load_b32 v6, v4, s[12:13] offset:-92
	s_sub_co_i32 s18, s17, 23
	s_add_nc_u64 s[30:31], s[12:13], s[0:1]
	s_cmp_lt_i32 s18, 46
	global_store_b64 v4, v[2:3], s[10:11] offset:184
	s_wait_xcnt 0x0
	s_add_nc_u64 s[10:11], s[10:11], s[4:5]
	s_mov_b32 s19, 0
	s_cselect_b32 s20, -1, 0
	s_wait_loadcnt 0x0
	global_store_b32 v4, v6, s[12:13]
	s_wait_xcnt 0x0
	s_mov_b64 s[12:13], s[30:31]
.LBB141_87:                             ;   in Loop: Header=BB141_85 Depth=2
	s_and_not1_b32 vcc_lo, exec_lo, s20
	s_cbranch_vccz .LBB141_89
; %bb.88:                               ;   in Loop: Header=BB141_85 Depth=2
	s_mov_b32 s17, s18
	s_branch .LBB141_85
.LBB141_89:                             ;   in Loop: Header=BB141_84 Depth=1
	s_and_not1_b32 vcc_lo, exec_lo, s19
	s_wait_xcnt 0x0
	s_mov_b32 s11, -1
                                        ; implicit-def: $sgpr10
	s_cbranch_vccz .LBB141_91
; %bb.90:                               ;   in Loop: Header=BB141_84 Depth=1
	s_sub_co_i32 s10, s18, 23
	s_mov_b32 s11, 0
.LBB141_91:                             ;   in Loop: Header=BB141_84 Depth=1
	s_delay_alu instid0(SALU_CYCLE_1)
	s_and_not1_b32 vcc_lo, exec_lo, s11
	s_cbranch_vccnz .LBB141_83
; %bb.92:                               ;   in Loop: Header=BB141_84 Depth=1
	s_sub_co_i32 s10, s17, 23
	s_branch .LBB141_83
.LBB141_93:
	s_cmp_lt_i32 s24, 11
	s_cbranch_scc1 .LBB141_105
; %bb.94:
	v_mov_b32_e32 v4, 0
	s_mov_b64 s[0:1], 0xffffffffffffffd8
	s_mov_b64 s[4:5], 0xffffffffffffffb0
	s_add_nc_u64 s[6:7], s[40:41], 40
	s_mov_b32 s15, 10
	s_mov_b32 s16, 20
	s_mov_b64 s[8:9], s[36:37]
	s_branch .LBB141_96
.LBB141_95:                             ;   in Loop: Header=BB141_96 Depth=1
	v_mov_b32_e32 v2, s10
	s_add_co_i32 s15, s15, 1
	s_add_co_i32 s16, s16, 1
	s_add_nc_u64 s[6:7], s[6:7], 4
	s_add_nc_u64 s[8:9], s[8:9], 8
	s_cmp_lg_u32 s15, s24
	s_clause 0x1
	global_store_b64 v2, v[0:1], s[36:37] scale_offset
	global_store_b32 v2, v5, s[40:41] scale_offset
	s_cbranch_scc0 .LBB141_105
.LBB141_96:                             ; =>This Loop Header: Depth=1
                                        ;     Child Loop BB141_97 Depth 2
	s_wait_xcnt 0x0
	v_mov_b32_e32 v2, s15
	s_mov_b64 s[10:11], s[8:9]
	s_mov_b64 s[12:13], s[6:7]
	s_mov_b32 s17, s16
	s_clause 0x1
	global_load_b64 v[0:1], v2, s[36:37] scale_offset
	global_load_b32 v5, v2, s[40:41] scale_offset
.LBB141_97:                             ;   Parent Loop BB141_96 Depth=1
                                        ; =>  This Inner Loop Header: Depth=2
	global_load_b64 v[2:3], v4, s[10:11]
	s_mov_b32 s19, -1
	s_mov_b32 s20, -1
                                        ; implicit-def: $sgpr18
	s_wait_loadcnt 0x0
	v_cmp_nlt_f64_e32 vcc_lo, v[2:3], v[0:1]
	s_cbranch_vccnz .LBB141_99
; %bb.98:                               ;   in Loop: Header=BB141_97 Depth=2
	global_load_b32 v6, v4, s[12:13] offset:-40
	s_add_co_i32 s18, s17, -10
	s_add_nc_u64 s[30:31], s[12:13], s[0:1]
	s_cmp_lt_i32 s18, 20
	global_store_b64 v4, v[2:3], s[10:11] offset:80
	s_wait_xcnt 0x0
	s_add_nc_u64 s[10:11], s[10:11], s[4:5]
	s_mov_b32 s19, 0
	s_cselect_b32 s20, -1, 0
	s_wait_loadcnt 0x0
	global_store_b32 v4, v6, s[12:13]
	s_wait_xcnt 0x0
	s_mov_b64 s[12:13], s[30:31]
.LBB141_99:                             ;   in Loop: Header=BB141_97 Depth=2
	s_and_not1_b32 vcc_lo, exec_lo, s20
	s_cbranch_vccz .LBB141_101
; %bb.100:                              ;   in Loop: Header=BB141_97 Depth=2
	s_mov_b32 s17, s18
	s_branch .LBB141_97
.LBB141_101:                            ;   in Loop: Header=BB141_96 Depth=1
	s_and_not1_b32 vcc_lo, exec_lo, s19
	s_wait_xcnt 0x0
	s_mov_b32 s11, -1
                                        ; implicit-def: $sgpr10
	s_cbranch_vccz .LBB141_103
; %bb.102:                              ;   in Loop: Header=BB141_96 Depth=1
	s_add_co_i32 s10, s18, -10
	s_mov_b32 s11, 0
.LBB141_103:                            ;   in Loop: Header=BB141_96 Depth=1
	s_delay_alu instid0(SALU_CYCLE_1)
	s_and_not1_b32 vcc_lo, exec_lo, s11
	s_cbranch_vccnz .LBB141_95
; %bb.104:                              ;   in Loop: Header=BB141_96 Depth=1
	s_add_co_i32 s10, s17, -10
	s_branch .LBB141_95
.LBB141_105:
	s_cmp_lt_i32 s24, 5
	s_cbranch_scc1 .LBB141_117
; %bb.106:
	v_mov_b32_e32 v4, 0
	s_add_nc_u64 s[6:7], s[52:53], s[50:51]
	s_add_nc_u64 s[0:1], s[40:41], 16
	s_mov_b64 s[4:5], 0xffffffffffffffe0
	s_add_nc_u64 s[6:7], s[6:7], 32
	s_mov_b32 s12, 4
	s_mov_b32 s13, 8
	s_branch .LBB141_108
.LBB141_107:                            ;   in Loop: Header=BB141_108 Depth=1
	v_mov_b32_e32 v2, s8
	s_add_co_i32 s12, s12, 1
	s_add_co_i32 s13, s13, 1
	s_add_nc_u64 s[0:1], s[0:1], 4
	s_add_nc_u64 s[6:7], s[6:7], 8
	s_cmp_lg_u32 s12, s24
	s_clause 0x1
	global_store_b64 v2, v[0:1], s[36:37] scale_offset
	global_store_b32 v2, v5, s[40:41] scale_offset
	s_cbranch_scc0 .LBB141_117
.LBB141_108:                            ; =>This Loop Header: Depth=1
                                        ;     Child Loop BB141_109 Depth 2
	s_wait_xcnt 0x0
	v_mov_b32_e32 v2, s12
	s_mov_b64 s[8:9], s[6:7]
	s_mov_b64 s[10:11], s[0:1]
	s_mov_b32 s15, s13
	s_clause 0x1
	global_load_b64 v[0:1], v2, s[36:37] scale_offset
	global_load_b32 v5, v2, s[40:41] scale_offset
.LBB141_109:                            ;   Parent Loop BB141_108 Depth=1
                                        ; =>  This Inner Loop Header: Depth=2
	global_load_b64 v[2:3], v4, s[8:9] offset:-32
	s_mov_b32 s17, -1
	s_mov_b32 s18, -1
                                        ; implicit-def: $sgpr16
	s_wait_loadcnt 0x0
	v_cmp_nlt_f64_e32 vcc_lo, v[2:3], v[0:1]
	s_cbranch_vccnz .LBB141_111
; %bb.110:                              ;   in Loop: Header=BB141_109 Depth=2
	global_load_b32 v6, v4, s[10:11] offset:-16
	s_add_co_i32 s16, s15, -4
	s_add_nc_u64 s[30:31], s[10:11], -16
	s_cmp_lt_i32 s16, 8
	s_mov_b32 s17, 0
	s_cselect_b32 s18, -1, 0
	global_store_b64 v4, v[2:3], s[8:9]
	s_wait_loadcnt 0x0
	global_store_b32 v4, v6, s[10:11]
	s_wait_xcnt 0x0
	s_mov_b64 s[10:11], s[30:31]
.LBB141_111:                            ;   in Loop: Header=BB141_109 Depth=2
	s_and_not1_b32 vcc_lo, exec_lo, s18
	s_wait_xcnt 0x0
	s_add_nc_u64 s[8:9], s[8:9], s[4:5]
	s_cbranch_vccz .LBB141_113
; %bb.112:                              ;   in Loop: Header=BB141_109 Depth=2
	s_mov_b32 s15, s16
	s_branch .LBB141_109
.LBB141_113:                            ;   in Loop: Header=BB141_108 Depth=1
	s_and_not1_b32 vcc_lo, exec_lo, s17
	s_mov_b32 s9, -1
                                        ; implicit-def: $sgpr8
	s_cbranch_vccz .LBB141_115
; %bb.114:                              ;   in Loop: Header=BB141_108 Depth=1
	s_add_co_i32 s8, s16, -4
	s_mov_b32 s9, 0
.LBB141_115:                            ;   in Loop: Header=BB141_108 Depth=1
	s_delay_alu instid0(SALU_CYCLE_1)
	s_and_not1_b32 vcc_lo, exec_lo, s9
	s_cbranch_vccnz .LBB141_107
; %bb.116:                              ;   in Loop: Header=BB141_108 Depth=1
	s_add_co_i32 s8, s15, -4
	s_branch .LBB141_107
.LBB141_117:
	s_cmp_lt_i32 s24, 2
	s_mov_b32 s10, 2
	s_cbranch_scc1 .LBB141_126
; %bb.118:
	v_mov_b32_e32 v4, 0
	s_add_nc_u64 s[4:5], s[52:53], s[50:51]
	s_add_nc_u64 s[0:1], s[40:41], 4
	s_add_nc_u64 s[4:5], s[4:5], 8
	s_mov_b32 s11, 1
	s_branch .LBB141_120
.LBB141_119:                            ;   in Loop: Header=BB141_120 Depth=1
	v_mov_b32_e32 v2, s6
	s_add_co_i32 s11, s11, 1
	s_add_co_i32 s10, s10, 1
	s_add_nc_u64 s[0:1], s[0:1], 4
	s_add_nc_u64 s[4:5], s[4:5], 8
	s_cmp_eq_u32 s11, s24
	s_clause 0x1
	global_store_b64 v2, v[0:1], s[36:37] scale_offset
	global_store_b32 v2, v5, s[40:41] scale_offset
	s_cbranch_scc1 .LBB141_126
.LBB141_120:                            ; =>This Loop Header: Depth=1
                                        ;     Child Loop BB141_122 Depth 2
	s_wait_xcnt 0x0
	v_mov_b32_e32 v2, s11
	s_mov_b64 s[6:7], s[4:5]
	s_mov_b64 s[8:9], s[0:1]
	s_mov_b32 s13, s10
	s_clause 0x1
	global_load_b64 v[0:1], v2, s[36:37] scale_offset
	global_load_b32 v5, v2, s[40:41] scale_offset
	s_branch .LBB141_122
.LBB141_121:                            ;   in Loop: Header=BB141_122 Depth=2
	s_and_not1_b32 vcc_lo, exec_lo, s16
	s_wait_xcnt 0x0
	s_add_nc_u64 s[6:7], s[6:7], -8
	s_cbranch_vccz .LBB141_124
.LBB141_122:                            ;   Parent Loop BB141_120 Depth=1
                                        ; =>  This Inner Loop Header: Depth=2
	global_load_b64 v[2:3], v4, s[6:7] offset:-8
	s_mov_b32 s12, s13
	s_mov_b32 s15, -1
	s_mov_b32 s16, -1
                                        ; implicit-def: $sgpr13
	s_wait_loadcnt 0x0
	v_cmp_nlt_f64_e32 vcc_lo, v[2:3], v[0:1]
	s_cbranch_vccnz .LBB141_121
; %bb.123:                              ;   in Loop: Header=BB141_122 Depth=2
	global_load_b32 v6, v4, s[8:9] offset:-4
	s_add_co_i32 s13, s12, -1
	s_add_nc_u64 s[18:19], s[8:9], -4
	s_cmp_lt_i32 s13, 2
	s_mov_b32 s15, 0
	s_cselect_b32 s16, -1, 0
	global_store_b64 v4, v[2:3], s[6:7]
	s_wait_loadcnt 0x0
	global_store_b32 v4, v6, s[8:9]
	s_wait_xcnt 0x0
	s_mov_b64 s[8:9], s[18:19]
	s_branch .LBB141_121
.LBB141_124:                            ;   in Loop: Header=BB141_120 Depth=1
	s_and_b32 vcc_lo, exec_lo, s15
	s_mov_b32 s6, 0
	s_cbranch_vccz .LBB141_119
; %bb.125:                              ;   in Loop: Header=BB141_120 Depth=1
	s_add_co_i32 s6, s12, -1
	s_branch .LBB141_119
.LBB141_126:
	s_wait_xcnt 0x0
	s_or_b32 exec_lo, exec_lo, s14
	s_cmp_lt_i32 s24, 2
	s_mov_b32 s58, 0
	s_cselect_b32 s5, -1, 0
	s_wait_storecnt 0x0
	s_and_b32 vcc_lo, exec_lo, s5
	s_barrier_signal -1
	s_barrier_wait -1
	s_cbranch_vccnz .LBB141_134
; %bb.127:
	s_add_co_i32 s4, s24, -1
	s_mov_b32 s5, -1
	s_mov_b32 s0, 0
	s_mov_b32 s1, exec_lo
	v_cmpx_gt_u32_e64 s4, v41
	s_cbranch_execz .LBB141_136
; %bb.128:
	v_dual_mov_b32 v1, 0 :: v_dual_mov_b32 v0, v41
	s_mov_b32 s5, 0
                                        ; implicit-def: $sgpr6
	s_branch .LBB141_130
.LBB141_129:                            ;   in Loop: Header=BB141_130 Depth=1
	s_or_b32 exec_lo, exec_lo, s9
	s_xor_b32 s7, s8, -1
	s_and_b32 s0, exec_lo, s0
	s_delay_alu instid0(SALU_CYCLE_1) | instskip(SKIP_2) | instid1(SALU_CYCLE_1)
	s_or_b32 s5, s0, s5
	s_and_not1_b32 s0, s6, exec_lo
	s_and_b32 s6, s7, exec_lo
	s_or_b32 s6, s0, s6
	s_and_not1_b32 exec_lo, exec_lo, s5
	s_cbranch_execz .LBB141_135
.LBB141_130:                            ; =>This Inner Loop Header: Depth=1
	global_load_b64 v[2:3], v0, s[36:37] scale_offset
	s_mov_b32 s8, exec_lo
	s_wait_loadcnt 0x0
	v_cmp_u_f64_e64 s7, v[2:3], v[2:3]
	v_cmpx_o_f64_e32 v[2:3], v[2:3]
	s_cbranch_execz .LBB141_132
; %bb.131:                              ;   in Loop: Header=BB141_130 Depth=1
	v_lshl_add_u64 v[4:5], v[0:1], 3, s[36:37]
	s_and_not1_b32 s7, s7, exec_lo
	global_load_b64 v[4:5], v[4:5], off offset:8
	s_wait_loadcnt 0x0
	v_cmp_u_f64_e32 vcc_lo, v[4:5], v[4:5]
	v_cmp_ge_f64_e64 s0, v[2:3], v[4:5]
	s_or_b32 s0, vcc_lo, s0
	s_delay_alu instid0(SALU_CYCLE_1) | instskip(NEXT) | instid1(SALU_CYCLE_1)
	s_and_b32 s0, s0, exec_lo
	s_or_b32 s7, s7, s0
.LBB141_132:                            ;   in Loop: Header=BB141_130 Depth=1
	s_or_b32 exec_lo, exec_lo, s8
	s_mov_b32 s0, -1
	s_mov_b32 s8, -1
	s_and_saveexec_b32 s9, s7
	s_cbranch_execz .LBB141_129
; %bb.133:                              ;   in Loop: Header=BB141_130 Depth=1
	v_add_nc_u32_e32 v0, s46, v0
	s_xor_b32 s8, exec_lo, -1
	s_delay_alu instid0(VALU_DEP_1)
	v_cmp_le_u32_e32 vcc_lo, s4, v0
	s_or_not1_b32 s0, vcc_lo, exec_lo
	s_branch .LBB141_129
.LBB141_134:
	s_mov_b32 s0, 0
	s_branch .LBB141_137
.LBB141_135:
	s_or_b32 exec_lo, exec_lo, s5
	s_delay_alu instid0(SALU_CYCLE_1)
	s_mov_b32 s0, exec_lo
	s_or_not1_b32 s5, s6, exec_lo
.LBB141_136:
	s_or_b32 exec_lo, exec_lo, s1
.LBB141_137:
	s_and_saveexec_b32 s1, s5
	s_cbranch_execz .LBB141_139
; %bb.138:
	s_mov_b32 s58, exec_lo
	s_barrier_signal -1
	s_barrier_wait -1
	s_and_not1_b32 s0, s0, exec_lo
.LBB141_139:
	s_or_b32 exec_lo, exec_lo, s1
	s_mov_b32 s54, 0
	s_and_saveexec_b32 s59, s0
	s_cbranch_execz .LBB141_141
; %bb.140:
	s_get_pc_i64 s[0:1]
	s_add_nc_u64 s[0:1], s[0:1], __PRETTY_FUNCTION__._ZN9rocsolver6v33100L21shell_sort_descendingIdiEEvT0_PT_PS2_@rel64+4
	s_add_nc_u64 s[8:9], s[2:3], 0x90
	v_dual_mov_b32 v0, s0 :: v_dual_mov_b32 v1, s1
	s_get_pc_i64 s[4:5]
	s_add_nc_u64 s[4:5], s[4:5], __assert_fail@rel64+4
	s_mov_b64 s[54:55], s[2:3]
	s_swap_pc_i64 s[30:31], s[4:5]
	s_mov_b64 s[2:3], s[54:55]
	s_mov_b32 s54, exec_lo
.LBB141_141:
	s_or_b32 exec_lo, exec_lo, s59
.LBB141_142:
	s_and_saveexec_b32 s20, s58
	s_cbranch_execz .LBB141_167
; %bb.143:
	s_and_not1_b32 vcc_lo, exec_lo, s57
	s_wait_storecnt 0x0
	s_barrier_signal -1
	s_barrier_wait -1
	s_cbranch_vccnz .LBB141_166
; %bb.144:
	v_dual_mov_b32 v1, 0 :: v_dual_lshlrev_b32 v6, 4, v42
	s_cmp_gt_i32 s25, 0
	v_cmp_eq_u32_e64 s0, 0, v41
	s_cselect_b32 s30, -1, 0
	s_ashr_i32 s9, s47, 31
	s_cmp_gt_i32 s26, 0
	v_add_nc_u32_e32 v7, 0x8000, v6
	v_add_nc_u32_e32 v8, 0x4000, v6
	v_cmp_gt_u32_e64 s1, s25, v41
	s_cselect_b32 s31, -1, 0
	v_cmp_gt_u32_e64 s4, s26, v41
	s_ashr_i32 s11, s43, 31
	v_cmp_gt_u32_e64 s5, s27, v41
	s_mov_b32 s7, 0
	s_cmp_gt_i32 s27, 0
	s_mov_b32 s8, s47
	s_mov_b32 s10, s43
	s_cselect_b32 s33, -1, 0
	s_ashr_i32 s13, s49, 31
	s_mov_b32 s12, s49
	s_mov_b32 s6, s7
	s_branch .LBB141_146
.LBB141_145:                            ;   in Loop: Header=BB141_146 Depth=1
	s_add_co_i32 s6, s6, 1
	s_delay_alu instid0(SALU_CYCLE_1)
	s_cmp_eq_u32 s6, s24
	s_cbranch_scc1 .LBB141_166
.LBB141_146:                            ; =>This Loop Header: Depth=1
                                        ;     Child Loop BB141_150 Depth 2
                                        ;       Child Loop BB141_155 Depth 3
                                        ;       Child Loop BB141_160 Depth 3
	;; [unrolled: 1-line block ×3, first 2 shown]
	v_mov_b32_e32 v0, s6
	global_load_b32 v2, v0, s[40:41] scale_offset
	s_wait_loadcnt 0x0
	v_cmp_eq_u32_e32 vcc_lo, s6, v2
	s_cbranch_vccnz .LBB141_145
; %bb.147:                              ;   in Loop: Header=BB141_146 Depth=1
	s_lshl_b64 s[14:15], s[6:7], 2
	s_delay_alu instid0(SALU_CYCLE_1)
	s_add_nc_u64 s[14:15], s[40:41], s[14:15]
	s_branch .LBB141_150
.LBB141_148:                            ;   in Loop: Header=BB141_150 Depth=2
	s_or_b32 exec_lo, exec_lo, s18
	s_wait_storecnt_dscnt 0x0
	s_barrier_signal -1
	s_barrier_wait -1
.LBB141_149:                            ;   in Loop: Header=BB141_150 Depth=2
	global_load_b32 v2, v1, s[14:15]
	s_wait_loadcnt 0x0
	v_cmp_ne_u32_e32 vcc_lo, s6, v2
	s_cbranch_vccz .LBB141_145
.LBB141_150:                            ;   Parent Loop BB141_146 Depth=1
                                        ; =>  This Loop Header: Depth=2
                                        ;       Child Loop BB141_155 Depth 3
                                        ;       Child Loop BB141_160 Depth 3
	;; [unrolled: 1-line block ×3, first 2 shown]
	global_load_b32 v0, v2, s[40:41] scale_offset
	v_ashrrev_i32_e32 v3, 31, v2
	s_wait_loadcnt 0x0
	s_barrier_signal -1
	s_barrier_wait -1
	v_readfirstlane_b32 s16, v0
	s_wait_xcnt 0x0
	s_and_saveexec_b32 s17, s0
	s_cbranch_execz .LBB141_152
; %bb.151:                              ;   in Loop: Header=BB141_150 Depth=2
	v_lshlrev_b64_e32 v[4:5], 2, v[2:3]
	v_mov_b32_e32 v0, s16
	s_delay_alu instid0(VALU_DEP_2)
	v_add_nc_u64_e32 v[4:5], s[40:41], v[4:5]
	s_clause 0x1
	global_store_b32 v[4:5], v2, off
	global_store_b32 v1, v0, s[14:15]
.LBB141_152:                            ;   in Loop: Header=BB141_150 Depth=2
	s_wait_xcnt 0x0
	s_or_b32 exec_lo, exec_lo, s17
	s_delay_alu instid0(SALU_CYCLE_1)
	s_and_not1_b32 vcc_lo, exec_lo, s30
	s_wait_storecnt 0x0
	s_barrier_signal -1
	s_barrier_wait -1
	s_cbranch_vccnz .LBB141_157
; %bb.153:                              ;   in Loop: Header=BB141_150 Depth=2
	s_and_saveexec_b32 s18, s1
	s_cbranch_execz .LBB141_156
; %bb.154:                              ;   in Loop: Header=BB141_150 Depth=2
	v_mov_b32_e32 v0, v41
	s_ashr_i32 s17, s16, 31
	s_mov_b32 s19, 0
.LBB141_155:                            ;   Parent Loop BB141_146 Depth=1
                                        ;     Parent Loop BB141_150 Depth=2
                                        ; =>    This Inner Loop Header: Depth=3
	s_delay_alu instid0(VALU_DEP_1) | instskip(SKIP_1) | instid1(VALU_DEP_1)
	v_mul_u64_e32 v[4:5], s[8:9], v[0:1]
	v_add_nc_u32_e32 v0, s46, v0
	v_cmp_le_u32_e32 vcc_lo, s25, v0
	s_or_b32 s19, vcc_lo, s19
	s_delay_alu instid0(VALU_DEP_3) | instskip(NEXT) | instid1(VALU_DEP_1)
	v_lshl_add_u64 v[4:5], v[4:5], 4, s[34:35]
	v_lshl_add_u64 v[18:19], v[2:3], 4, v[4:5]
	v_lshl_add_u64 v[4:5], s[16:17], 4, v[4:5]
	s_clause 0x1
	global_load_b128 v[10:13], v[18:19], off
	global_load_b128 v[14:17], v[4:5], off
	s_wait_loadcnt 0x1
	ds_store_2addr_b64 v6, v[10:11], v[12:13] offset1:1
	s_wait_loadcnt 0x0
	s_clause 0x1
	global_store_b128 v[18:19], v[14:17], off
	global_store_b128 v[4:5], v[10:13], off
	s_wait_xcnt 0x0
	s_and_not1_b32 exec_lo, exec_lo, s19
	s_cbranch_execnz .LBB141_155
.LBB141_156:                            ;   in Loop: Header=BB141_150 Depth=2
	s_or_b32 exec_lo, exec_lo, s18
	s_wait_storecnt_dscnt 0x0
	s_barrier_signal -1
	s_barrier_wait -1
.LBB141_157:                            ;   in Loop: Header=BB141_150 Depth=2
	s_and_not1_b32 vcc_lo, exec_lo, s31
	s_cbranch_vccnz .LBB141_162
; %bb.158:                              ;   in Loop: Header=BB141_150 Depth=2
	s_and_saveexec_b32 s55, s4
	s_cbranch_execz .LBB141_161
; %bb.159:                              ;   in Loop: Header=BB141_150 Depth=2
	v_mul_u64_e32 v[4:5], s[10:11], v[2:3]
	s_ashr_i32 s17, s16, 31
	v_mov_b32_e32 v0, v41
	s_mul_u64 s[18:19], s[16:17], s[10:11]
	s_mov_b32 s17, 0
	s_lshl_b64 s[18:19], s[18:19], 4
	s_delay_alu instid0(SALU_CYCLE_1) | instskip(NEXT) | instid1(VALU_DEP_2)
	s_add_nc_u64 s[18:19], s[28:29], s[18:19]
	v_lshlrev_b64_e32 v[4:5], 4, v[4:5]
	s_delay_alu instid0(VALU_DEP_1)
	v_add_nc_u64_e32 v[4:5], s[28:29], v[4:5]
.LBB141_160:                            ;   Parent Loop BB141_146 Depth=1
                                        ;     Parent Loop BB141_150 Depth=2
                                        ; =>    This Inner Loop Header: Depth=3
	s_delay_alu instid0(VALU_DEP_1) | instskip(NEXT) | instid1(VALU_DEP_2)
	v_readfirstlane_b32 s56, v4
	v_readfirstlane_b32 s57, v5
	s_clause 0x1
	global_load_b128 v[10:13], v0, s[18:19] scale_offset
	global_load_b128 v[14:17], v0, s[56:57] scale_offset
	s_wait_loadcnt 0x1
	global_store_b128 v0, v[10:13], s[56:57] scale_offset
	s_wait_loadcnt 0x0
	global_store_b128 v0, v[14:17], s[18:19] scale_offset
	s_wait_xcnt 0x0
	v_add_nc_u32_e32 v0, s46, v0
	ds_store_2addr_b64 v8, v[14:15], v[16:17] offset1:1
	v_cmp_le_u32_e32 vcc_lo, s26, v0
	s_or_b32 s17, vcc_lo, s17
	s_delay_alu instid0(SALU_CYCLE_1)
	s_and_not1_b32 exec_lo, exec_lo, s17
	s_cbranch_execnz .LBB141_160
.LBB141_161:                            ;   in Loop: Header=BB141_150 Depth=2
	s_or_b32 exec_lo, exec_lo, s55
	s_wait_storecnt_dscnt 0x0
	s_barrier_signal -1
	s_barrier_wait -1
.LBB141_162:                            ;   in Loop: Header=BB141_150 Depth=2
	s_and_not1_b32 vcc_lo, exec_lo, s33
	s_cbranch_vccnz .LBB141_149
; %bb.163:                              ;   in Loop: Header=BB141_150 Depth=2
	s_and_saveexec_b32 s18, s5
	s_cbranch_execz .LBB141_148
; %bb.164:                              ;   in Loop: Header=BB141_150 Depth=2
	v_mov_b32_e32 v0, v41
	s_ashr_i32 s17, s16, 31
	s_mov_b32 s19, 0
.LBB141_165:                            ;   Parent Loop BB141_146 Depth=1
                                        ;     Parent Loop BB141_150 Depth=2
                                        ; =>    This Inner Loop Header: Depth=3
	s_delay_alu instid0(VALU_DEP_1) | instskip(SKIP_1) | instid1(VALU_DEP_1)
	v_mul_u64_e32 v[4:5], s[12:13], v[0:1]
	v_add_nc_u32_e32 v0, s46, v0
	v_cmp_le_u32_e32 vcc_lo, s27, v0
	s_or_b32 s19, vcc_lo, s19
	s_delay_alu instid0(VALU_DEP_3) | instskip(NEXT) | instid1(VALU_DEP_1)
	v_lshl_add_u64 v[4:5], v[4:5], 4, s[44:45]
	v_lshl_add_u64 v[18:19], v[2:3], 4, v[4:5]
	;; [unrolled: 1-line block ×3, first 2 shown]
	s_clause 0x1
	global_load_b128 v[10:13], v[18:19], off
	global_load_b128 v[14:17], v[4:5], off
	s_wait_loadcnt 0x1
	ds_store_2addr_b64 v7, v[10:11], v[12:13] offset1:1
	s_wait_loadcnt 0x0
	s_clause 0x1
	global_store_b128 v[18:19], v[14:17], off
	global_store_b128 v[4:5], v[10:13], off
	s_wait_xcnt 0x0
	s_and_not1_b32 exec_lo, exec_lo, s19
	s_cbranch_execnz .LBB141_165
	s_branch .LBB141_148
.LBB141_166:
	s_mov_b32 s56, exec_lo
.LBB141_167:
	s_or_b32 exec_lo, exec_lo, s20
	s_branch .LBB141_279
.LBB141_168:
	s_and_b32 vcc_lo, exec_lo, s48
	s_mov_b32 s56, -1
	s_cbranch_vccz .LBB141_279
; %bb.169:
	v_or3_b32 v0, v44, v45, v43
	s_mov_b32 s8, exec_lo
	s_wait_storecnt 0x0
	s_barrier_signal -1
	s_barrier_wait -1
	s_barrier_signal -1
	s_barrier_wait -1
	v_cmpx_eq_u32_e32 0, v0
	s_cbranch_execz .LBB141_263
; %bb.170:
	s_cmp_lt_u32 s24, 0x2be
	s_cbranch_scc1 .LBB141_182
; %bb.171:
	v_mov_b32_e32 v4, 0
	s_add_nc_u64 s[4:5], s[52:53], s[50:51]
	s_mov_b64 s[0:1], 0xffffffffffffea18
	s_add_nc_u64 s[4:5], s[4:5], 0x15e8
	s_movk_i32 s9, 0x2bd
	s_movk_i32 s10, 0x57a
	s_branch .LBB141_173
.LBB141_172:                            ;   in Loop: Header=BB141_173 Depth=1
	v_mov_b32_e32 v2, s6
	s_add_co_i32 s9, s9, 1
	s_add_co_i32 s10, s10, 1
	s_cmp_eq_u32 s9, s24
	s_add_nc_u64 s[4:5], s[4:5], 8
	global_store_b64 v2, v[0:1], s[36:37] scale_offset
	s_cbranch_scc1 .LBB141_182
.LBB141_173:                            ; =>This Loop Header: Depth=1
                                        ;     Child Loop BB141_174 Depth 2
	s_wait_xcnt 0x0
	v_mov_b32_e32 v0, s9
	s_mov_b64 s[6:7], s[4:5]
	s_mov_b32 s11, s10
	global_load_b64 v[0:1], v0, s[36:37] scale_offset
.LBB141_174:                            ;   Parent Loop BB141_173 Depth=1
                                        ; =>  This Inner Loop Header: Depth=2
	global_load_b64 v[2:3], v4, s[6:7] offset:-5608
	s_mov_b32 s13, -1
	s_mov_b32 s14, -1
                                        ; implicit-def: $sgpr12
	s_wait_loadcnt 0x0
	v_cmp_nlt_f64_e32 vcc_lo, v[2:3], v[0:1]
	s_cbranch_vccnz .LBB141_176
; %bb.175:                              ;   in Loop: Header=BB141_174 Depth=2
	s_add_co_i32 s12, s11, 0xfffffd43
	s_mov_b32 s13, 0
	s_cmp_lt_i32 s12, 0x57a
	global_store_b64 v4, v[2:3], s[6:7]
	s_cselect_b32 s14, -1, 0
.LBB141_176:                            ;   in Loop: Header=BB141_174 Depth=2
	s_delay_alu instid0(SALU_CYCLE_1)
	s_and_not1_b32 vcc_lo, exec_lo, s14
	s_wait_xcnt 0x0
	s_add_nc_u64 s[6:7], s[6:7], s[0:1]
	s_cbranch_vccz .LBB141_178
; %bb.177:                              ;   in Loop: Header=BB141_174 Depth=2
	s_mov_b32 s11, s12
	s_branch .LBB141_174
.LBB141_178:                            ;   in Loop: Header=BB141_173 Depth=1
	s_and_not1_b32 vcc_lo, exec_lo, s13
	s_mov_b32 s7, -1
                                        ; implicit-def: $sgpr6
	s_cbranch_vccz .LBB141_180
; %bb.179:                              ;   in Loop: Header=BB141_173 Depth=1
	s_add_co_i32 s6, s12, 0xfffffd43
	s_mov_b32 s7, 0
.LBB141_180:                            ;   in Loop: Header=BB141_173 Depth=1
	s_delay_alu instid0(SALU_CYCLE_1)
	s_and_not1_b32 vcc_lo, exec_lo, s7
	s_cbranch_vccnz .LBB141_172
; %bb.181:                              ;   in Loop: Header=BB141_173 Depth=1
	s_add_co_i32 s6, s11, 0xfffffd43
	s_branch .LBB141_172
.LBB141_182:
	s_cmp_lt_i32 s24, 0x12e
	s_cbranch_scc1 .LBB141_194
; %bb.183:
	v_mov_b32_e32 v4, 0
	s_add_nc_u64 s[4:5], s[52:53], s[50:51]
	s_mov_b64 s[0:1], 0xfffffffffffff698
	s_add_nc_u64 s[4:5], s[4:5], 0x968
	s_movk_i32 s9, 0x12d
	s_movk_i32 s10, 0x25a
	s_branch .LBB141_185
.LBB141_184:                            ;   in Loop: Header=BB141_185 Depth=1
	v_mov_b32_e32 v2, s6
	s_add_co_i32 s9, s9, 1
	s_add_co_i32 s10, s10, 1
	s_cmp_lg_u32 s9, s24
	s_add_nc_u64 s[4:5], s[4:5], 8
	global_store_b64 v2, v[0:1], s[36:37] scale_offset
	s_cbranch_scc0 .LBB141_194
.LBB141_185:                            ; =>This Loop Header: Depth=1
                                        ;     Child Loop BB141_186 Depth 2
	s_wait_xcnt 0x0
	v_mov_b32_e32 v0, s9
	s_mov_b64 s[6:7], s[4:5]
	s_mov_b32 s11, s10
	global_load_b64 v[0:1], v0, s[36:37] scale_offset
.LBB141_186:                            ;   Parent Loop BB141_185 Depth=1
                                        ; =>  This Inner Loop Header: Depth=2
	global_load_b64 v[2:3], v4, s[6:7] offset:-2408
	s_mov_b32 s13, -1
	s_mov_b32 s14, -1
                                        ; implicit-def: $sgpr12
	s_wait_loadcnt 0x0
	v_cmp_nlt_f64_e32 vcc_lo, v[2:3], v[0:1]
	s_cbranch_vccnz .LBB141_188
; %bb.187:                              ;   in Loop: Header=BB141_186 Depth=2
	s_add_co_i32 s12, s11, 0xfffffed3
	s_mov_b32 s13, 0
	s_cmp_lt_i32 s12, 0x25a
	global_store_b64 v4, v[2:3], s[6:7]
	s_cselect_b32 s14, -1, 0
.LBB141_188:                            ;   in Loop: Header=BB141_186 Depth=2
	s_delay_alu instid0(SALU_CYCLE_1)
	s_and_not1_b32 vcc_lo, exec_lo, s14
	s_wait_xcnt 0x0
	s_add_nc_u64 s[6:7], s[6:7], s[0:1]
	s_cbranch_vccz .LBB141_190
; %bb.189:                              ;   in Loop: Header=BB141_186 Depth=2
	s_mov_b32 s11, s12
	s_branch .LBB141_186
.LBB141_190:                            ;   in Loop: Header=BB141_185 Depth=1
	s_and_not1_b32 vcc_lo, exec_lo, s13
	s_mov_b32 s7, -1
                                        ; implicit-def: $sgpr6
	s_cbranch_vccz .LBB141_192
; %bb.191:                              ;   in Loop: Header=BB141_185 Depth=1
	s_add_co_i32 s6, s12, 0xfffffed3
	s_mov_b32 s7, 0
.LBB141_192:                            ;   in Loop: Header=BB141_185 Depth=1
	s_delay_alu instid0(SALU_CYCLE_1)
	s_and_not1_b32 vcc_lo, exec_lo, s7
	s_cbranch_vccnz .LBB141_184
; %bb.193:                              ;   in Loop: Header=BB141_185 Depth=1
	s_add_co_i32 s6, s11, 0xfffffed3
	s_branch .LBB141_184
.LBB141_194:
	s_cmp_lt_i32 s24, 0x85
	s_cbranch_scc1 .LBB141_206
; %bb.195:
	v_mov_b32_e32 v4, 0
	s_add_nc_u64 s[4:5], s[52:53], s[50:51]
	s_mov_b64 s[0:1], 0xfffffffffffffbe0
	s_add_nc_u64 s[4:5], s[4:5], 0x420
	s_movk_i32 s9, 0x84
	s_movk_i32 s10, 0x108
	s_branch .LBB141_197
.LBB141_196:                            ;   in Loop: Header=BB141_197 Depth=1
	v_mov_b32_e32 v2, s6
	s_add_co_i32 s9, s9, 1
	s_add_co_i32 s10, s10, 1
	s_cmp_lg_u32 s9, s24
	s_add_nc_u64 s[4:5], s[4:5], 8
	global_store_b64 v2, v[0:1], s[36:37] scale_offset
	s_cbranch_scc0 .LBB141_206
.LBB141_197:                            ; =>This Loop Header: Depth=1
                                        ;     Child Loop BB141_198 Depth 2
	s_wait_xcnt 0x0
	v_mov_b32_e32 v0, s9
	s_mov_b64 s[6:7], s[4:5]
	s_mov_b32 s11, s10
	global_load_b64 v[0:1], v0, s[36:37] scale_offset
.LBB141_198:                            ;   Parent Loop BB141_197 Depth=1
                                        ; =>  This Inner Loop Header: Depth=2
	global_load_b64 v[2:3], v4, s[6:7] offset:-1056
	s_mov_b32 s13, -1
	s_mov_b32 s14, -1
                                        ; implicit-def: $sgpr12
	s_wait_loadcnt 0x0
	v_cmp_nlt_f64_e32 vcc_lo, v[2:3], v[0:1]
	s_cbranch_vccnz .LBB141_200
; %bb.199:                              ;   in Loop: Header=BB141_198 Depth=2
	s_add_co_i32 s12, s11, 0xffffff7c
	s_mov_b32 s13, 0
	s_cmp_lt_i32 s12, 0x108
	global_store_b64 v4, v[2:3], s[6:7]
	s_cselect_b32 s14, -1, 0
.LBB141_200:                            ;   in Loop: Header=BB141_198 Depth=2
	s_delay_alu instid0(SALU_CYCLE_1)
	s_and_not1_b32 vcc_lo, exec_lo, s14
	s_wait_xcnt 0x0
	s_add_nc_u64 s[6:7], s[6:7], s[0:1]
	s_cbranch_vccz .LBB141_202
; %bb.201:                              ;   in Loop: Header=BB141_198 Depth=2
	s_mov_b32 s11, s12
	s_branch .LBB141_198
.LBB141_202:                            ;   in Loop: Header=BB141_197 Depth=1
	s_and_not1_b32 vcc_lo, exec_lo, s13
	s_mov_b32 s7, -1
                                        ; implicit-def: $sgpr6
	s_cbranch_vccz .LBB141_204
; %bb.203:                              ;   in Loop: Header=BB141_197 Depth=1
	s_add_co_i32 s6, s12, 0xffffff7c
	s_mov_b32 s7, 0
.LBB141_204:                            ;   in Loop: Header=BB141_197 Depth=1
	s_delay_alu instid0(SALU_CYCLE_1)
	s_and_not1_b32 vcc_lo, exec_lo, s7
	s_cbranch_vccnz .LBB141_196
; %bb.205:                              ;   in Loop: Header=BB141_197 Depth=1
	s_add_co_i32 s6, s11, 0xffffff7c
	s_branch .LBB141_196
.LBB141_206:
	s_cmp_lt_i32 s24, 58
	s_cbranch_scc1 .LBB141_218
; %bb.207:
	v_mov_b32_e32 v4, 0
	s_add_nc_u64 s[4:5], s[52:53], s[50:51]
	s_mov_b64 s[0:1], 0xfffffffffffffe38
	s_add_nc_u64 s[4:5], s[4:5], 0x1c8
	s_mov_b32 s9, 57
	s_movk_i32 s10, 0x72
	s_branch .LBB141_209
.LBB141_208:                            ;   in Loop: Header=BB141_209 Depth=1
	v_mov_b32_e32 v2, s6
	s_add_co_i32 s9, s9, 1
	s_add_co_i32 s10, s10, 1
	s_cmp_lg_u32 s9, s24
	s_add_nc_u64 s[4:5], s[4:5], 8
	global_store_b64 v2, v[0:1], s[36:37] scale_offset
	s_cbranch_scc0 .LBB141_218
.LBB141_209:                            ; =>This Loop Header: Depth=1
                                        ;     Child Loop BB141_210 Depth 2
	s_wait_xcnt 0x0
	v_mov_b32_e32 v0, s9
	s_mov_b64 s[6:7], s[4:5]
	s_mov_b32 s11, s10
	global_load_b64 v[0:1], v0, s[36:37] scale_offset
.LBB141_210:                            ;   Parent Loop BB141_209 Depth=1
                                        ; =>  This Inner Loop Header: Depth=2
	global_load_b64 v[2:3], v4, s[6:7] offset:-456
	s_mov_b32 s13, -1
	s_mov_b32 s14, -1
                                        ; implicit-def: $sgpr12
	s_wait_loadcnt 0x0
	v_cmp_nlt_f64_e32 vcc_lo, v[2:3], v[0:1]
	s_cbranch_vccnz .LBB141_212
; %bb.211:                              ;   in Loop: Header=BB141_210 Depth=2
	s_sub_co_i32 s12, s11, 57
	s_mov_b32 s13, 0
	s_cmp_lt_i32 s12, 0x72
	global_store_b64 v4, v[2:3], s[6:7]
	s_cselect_b32 s14, -1, 0
.LBB141_212:                            ;   in Loop: Header=BB141_210 Depth=2
	s_delay_alu instid0(SALU_CYCLE_1)
	s_and_not1_b32 vcc_lo, exec_lo, s14
	s_wait_xcnt 0x0
	s_add_nc_u64 s[6:7], s[6:7], s[0:1]
	s_cbranch_vccz .LBB141_214
; %bb.213:                              ;   in Loop: Header=BB141_210 Depth=2
	s_mov_b32 s11, s12
	s_branch .LBB141_210
.LBB141_214:                            ;   in Loop: Header=BB141_209 Depth=1
	s_and_not1_b32 vcc_lo, exec_lo, s13
	s_mov_b32 s7, -1
                                        ; implicit-def: $sgpr6
	s_cbranch_vccz .LBB141_216
; %bb.215:                              ;   in Loop: Header=BB141_209 Depth=1
	s_sub_co_i32 s6, s12, 57
	s_mov_b32 s7, 0
.LBB141_216:                            ;   in Loop: Header=BB141_209 Depth=1
	s_delay_alu instid0(SALU_CYCLE_1)
	s_and_not1_b32 vcc_lo, exec_lo, s7
	s_cbranch_vccnz .LBB141_208
; %bb.217:                              ;   in Loop: Header=BB141_209 Depth=1
	s_sub_co_i32 s6, s11, 57
	s_branch .LBB141_208
.LBB141_218:
	s_cmp_lt_i32 s24, 24
	s_cbranch_scc1 .LBB141_230
; %bb.219:
	v_mov_b32_e32 v4, 0
	s_add_nc_u64 s[4:5], s[52:53], s[50:51]
	s_mov_b64 s[0:1], 0xffffffffffffff48
	s_add_nc_u64 s[4:5], s[4:5], 0xb8
	s_mov_b32 s9, 23
	s_mov_b32 s10, 46
	s_branch .LBB141_221
.LBB141_220:                            ;   in Loop: Header=BB141_221 Depth=1
	v_mov_b32_e32 v2, s6
	s_add_co_i32 s9, s9, 1
	s_add_co_i32 s10, s10, 1
	s_cmp_lg_u32 s9, s24
	s_add_nc_u64 s[4:5], s[4:5], 8
	global_store_b64 v2, v[0:1], s[36:37] scale_offset
	s_cbranch_scc0 .LBB141_230
.LBB141_221:                            ; =>This Loop Header: Depth=1
                                        ;     Child Loop BB141_222 Depth 2
	s_wait_xcnt 0x0
	v_mov_b32_e32 v0, s9
	s_mov_b64 s[6:7], s[4:5]
	s_mov_b32 s11, s10
	global_load_b64 v[0:1], v0, s[36:37] scale_offset
.LBB141_222:                            ;   Parent Loop BB141_221 Depth=1
                                        ; =>  This Inner Loop Header: Depth=2
	global_load_b64 v[2:3], v4, s[6:7] offset:-184
	s_mov_b32 s13, -1
	s_mov_b32 s14, -1
                                        ; implicit-def: $sgpr12
	s_wait_loadcnt 0x0
	v_cmp_nlt_f64_e32 vcc_lo, v[2:3], v[0:1]
	s_cbranch_vccnz .LBB141_224
; %bb.223:                              ;   in Loop: Header=BB141_222 Depth=2
	s_sub_co_i32 s12, s11, 23
	s_mov_b32 s13, 0
	s_cmp_lt_i32 s12, 46
	global_store_b64 v4, v[2:3], s[6:7]
	s_cselect_b32 s14, -1, 0
.LBB141_224:                            ;   in Loop: Header=BB141_222 Depth=2
	s_delay_alu instid0(SALU_CYCLE_1)
	s_and_not1_b32 vcc_lo, exec_lo, s14
	s_wait_xcnt 0x0
	s_add_nc_u64 s[6:7], s[6:7], s[0:1]
	s_cbranch_vccz .LBB141_226
; %bb.225:                              ;   in Loop: Header=BB141_222 Depth=2
	s_mov_b32 s11, s12
	s_branch .LBB141_222
.LBB141_226:                            ;   in Loop: Header=BB141_221 Depth=1
	s_and_not1_b32 vcc_lo, exec_lo, s13
	s_mov_b32 s7, -1
                                        ; implicit-def: $sgpr6
	s_cbranch_vccz .LBB141_228
; %bb.227:                              ;   in Loop: Header=BB141_221 Depth=1
	s_sub_co_i32 s6, s12, 23
	s_mov_b32 s7, 0
.LBB141_228:                            ;   in Loop: Header=BB141_221 Depth=1
	s_delay_alu instid0(SALU_CYCLE_1)
	s_and_not1_b32 vcc_lo, exec_lo, s7
	s_cbranch_vccnz .LBB141_220
; %bb.229:                              ;   in Loop: Header=BB141_221 Depth=1
	s_sub_co_i32 s6, s11, 23
	s_branch .LBB141_220
.LBB141_230:
	s_cmp_lt_i32 s24, 11
	s_cbranch_scc1 .LBB141_242
; %bb.231:
	v_mov_b32_e32 v4, 0
	s_add_nc_u64 s[4:5], s[52:53], s[50:51]
	s_mov_b64 s[0:1], 0xffffffffffffffb0
	s_add_nc_u64 s[4:5], s[4:5], 0x50
	s_mov_b32 s9, 10
	s_mov_b32 s10, 20
	s_branch .LBB141_233
.LBB141_232:                            ;   in Loop: Header=BB141_233 Depth=1
	v_mov_b32_e32 v2, s6
	s_add_co_i32 s9, s9, 1
	s_add_co_i32 s10, s10, 1
	s_cmp_lg_u32 s9, s24
	s_add_nc_u64 s[4:5], s[4:5], 8
	global_store_b64 v2, v[0:1], s[36:37] scale_offset
	s_cbranch_scc0 .LBB141_242
.LBB141_233:                            ; =>This Loop Header: Depth=1
                                        ;     Child Loop BB141_234 Depth 2
	s_wait_xcnt 0x0
	v_mov_b32_e32 v0, s9
	s_mov_b64 s[6:7], s[4:5]
	s_mov_b32 s11, s10
	global_load_b64 v[0:1], v0, s[36:37] scale_offset
.LBB141_234:                            ;   Parent Loop BB141_233 Depth=1
                                        ; =>  This Inner Loop Header: Depth=2
	global_load_b64 v[2:3], v4, s[6:7] offset:-80
	s_mov_b32 s13, -1
	s_mov_b32 s14, -1
                                        ; implicit-def: $sgpr12
	s_wait_loadcnt 0x0
	v_cmp_nlt_f64_e32 vcc_lo, v[2:3], v[0:1]
	s_cbranch_vccnz .LBB141_236
; %bb.235:                              ;   in Loop: Header=BB141_234 Depth=2
	s_add_co_i32 s12, s11, -10
	s_mov_b32 s13, 0
	s_cmp_lt_i32 s12, 20
	global_store_b64 v4, v[2:3], s[6:7]
	s_cselect_b32 s14, -1, 0
.LBB141_236:                            ;   in Loop: Header=BB141_234 Depth=2
	s_delay_alu instid0(SALU_CYCLE_1)
	s_and_not1_b32 vcc_lo, exec_lo, s14
	s_wait_xcnt 0x0
	s_add_nc_u64 s[6:7], s[6:7], s[0:1]
	s_cbranch_vccz .LBB141_238
; %bb.237:                              ;   in Loop: Header=BB141_234 Depth=2
	s_mov_b32 s11, s12
	s_branch .LBB141_234
.LBB141_238:                            ;   in Loop: Header=BB141_233 Depth=1
	s_and_not1_b32 vcc_lo, exec_lo, s13
	s_mov_b32 s7, -1
                                        ; implicit-def: $sgpr6
	s_cbranch_vccz .LBB141_240
; %bb.239:                              ;   in Loop: Header=BB141_233 Depth=1
	s_add_co_i32 s6, s12, -10
	s_mov_b32 s7, 0
.LBB141_240:                            ;   in Loop: Header=BB141_233 Depth=1
	s_delay_alu instid0(SALU_CYCLE_1)
	s_and_not1_b32 vcc_lo, exec_lo, s7
	s_cbranch_vccnz .LBB141_232
; %bb.241:                              ;   in Loop: Header=BB141_233 Depth=1
	s_add_co_i32 s6, s11, -10
	s_branch .LBB141_232
.LBB141_242:
	s_cmp_lt_i32 s24, 5
	s_cbranch_scc1 .LBB141_254
; %bb.243:
	v_mov_b32_e32 v4, 0
	s_add_nc_u64 s[4:5], s[52:53], s[50:51]
	s_mov_b64 s[0:1], 0xffffffffffffffe0
	s_add_nc_u64 s[4:5], s[4:5], 32
	s_mov_b32 s9, 4
	s_mov_b32 s10, 8
	s_branch .LBB141_245
.LBB141_244:                            ;   in Loop: Header=BB141_245 Depth=1
	v_mov_b32_e32 v2, s6
	s_add_co_i32 s9, s9, 1
	s_add_co_i32 s10, s10, 1
	s_cmp_lg_u32 s9, s24
	s_add_nc_u64 s[4:5], s[4:5], 8
	global_store_b64 v2, v[0:1], s[36:37] scale_offset
	s_cbranch_scc0 .LBB141_254
.LBB141_245:                            ; =>This Loop Header: Depth=1
                                        ;     Child Loop BB141_246 Depth 2
	s_wait_xcnt 0x0
	v_mov_b32_e32 v0, s9
	s_mov_b64 s[6:7], s[4:5]
	s_mov_b32 s11, s10
	global_load_b64 v[0:1], v0, s[36:37] scale_offset
.LBB141_246:                            ;   Parent Loop BB141_245 Depth=1
                                        ; =>  This Inner Loop Header: Depth=2
	global_load_b64 v[2:3], v4, s[6:7] offset:-32
	s_mov_b32 s13, -1
	s_mov_b32 s14, -1
                                        ; implicit-def: $sgpr12
	s_wait_loadcnt 0x0
	v_cmp_nlt_f64_e32 vcc_lo, v[2:3], v[0:1]
	s_cbranch_vccnz .LBB141_248
; %bb.247:                              ;   in Loop: Header=BB141_246 Depth=2
	s_add_co_i32 s12, s11, -4
	s_mov_b32 s13, 0
	s_cmp_lt_i32 s12, 8
	global_store_b64 v4, v[2:3], s[6:7]
	s_cselect_b32 s14, -1, 0
.LBB141_248:                            ;   in Loop: Header=BB141_246 Depth=2
	s_delay_alu instid0(SALU_CYCLE_1)
	s_and_not1_b32 vcc_lo, exec_lo, s14
	s_wait_xcnt 0x0
	s_add_nc_u64 s[6:7], s[6:7], s[0:1]
	s_cbranch_vccz .LBB141_250
; %bb.249:                              ;   in Loop: Header=BB141_246 Depth=2
	s_mov_b32 s11, s12
	s_branch .LBB141_246
.LBB141_250:                            ;   in Loop: Header=BB141_245 Depth=1
	s_and_not1_b32 vcc_lo, exec_lo, s13
	s_mov_b32 s7, -1
                                        ; implicit-def: $sgpr6
	s_cbranch_vccz .LBB141_252
; %bb.251:                              ;   in Loop: Header=BB141_245 Depth=1
	s_add_co_i32 s6, s12, -4
	s_mov_b32 s7, 0
.LBB141_252:                            ;   in Loop: Header=BB141_245 Depth=1
	s_delay_alu instid0(SALU_CYCLE_1)
	s_and_not1_b32 vcc_lo, exec_lo, s7
	s_cbranch_vccnz .LBB141_244
; %bb.253:                              ;   in Loop: Header=BB141_245 Depth=1
	s_add_co_i32 s6, s11, -4
	s_branch .LBB141_244
.LBB141_254:
	s_cmp_lt_i32 s24, 2
	s_mov_b32 s6, 2
	s_cbranch_scc1 .LBB141_263
; %bb.255:
	v_mov_b32_e32 v4, 0
	s_add_nc_u64 s[0:1], s[52:53], s[50:51]
	s_mov_b32 s7, 1
	s_add_nc_u64 s[0:1], s[0:1], 8
	s_branch .LBB141_257
.LBB141_256:                            ;   in Loop: Header=BB141_257 Depth=1
	v_mov_b32_e32 v2, s4
	s_add_co_i32 s7, s7, 1
	s_add_co_i32 s6, s6, 1
	s_cmp_eq_u32 s7, s24
	s_add_nc_u64 s[0:1], s[0:1], 8
	global_store_b64 v2, v[0:1], s[36:37] scale_offset
	s_cbranch_scc1 .LBB141_263
.LBB141_257:                            ; =>This Loop Header: Depth=1
                                        ;     Child Loop BB141_259 Depth 2
	s_wait_xcnt 0x0
	v_mov_b32_e32 v0, s7
	s_mov_b64 s[4:5], s[0:1]
	s_mov_b32 s10, s6
	global_load_b64 v[0:1], v0, s[36:37] scale_offset
	s_branch .LBB141_259
.LBB141_258:                            ;   in Loop: Header=BB141_259 Depth=2
	s_and_not1_b32 vcc_lo, exec_lo, s12
	s_wait_xcnt 0x0
	s_add_nc_u64 s[4:5], s[4:5], -8
	s_cbranch_vccz .LBB141_261
.LBB141_259:                            ;   Parent Loop BB141_257 Depth=1
                                        ; =>  This Inner Loop Header: Depth=2
	global_load_b64 v[2:3], v4, s[4:5] offset:-8
	s_mov_b32 s9, s10
	s_mov_b32 s11, -1
	s_mov_b32 s12, -1
                                        ; implicit-def: $sgpr10
	s_wait_loadcnt 0x0
	v_cmp_nlt_f64_e32 vcc_lo, v[2:3], v[0:1]
	s_cbranch_vccnz .LBB141_258
; %bb.260:                              ;   in Loop: Header=BB141_259 Depth=2
	s_add_co_i32 s10, s9, -1
	s_mov_b32 s11, 0
	s_cmp_lt_i32 s10, 2
	global_store_b64 v4, v[2:3], s[4:5]
	s_cselect_b32 s12, -1, 0
	s_branch .LBB141_258
.LBB141_261:                            ;   in Loop: Header=BB141_257 Depth=1
	s_and_b32 vcc_lo, exec_lo, s11
	s_mov_b32 s4, 0
	s_cbranch_vccz .LBB141_256
; %bb.262:                              ;   in Loop: Header=BB141_257 Depth=1
	s_add_co_i32 s4, s9, -1
	s_branch .LBB141_256
.LBB141_263:
	s_wait_xcnt 0x0
	s_or_b32 exec_lo, exec_lo, s8
	s_cmp_lt_i32 s24, 2
	s_mov_b32 s56, 0
	s_cselect_b32 s5, -1, 0
	s_wait_storecnt 0x0
	s_and_b32 vcc_lo, exec_lo, s5
	s_barrier_signal -1
	s_barrier_wait -1
	s_cbranch_vccnz .LBB141_271
; %bb.264:
	s_add_co_i32 s4, s24, -1
	s_mov_b32 s5, -1
	s_mov_b32 s0, 0
	s_mov_b32 s1, exec_lo
	v_cmpx_gt_u32_e64 s4, v41
	s_cbranch_execz .LBB141_273
; %bb.265:
	v_dual_mov_b32 v1, 0 :: v_dual_mov_b32 v0, v41
	s_mov_b32 s5, 0
                                        ; implicit-def: $sgpr6
	s_branch .LBB141_267
.LBB141_266:                            ;   in Loop: Header=BB141_267 Depth=1
	s_or_b32 exec_lo, exec_lo, s9
	s_xor_b32 s7, s8, -1
	s_and_b32 s0, exec_lo, s0
	s_delay_alu instid0(SALU_CYCLE_1) | instskip(SKIP_2) | instid1(SALU_CYCLE_1)
	s_or_b32 s5, s0, s5
	s_and_not1_b32 s0, s6, exec_lo
	s_and_b32 s6, s7, exec_lo
	s_or_b32 s6, s0, s6
	s_and_not1_b32 exec_lo, exec_lo, s5
	s_cbranch_execz .LBB141_272
.LBB141_267:                            ; =>This Inner Loop Header: Depth=1
	global_load_b64 v[2:3], v0, s[36:37] scale_offset
	s_mov_b32 s8, exec_lo
	s_wait_loadcnt 0x0
	v_cmp_u_f64_e64 s7, v[2:3], v[2:3]
	v_cmpx_o_f64_e32 v[2:3], v[2:3]
	s_cbranch_execz .LBB141_269
; %bb.268:                              ;   in Loop: Header=BB141_267 Depth=1
	v_lshl_add_u64 v[4:5], v[0:1], 3, s[36:37]
	s_and_not1_b32 s7, s7, exec_lo
	global_load_b64 v[4:5], v[4:5], off offset:8
	s_wait_loadcnt 0x0
	v_cmp_u_f64_e32 vcc_lo, v[4:5], v[4:5]
	v_cmp_ge_f64_e64 s0, v[2:3], v[4:5]
	s_or_b32 s0, vcc_lo, s0
	s_delay_alu instid0(SALU_CYCLE_1) | instskip(NEXT) | instid1(SALU_CYCLE_1)
	s_and_b32 s0, s0, exec_lo
	s_or_b32 s7, s7, s0
.LBB141_269:                            ;   in Loop: Header=BB141_267 Depth=1
	s_or_b32 exec_lo, exec_lo, s8
	s_mov_b32 s0, -1
	s_mov_b32 s8, -1
	s_and_saveexec_b32 s9, s7
	s_cbranch_execz .LBB141_266
; %bb.270:                              ;   in Loop: Header=BB141_267 Depth=1
	v_add_nc_u32_e32 v0, s46, v0
	s_xor_b32 s8, exec_lo, -1
	s_delay_alu instid0(VALU_DEP_1)
	v_cmp_le_u32_e32 vcc_lo, s4, v0
	s_or_not1_b32 s0, vcc_lo, exec_lo
	s_branch .LBB141_266
.LBB141_271:
	s_mov_b32 s0, 0
	s_branch .LBB141_274
.LBB141_272:
	s_or_b32 exec_lo, exec_lo, s5
	s_delay_alu instid0(SALU_CYCLE_1)
	s_mov_b32 s0, exec_lo
	s_or_not1_b32 s5, s6, exec_lo
.LBB141_273:
	s_or_b32 exec_lo, exec_lo, s1
.LBB141_274:
	s_and_saveexec_b32 s1, s5
	s_cbranch_execz .LBB141_276
; %bb.275:
	s_mov_b32 s56, exec_lo
	s_barrier_signal -1
	s_barrier_wait -1
	s_and_not1_b32 s0, s0, exec_lo
.LBB141_276:
	s_or_b32 exec_lo, exec_lo, s1
	s_and_saveexec_b32 s40, s0
	s_cbranch_execz .LBB141_278
; %bb.277:
	s_get_pc_i64 s[0:1]
	s_add_nc_u64 s[0:1], s[0:1], __PRETTY_FUNCTION__._ZN9rocsolver6v33100L21shell_sort_descendingIdiEEvT0_PT_PS2_@rel64+4
	s_add_nc_u64 s[8:9], s[2:3], 0x90
	v_dual_mov_b32 v0, s0 :: v_dual_mov_b32 v1, s1
	s_get_pc_i64 s[2:3]
	s_add_nc_u64 s[2:3], s[2:3], __assert_fail@rel64+4
	s_delay_alu instid0(SALU_CYCLE_1)
	s_swap_pc_i64 s[30:31], s[2:3]
	s_or_b32 s54, s54, exec_lo
.LBB141_278:
	s_or_b32 exec_lo, exec_lo, s40
.LBB141_279:
	s_and_saveexec_b32 s0, s54
; %bb.280:
	; divergent unreachable
; %bb.281:
	s_delay_alu instid0(SALU_CYCLE_1)
	s_or_b32 exec_lo, exec_lo, s0
	s_and_saveexec_b32 s0, s56
	s_cbranch_execz .LBB141_283
; %bb.282:
	s_wait_storecnt 0x0
	s_barrier_signal -1
	s_barrier_wait -1
.LBB141_283:
	s_or_b32 exec_lo, exec_lo, s0
	s_cbranch_execnz .LBB141_307
.LBB141_284:
	s_cmp_lt_i32 s24, 2
	s_cbranch_scc1 .LBB141_307
; %bb.285:
	v_mul_lo_u32 v5, s47, v41
	v_mul_lo_u32 v6, s49, v41
	v_dual_mov_b32 v7, 0 :: v_dual_lshlrev_b32 v0, 4, v42
	s_cmp_lg_u32 s25, 0
	v_cmp_eq_u32_e64 s0, 0, v41
	s_cselect_b32 s12, -1, 0
	s_cmp_lg_u32 s26, 0
	v_add_nc_u32_e32 v2, 0x14000, v0
	v_add_nc_u32_e32 v3, 0x10000, v0
	;; [unrolled: 1-line block ×3, first 2 shown]
	v_cmp_gt_i32_e64 s1, s25, v41
	v_cmp_gt_i32_e64 s2, s26, v41
	;; [unrolled: 1-line block ×3, first 2 shown]
	s_cselect_b32 s13, -1, 0
	s_cmp_lg_u32 s27, 0
	s_add_nc_u64 s[6:7], s[52:53], s[50:51]
	s_mov_b32 s5, 0
	s_cselect_b32 s14, -1, 0
	s_add_co_i32 s15, s24, -2
	s_add_nc_u64 s[6:7], s[6:7], 8
	s_mul_i32 s16, s47, s21
	s_mul_i32 s17, s49, s21
	s_mov_b32 s18, 0
	s_mov_b32 s19, 0
	s_branch .LBB141_288
.LBB141_286:                            ;   in Loop: Header=BB141_288 Depth=1
	s_or_b32 exec_lo, exec_lo, s8
	s_wait_storecnt_dscnt 0x0
	s_barrier_signal -1
	s_barrier_wait -1
.LBB141_287:                            ;   in Loop: Header=BB141_288 Depth=1
	s_add_co_i32 s18, s18, s43
	s_cmp_eq_u32 s4, s15
	s_add_nc_u64 s[6:7], s[6:7], 8
	s_cbranch_scc1 .LBB141_307
.LBB141_288:                            ; =>This Loop Header: Depth=1
                                        ;     Child Loop BB141_289 Depth 2
                                        ;     Child Loop BB141_296 Depth 2
	;; [unrolled: 1-line block ×4, first 2 shown]
	v_mov_b32_e32 v0, s19
	s_mov_b32 s4, s19
	s_add_co_i32 s19, s19, 1
	s_lshl_b64 s[8:9], s[4:5], 3
	s_mov_b64 s[10:11], s[6:7]
	global_load_b64 v[0:1], v0, s[36:37] scale_offset
	s_add_nc_u64 s[8:9], s[36:37], s[8:9]
	s_mov_b32 s30, s19
	s_mov_b32 s20, s4
.LBB141_289:                            ;   Parent Loop BB141_288 Depth=1
                                        ; =>  This Inner Loop Header: Depth=2
	global_load_b64 v[8:9], v7, s[10:11]
	s_wait_xcnt 0x0
	s_add_nc_u64 s[10:11], s[10:11], 8
	s_wait_loadcnt 0x0
	v_cmp_gt_f64_e32 vcc_lo, v[8:9], v[0:1]
	v_dual_cndmask_b32 v1, v1, v9 :: v_dual_cndmask_b32 v0, v0, v8
	s_and_b32 s31, vcc_lo, exec_lo
	s_cselect_b32 s20, s30, s20
	s_add_co_i32 s30, s30, 1
	s_delay_alu instid0(SALU_CYCLE_1)
	s_cmp_lg_u32 s24, s30
	s_cbranch_scc1 .LBB141_289
; %bb.290:                              ;   in Loop: Header=BB141_288 Depth=1
	s_cmp_eq_u32 s20, s4
	s_wait_storecnt 0x0
	s_barrier_signal -1
	s_barrier_wait -1
	s_cbranch_scc1 .LBB141_287
; %bb.291:                              ;   in Loop: Header=BB141_288 Depth=1
	s_and_saveexec_b32 s10, s0
	s_cbranch_execz .LBB141_293
; %bb.292:                              ;   in Loop: Header=BB141_288 Depth=1
	global_load_b64 v[8:9], v7, s[8:9]
	v_mov_b32_e32 v10, s20
	s_wait_loadcnt 0x0
	s_clause 0x1
	global_store_b64 v10, v[8:9], s[36:37] scale_offset
	global_store_b64 v7, v[0:1], s[8:9]
.LBB141_293:                            ;   in Loop: Header=BB141_288 Depth=1
	s_wait_xcnt 0x0
	s_or_b32 exec_lo, exec_lo, s10
	s_delay_alu instid0(SALU_CYCLE_1)
	s_and_not1_b32 vcc_lo, exec_lo, s12
	s_cbranch_vccnz .LBB141_298
; %bb.294:                              ;   in Loop: Header=BB141_288 Depth=1
	s_and_saveexec_b32 s8, s1
	s_cbranch_execz .LBB141_297
; %bb.295:                              ;   in Loop: Header=BB141_288 Depth=1
	v_dual_mov_b32 v0, v5 :: v_dual_mov_b32 v1, v41
	s_mov_b32 s9, 0
.LBB141_296:                            ;   Parent Loop BB141_288 Depth=1
                                        ; =>  This Inner Loop Header: Depth=2
	s_delay_alu instid0(VALU_DEP_1) | instskip(NEXT) | instid1(VALU_DEP_2)
	v_dual_add_nc_u32 v16, s20, v0 :: v_dual_add_nc_u32 v17, s4, v0
	v_dual_add_nc_u32 v1, s21, v1 :: v_dual_add_nc_u32 v0, s16, v0
	s_clause 0x1
	global_load_b128 v[8:11], v16, s[34:35] scale_offset
	global_load_b128 v[12:15], v17, s[34:35] scale_offset
	v_cmp_le_i32_e32 vcc_lo, s25, v1
	s_or_b32 s9, vcc_lo, s9
	s_wait_loadcnt 0x1
	ds_store_2addr_b64 v4, v[8:9], v[10:11] offset1:1
	s_wait_loadcnt 0x0
	s_clause 0x1
	global_store_b128 v16, v[12:15], s[34:35] scale_offset
	global_store_b128 v17, v[8:11], s[34:35] scale_offset
	s_wait_xcnt 0x0
	s_and_not1_b32 exec_lo, exec_lo, s9
	s_cbranch_execnz .LBB141_296
.LBB141_297:                            ;   in Loop: Header=BB141_288 Depth=1
	s_or_b32 exec_lo, exec_lo, s8
	s_wait_storecnt_dscnt 0x0
	s_barrier_signal -1
	s_barrier_wait -1
.LBB141_298:                            ;   in Loop: Header=BB141_288 Depth=1
	s_and_not1_b32 vcc_lo, exec_lo, s13
	s_cbranch_vccnz .LBB141_303
; %bb.299:                              ;   in Loop: Header=BB141_288 Depth=1
	s_and_saveexec_b32 s8, s2
	s_cbranch_execz .LBB141_302
; %bb.300:                              ;   in Loop: Header=BB141_288 Depth=1
	v_mov_b32_e32 v0, v41
	s_mul_i32 s9, s20, s43
	s_mov_b32 s10, 0
.LBB141_301:                            ;   Parent Loop BB141_288 Depth=1
                                        ; =>  This Inner Loop Header: Depth=2
	s_delay_alu instid0(VALU_DEP_1)
	v_dual_add_nc_u32 v1, s9, v0 :: v_dual_add_nc_u32 v16, s18, v0
	v_add_nc_u32_e32 v0, s21, v0
	s_clause 0x1
	global_load_b128 v[8:11], v1, s[28:29] scale_offset
	global_load_b128 v[12:15], v16, s[28:29] scale_offset
	v_cmp_le_i32_e32 vcc_lo, s26, v0
	s_or_b32 s10, vcc_lo, s10
	s_wait_loadcnt 0x1
	ds_store_2addr_b64 v3, v[8:9], v[10:11] offset1:1
	s_wait_loadcnt 0x0
	s_clause 0x1
	global_store_b128 v1, v[12:15], s[28:29] scale_offset
	global_store_b128 v16, v[8:11], s[28:29] scale_offset
	s_wait_xcnt 0x0
	s_and_not1_b32 exec_lo, exec_lo, s10
	s_cbranch_execnz .LBB141_301
.LBB141_302:                            ;   in Loop: Header=BB141_288 Depth=1
	s_or_b32 exec_lo, exec_lo, s8
	s_wait_storecnt_dscnt 0x0
	s_barrier_signal -1
	s_barrier_wait -1
.LBB141_303:                            ;   in Loop: Header=BB141_288 Depth=1
	s_and_not1_b32 vcc_lo, exec_lo, s14
	s_cbranch_vccnz .LBB141_287
; %bb.304:                              ;   in Loop: Header=BB141_288 Depth=1
	s_and_saveexec_b32 s8, s3
	s_cbranch_execz .LBB141_286
; %bb.305:                              ;   in Loop: Header=BB141_288 Depth=1
	v_dual_mov_b32 v0, v6 :: v_dual_mov_b32 v1, v41
	s_mov_b32 s9, 0
.LBB141_306:                            ;   Parent Loop BB141_288 Depth=1
                                        ; =>  This Inner Loop Header: Depth=2
	s_delay_alu instid0(VALU_DEP_1) | instskip(NEXT) | instid1(VALU_DEP_2)
	v_dual_add_nc_u32 v16, s20, v0 :: v_dual_add_nc_u32 v17, s4, v0
	v_dual_add_nc_u32 v1, s21, v1 :: v_dual_add_nc_u32 v0, s17, v0
	s_clause 0x1
	global_load_b128 v[8:11], v16, s[44:45] scale_offset
	global_load_b128 v[12:15], v17, s[44:45] scale_offset
	v_cmp_le_i32_e32 vcc_lo, s27, v1
	s_or_b32 s9, vcc_lo, s9
	s_wait_loadcnt 0x1
	ds_store_2addr_b64 v2, v[8:9], v[10:11] offset1:1
	s_wait_loadcnt 0x0
	s_clause 0x1
	global_store_b128 v16, v[12:15], s[44:45] scale_offset
	global_store_b128 v17, v[8:11], s[44:45] scale_offset
	s_wait_xcnt 0x0
	s_and_not1_b32 exec_lo, exec_lo, s9
	s_cbranch_execnz .LBB141_306
	s_branch .LBB141_286
.LBB141_307:
	s_mov_b32 s4, 0
.LBB141_308:
	s_delay_alu instid0(SALU_CYCLE_1)
	s_and_not1_b32 vcc_lo, exec_lo, s4
	s_cbranch_vccnz .LBB141_311
; %bb.309:
	s_mov_b32 s0, exec_lo
	s_wait_xcnt 0x0
	v_cmpx_eq_u32_e32 0, v41
	s_cbranch_execz .LBB141_311
; %bb.310:
	v_dual_mov_b32 v0, 0 :: v_dual_mov_b32 v1, s42
	s_add_nc_u64 s[0:1], s[38:39], s[22:23]
	global_store_b32 v0, v1, s[0:1]
.LBB141_311:
	s_endpgm
	.section	.rodata,"a",@progbits
	.p2align	6, 0x0
	.amdhsa_kernel _ZN9rocsolver6v33100L14bdsqr_finalizeI19rocblas_complex_numIdEdPS3_S4_S4_EEviiiiPT0_lS6_lT1_iilT2_iilT3_iilPiSA_SA_
		.amdhsa_group_segment_fixed_size 98304
		.amdhsa_private_segment_fixed_size 64
		.amdhsa_kernarg_size 400
		.amdhsa_user_sgpr_count 4
		.amdhsa_user_sgpr_dispatch_ptr 1
		.amdhsa_user_sgpr_queue_ptr 0
		.amdhsa_user_sgpr_kernarg_segment_ptr 1
		.amdhsa_user_sgpr_dispatch_id 0
		.amdhsa_user_sgpr_kernarg_preload_length 0
		.amdhsa_user_sgpr_kernarg_preload_offset 0
		.amdhsa_user_sgpr_private_segment_size 0
		.amdhsa_wavefront_size32 1
		.amdhsa_uses_dynamic_stack 0
		.amdhsa_enable_private_segment 1
		.amdhsa_system_sgpr_workgroup_id_x 1
		.amdhsa_system_sgpr_workgroup_id_y 1
		.amdhsa_system_sgpr_workgroup_id_z 0
		.amdhsa_system_sgpr_workgroup_info 0
		.amdhsa_system_vgpr_workitem_id 2
		.amdhsa_next_free_vgpr 49
		.amdhsa_next_free_sgpr 60
		.amdhsa_named_barrier_count 0
		.amdhsa_reserve_vcc 1
		.amdhsa_float_round_mode_32 0
		.amdhsa_float_round_mode_16_64 0
		.amdhsa_float_denorm_mode_32 3
		.amdhsa_float_denorm_mode_16_64 3
		.amdhsa_fp16_overflow 0
		.amdhsa_memory_ordered 1
		.amdhsa_forward_progress 1
		.amdhsa_inst_pref_size 65
		.amdhsa_round_robin_scheduling 0
		.amdhsa_exception_fp_ieee_invalid_op 0
		.amdhsa_exception_fp_denorm_src 0
		.amdhsa_exception_fp_ieee_div_zero 0
		.amdhsa_exception_fp_ieee_overflow 0
		.amdhsa_exception_fp_ieee_underflow 0
		.amdhsa_exception_fp_ieee_inexact 0
		.amdhsa_exception_int_div_zero 0
	.end_amdhsa_kernel
	.section	.text._ZN9rocsolver6v33100L14bdsqr_finalizeI19rocblas_complex_numIdEdPS3_S4_S4_EEviiiiPT0_lS6_lT1_iilT2_iilT3_iilPiSA_SA_,"axG",@progbits,_ZN9rocsolver6v33100L14bdsqr_finalizeI19rocblas_complex_numIdEdPS3_S4_S4_EEviiiiPT0_lS6_lT1_iilT2_iilT3_iilPiSA_SA_,comdat
.Lfunc_end141:
	.size	_ZN9rocsolver6v33100L14bdsqr_finalizeI19rocblas_complex_numIdEdPS3_S4_S4_EEviiiiPT0_lS6_lT1_iilT2_iilT3_iilPiSA_SA_, .Lfunc_end141-_ZN9rocsolver6v33100L14bdsqr_finalizeI19rocblas_complex_numIdEdPS3_S4_S4_EEviiiiPT0_lS6_lT1_iilT2_iilT3_iilPiSA_SA_
                                        ; -- End function
	.set _ZN9rocsolver6v33100L14bdsqr_finalizeI19rocblas_complex_numIdEdPS3_S4_S4_EEviiiiPT0_lS6_lT1_iilT2_iilT3_iilPiSA_SA_.num_vgpr, max(46, .L__assert_fail.num_vgpr)
	.set _ZN9rocsolver6v33100L14bdsqr_finalizeI19rocblas_complex_numIdEdPS3_S4_S4_EEviiiiPT0_lS6_lT1_iilT2_iilT3_iilPiSA_SA_.num_agpr, max(0, .L__assert_fail.num_agpr)
	.set _ZN9rocsolver6v33100L14bdsqr_finalizeI19rocblas_complex_numIdEdPS3_S4_S4_EEviiiiPT0_lS6_lT1_iilT2_iilT3_iilPiSA_SA_.numbered_sgpr, max(60, .L__assert_fail.numbered_sgpr)
	.set _ZN9rocsolver6v33100L14bdsqr_finalizeI19rocblas_complex_numIdEdPS3_S4_S4_EEviiiiPT0_lS6_lT1_iilT2_iilT3_iilPiSA_SA_.num_named_barrier, max(0, .L__assert_fail.num_named_barrier)
	.set _ZN9rocsolver6v33100L14bdsqr_finalizeI19rocblas_complex_numIdEdPS3_S4_S4_EEviiiiPT0_lS6_lT1_iilT2_iilT3_iilPiSA_SA_.private_seg_size, 0+max(.L__assert_fail.private_seg_size)
	.set _ZN9rocsolver6v33100L14bdsqr_finalizeI19rocblas_complex_numIdEdPS3_S4_S4_EEviiiiPT0_lS6_lT1_iilT2_iilT3_iilPiSA_SA_.uses_vcc, or(1, .L__assert_fail.uses_vcc)
	.set _ZN9rocsolver6v33100L14bdsqr_finalizeI19rocblas_complex_numIdEdPS3_S4_S4_EEviiiiPT0_lS6_lT1_iilT2_iilT3_iilPiSA_SA_.uses_flat_scratch, or(0, .L__assert_fail.uses_flat_scratch)
	.set _ZN9rocsolver6v33100L14bdsqr_finalizeI19rocblas_complex_numIdEdPS3_S4_S4_EEviiiiPT0_lS6_lT1_iilT2_iilT3_iilPiSA_SA_.has_dyn_sized_stack, or(0, .L__assert_fail.has_dyn_sized_stack)
	.set _ZN9rocsolver6v33100L14bdsqr_finalizeI19rocblas_complex_numIdEdPS3_S4_S4_EEviiiiPT0_lS6_lT1_iilT2_iilT3_iilPiSA_SA_.has_recursion, or(0, .L__assert_fail.has_recursion)
	.set _ZN9rocsolver6v33100L14bdsqr_finalizeI19rocblas_complex_numIdEdPS3_S4_S4_EEviiiiPT0_lS6_lT1_iilT2_iilT3_iilPiSA_SA_.has_indirect_call, or(0, .L__assert_fail.has_indirect_call)
	.section	.AMDGPU.csdata,"",@progbits
; Kernel info:
; codeLenInByte = 8280
; TotalNumSgprs: 62
; NumVgprs: 49
; ScratchSize: 64
; MemoryBound: 0
; FloatMode: 240
; IeeeMode: 1
; LDSByteSize: 98304 bytes/workgroup (compile time only)
; SGPRBlocks: 0
; VGPRBlocks: 3
; NumSGPRsForWavesPerEU: 62
; NumVGPRsForWavesPerEU: 49
; NamedBarCnt: 0
; Occupancy: 16
; WaveLimiterHint : 1
; COMPUTE_PGM_RSRC2:SCRATCH_EN: 1
; COMPUTE_PGM_RSRC2:USER_SGPR: 4
; COMPUTE_PGM_RSRC2:TRAP_HANDLER: 0
; COMPUTE_PGM_RSRC2:TGID_X_EN: 1
; COMPUTE_PGM_RSRC2:TGID_Y_EN: 1
; COMPUTE_PGM_RSRC2:TGID_Z_EN: 0
; COMPUTE_PGM_RSRC2:TIDIG_COMP_CNT: 2
	.section	.text._ZN9rocsolver6v33100L8copy_matI19rocblas_complex_numIdEPS3_S4_NS0_7no_maskEEEviiT0_iilT1_iilT2_13rocblas_fill_17rocblas_diagonal_,"axG",@progbits,_ZN9rocsolver6v33100L8copy_matI19rocblas_complex_numIdEPS3_S4_NS0_7no_maskEEEviiT0_iilT1_iilT2_13rocblas_fill_17rocblas_diagonal_,comdat
	.globl	_ZN9rocsolver6v33100L8copy_matI19rocblas_complex_numIdEPS3_S4_NS0_7no_maskEEEviiT0_iilT1_iilT2_13rocblas_fill_17rocblas_diagonal_ ; -- Begin function _ZN9rocsolver6v33100L8copy_matI19rocblas_complex_numIdEPS3_S4_NS0_7no_maskEEEviiT0_iilT1_iilT2_13rocblas_fill_17rocblas_diagonal_
	.p2align	8
	.type	_ZN9rocsolver6v33100L8copy_matI19rocblas_complex_numIdEPS3_S4_NS0_7no_maskEEEviiT0_iilT1_iilT2_13rocblas_fill_17rocblas_diagonal_,@function
_ZN9rocsolver6v33100L8copy_matI19rocblas_complex_numIdEPS3_S4_NS0_7no_maskEEEviiT0_iilT1_iilT2_13rocblas_fill_17rocblas_diagonal_: ; @_ZN9rocsolver6v33100L8copy_matI19rocblas_complex_numIdEPS3_S4_NS0_7no_maskEEEviiT0_iilT1_iilT2_13rocblas_fill_17rocblas_diagonal_
; %bb.0:
	s_clause 0x1
	s_load_b32 s2, s[0:1], 0x54
	s_load_b64 s[4:5], s[0:1], 0x0
	s_bfe_u32 s7, ttmp6, 0x4000c
	s_bfe_u32 s9, ttmp6, 0x40010
	s_and_b32 s8, ttmp7, 0xffff
	s_add_co_i32 s7, s7, 1
	s_add_co_i32 s9, s9, 1
	s_and_b32 s6, ttmp6, 15
	s_bfe_u32 s10, ttmp6, 0x40004
	s_mul_i32 s7, ttmp9, s7
	s_mul_i32 s9, s8, s9
	s_getreg_b32 s3, hwreg(HW_REG_IB_STS2, 6, 4)
	v_bfe_u32 v1, v0, 10, 10
	v_and_b32_e32 v0, 0x3ff, v0
	s_add_co_i32 s6, s6, s7
	s_add_co_i32 s10, s10, s9
	s_wait_kmcnt 0x0
	s_lshr_b32 s7, s2, 16
	s_and_b32 s2, s2, 0xffff
	s_cmp_eq_u32 s3, 0
	s_cselect_b32 s6, ttmp9, s6
	s_cselect_b32 s8, s8, s10
	v_mad_u32 v0, s6, s2, v0
	v_mad_u32 v1, s8, s7, v1
	s_delay_alu instid0(VALU_DEP_2) | instskip(NEXT) | instid1(VALU_DEP_2)
	v_cmp_gt_u32_e32 vcc_lo, s4, v0
	v_cmp_gt_u32_e64 s2, s5, v1
	s_and_b32 s2, s2, vcc_lo
	s_delay_alu instid0(SALU_CYCLE_1)
	s_and_saveexec_b32 s4, s2
	s_cbranch_execz .LBB142_14
; %bb.1:
	s_load_b64 s[4:5], s[0:1], 0x3c
	s_wait_kmcnt 0x0
	s_cmp_lt_i32 s4, 0x7a
	s_cbranch_scc1 .LBB142_4
; %bb.2:
	s_cmp_gt_i32 s4, 0x7a
	s_cbranch_scc0 .LBB142_5
; %bb.3:
	s_cmp_lg_u32 s4, 0x7b
	s_mov_b32 s6, -1
	s_cselect_b32 s7, -1, 0
	s_cbranch_execz .LBB142_6
	s_branch .LBB142_7
.LBB142_4:
	s_mov_b32 s7, 0
	s_mov_b32 s6, 0
	s_cbranch_execnz .LBB142_8
	s_branch .LBB142_10
.LBB142_5:
	s_mov_b32 s6, 0
	s_mov_b32 s7, 0
.LBB142_6:
	v_cmp_gt_u32_e32 vcc_lo, v0, v1
	v_cmp_le_u32_e64 s2, v0, v1
	s_and_not1_b32 s6, s6, exec_lo
	s_and_not1_b32 s7, s7, exec_lo
	s_and_b32 s8, vcc_lo, exec_lo
	s_and_b32 s2, s2, exec_lo
	s_or_b32 s6, s6, s8
	s_or_b32 s7, s7, s2
.LBB142_7:
	s_branch .LBB142_10
.LBB142_8:
	s_cmp_eq_u32 s4, 0x79
	s_mov_b32 s7, -1
	s_cbranch_scc0 .LBB142_10
; %bb.9:
	v_cmp_gt_u32_e32 vcc_lo, v1, v0
	v_cmp_le_u32_e64 s2, v1, v0
	s_and_not1_b32 s4, s6, exec_lo
	s_and_b32 s6, vcc_lo, exec_lo
	s_or_not1_b32 s7, s2, exec_lo
	s_or_b32 s6, s4, s6
.LBB142_10:
	s_and_saveexec_b32 s2, s7
; %bb.11:
	v_cmp_eq_u32_e32 vcc_lo, v0, v1
	s_cmp_eq_u32 s5, 0x83
	s_cselect_b32 s4, -1, 0
	s_and_not1_b32 s5, s6, exec_lo
	s_and_b32 s4, s4, vcc_lo
	s_delay_alu instid0(SALU_CYCLE_1) | instskip(NEXT) | instid1(SALU_CYCLE_1)
	s_and_b32 s4, s4, exec_lo
	s_or_b32 s6, s5, s4
; %bb.12:
	s_or_b32 exec_lo, exec_lo, s2
	s_delay_alu instid0(SALU_CYCLE_1)
	s_and_b32 exec_lo, exec_lo, s6
	s_cbranch_execz .LBB142_14
; %bb.13:
	s_load_b256 s[4:11], s[0:1], 0x8
	s_bfe_u32 s2, ttmp6, 0x40014
	s_lshr_b32 s12, ttmp7, 16
	s_add_co_i32 s2, s2, 1
	s_bfe_u32 s14, ttmp6, 0x40008
	s_mul_i32 s2, s12, s2
	s_mov_b32 s13, 0
	s_add_co_i32 s14, s14, s2
	s_wait_kmcnt 0x0
	s_ashr_i32 s15, s6, 31
	s_cmp_eq_u32 s3, 0
	v_mad_u32 v2, v1, s7, v0
	s_cselect_b32 s12, s12, s14
	s_mov_b32 s14, s6
	s_mul_u64 s[2:3], s[8:9], s[12:13]
	s_delay_alu instid0(SALU_CYCLE_1) | instskip(NEXT) | instid1(SALU_CYCLE_1)
	s_lshl_b64 s[2:3], s[2:3], 4
	s_add_nc_u64 s[2:3], s[4:5], s[2:3]
	s_lshl_b64 s[4:5], s[14:15], 4
	s_delay_alu instid0(SALU_CYCLE_1)
	s_add_nc_u64 s[2:3], s[2:3], s[4:5]
	s_load_b128 s[4:7], s[0:1], 0x28
	global_load_b128 v[2:5], v2, s[2:3] scale_offset
	s_wait_kmcnt 0x0
	v_mad_u32 v0, v1, s5, v0
	s_mul_u64 s[0:1], s[6:7], s[12:13]
	s_wait_xcnt 0x0
	s_ashr_i32 s3, s4, 31
	s_lshl_b64 s[0:1], s[0:1], 4
	s_mov_b32 s2, s4
	s_add_nc_u64 s[0:1], s[10:11], s[0:1]
	s_lshl_b64 s[2:3], s[2:3], 4
	s_delay_alu instid0(SALU_CYCLE_1)
	s_add_nc_u64 s[0:1], s[0:1], s[2:3]
	s_wait_loadcnt 0x0
	global_store_b128 v0, v[2:5], s[0:1] scale_offset
.LBB142_14:
	s_endpgm
	.section	.rodata,"a",@progbits
	.p2align	6, 0x0
	.amdhsa_kernel _ZN9rocsolver6v33100L8copy_matI19rocblas_complex_numIdEPS3_S4_NS0_7no_maskEEEviiT0_iilT1_iilT2_13rocblas_fill_17rocblas_diagonal_
		.amdhsa_group_segment_fixed_size 0
		.amdhsa_private_segment_fixed_size 0
		.amdhsa_kernarg_size 328
		.amdhsa_user_sgpr_count 2
		.amdhsa_user_sgpr_dispatch_ptr 0
		.amdhsa_user_sgpr_queue_ptr 0
		.amdhsa_user_sgpr_kernarg_segment_ptr 1
		.amdhsa_user_sgpr_dispatch_id 0
		.amdhsa_user_sgpr_kernarg_preload_length 0
		.amdhsa_user_sgpr_kernarg_preload_offset 0
		.amdhsa_user_sgpr_private_segment_size 0
		.amdhsa_wavefront_size32 1
		.amdhsa_uses_dynamic_stack 0
		.amdhsa_enable_private_segment 0
		.amdhsa_system_sgpr_workgroup_id_x 1
		.amdhsa_system_sgpr_workgroup_id_y 1
		.amdhsa_system_sgpr_workgroup_id_z 1
		.amdhsa_system_sgpr_workgroup_info 0
		.amdhsa_system_vgpr_workitem_id 1
		.amdhsa_next_free_vgpr 6
		.amdhsa_next_free_sgpr 16
		.amdhsa_named_barrier_count 0
		.amdhsa_reserve_vcc 1
		.amdhsa_float_round_mode_32 0
		.amdhsa_float_round_mode_16_64 0
		.amdhsa_float_denorm_mode_32 3
		.amdhsa_float_denorm_mode_16_64 3
		.amdhsa_fp16_overflow 0
		.amdhsa_memory_ordered 1
		.amdhsa_forward_progress 1
		.amdhsa_inst_pref_size 5
		.amdhsa_round_robin_scheduling 0
		.amdhsa_exception_fp_ieee_invalid_op 0
		.amdhsa_exception_fp_denorm_src 0
		.amdhsa_exception_fp_ieee_div_zero 0
		.amdhsa_exception_fp_ieee_overflow 0
		.amdhsa_exception_fp_ieee_underflow 0
		.amdhsa_exception_fp_ieee_inexact 0
		.amdhsa_exception_int_div_zero 0
	.end_amdhsa_kernel
	.section	.text._ZN9rocsolver6v33100L8copy_matI19rocblas_complex_numIdEPS3_S4_NS0_7no_maskEEEviiT0_iilT1_iilT2_13rocblas_fill_17rocblas_diagonal_,"axG",@progbits,_ZN9rocsolver6v33100L8copy_matI19rocblas_complex_numIdEPS3_S4_NS0_7no_maskEEEviiT0_iilT1_iilT2_13rocblas_fill_17rocblas_diagonal_,comdat
.Lfunc_end142:
	.size	_ZN9rocsolver6v33100L8copy_matI19rocblas_complex_numIdEPS3_S4_NS0_7no_maskEEEviiT0_iilT1_iilT2_13rocblas_fill_17rocblas_diagonal_, .Lfunc_end142-_ZN9rocsolver6v33100L8copy_matI19rocblas_complex_numIdEPS3_S4_NS0_7no_maskEEEviiT0_iilT1_iilT2_13rocblas_fill_17rocblas_diagonal_
                                        ; -- End function
	.set _ZN9rocsolver6v33100L8copy_matI19rocblas_complex_numIdEPS3_S4_NS0_7no_maskEEEviiT0_iilT1_iilT2_13rocblas_fill_17rocblas_diagonal_.num_vgpr, 6
	.set _ZN9rocsolver6v33100L8copy_matI19rocblas_complex_numIdEPS3_S4_NS0_7no_maskEEEviiT0_iilT1_iilT2_13rocblas_fill_17rocblas_diagonal_.num_agpr, 0
	.set _ZN9rocsolver6v33100L8copy_matI19rocblas_complex_numIdEPS3_S4_NS0_7no_maskEEEviiT0_iilT1_iilT2_13rocblas_fill_17rocblas_diagonal_.numbered_sgpr, 16
	.set _ZN9rocsolver6v33100L8copy_matI19rocblas_complex_numIdEPS3_S4_NS0_7no_maskEEEviiT0_iilT1_iilT2_13rocblas_fill_17rocblas_diagonal_.num_named_barrier, 0
	.set _ZN9rocsolver6v33100L8copy_matI19rocblas_complex_numIdEPS3_S4_NS0_7no_maskEEEviiT0_iilT1_iilT2_13rocblas_fill_17rocblas_diagonal_.private_seg_size, 0
	.set _ZN9rocsolver6v33100L8copy_matI19rocblas_complex_numIdEPS3_S4_NS0_7no_maskEEEviiT0_iilT1_iilT2_13rocblas_fill_17rocblas_diagonal_.uses_vcc, 1
	.set _ZN9rocsolver6v33100L8copy_matI19rocblas_complex_numIdEPS3_S4_NS0_7no_maskEEEviiT0_iilT1_iilT2_13rocblas_fill_17rocblas_diagonal_.uses_flat_scratch, 0
	.set _ZN9rocsolver6v33100L8copy_matI19rocblas_complex_numIdEPS3_S4_NS0_7no_maskEEEviiT0_iilT1_iilT2_13rocblas_fill_17rocblas_diagonal_.has_dyn_sized_stack, 0
	.set _ZN9rocsolver6v33100L8copy_matI19rocblas_complex_numIdEPS3_S4_NS0_7no_maskEEEviiT0_iilT1_iilT2_13rocblas_fill_17rocblas_diagonal_.has_recursion, 0
	.set _ZN9rocsolver6v33100L8copy_matI19rocblas_complex_numIdEPS3_S4_NS0_7no_maskEEEviiT0_iilT1_iilT2_13rocblas_fill_17rocblas_diagonal_.has_indirect_call, 0
	.section	.AMDGPU.csdata,"",@progbits
; Kernel info:
; codeLenInByte = 588
; TotalNumSgprs: 18
; NumVgprs: 6
; ScratchSize: 0
; MemoryBound: 0
; FloatMode: 240
; IeeeMode: 1
; LDSByteSize: 0 bytes/workgroup (compile time only)
; SGPRBlocks: 0
; VGPRBlocks: 0
; NumSGPRsForWavesPerEU: 18
; NumVGPRsForWavesPerEU: 6
; NamedBarCnt: 0
; Occupancy: 16
; WaveLimiterHint : 0
; COMPUTE_PGM_RSRC2:SCRATCH_EN: 0
; COMPUTE_PGM_RSRC2:USER_SGPR: 2
; COMPUTE_PGM_RSRC2:TRAP_HANDLER: 0
; COMPUTE_PGM_RSRC2:TGID_X_EN: 1
; COMPUTE_PGM_RSRC2:TGID_Y_EN: 1
; COMPUTE_PGM_RSRC2:TGID_Z_EN: 1
; COMPUTE_PGM_RSRC2:TIDIG_COMP_CNT: 1
	.text
	.p2alignl 7, 3214868480
	.fill 96, 4, 3214868480
	.section	.AMDGPU.gpr_maximums,"",@progbits
	.set amdgpu.max_num_vgpr, 49
	.set amdgpu.max_num_agpr, 0
	.set amdgpu.max_num_sgpr, 34
	.text
	.type	__const.__assert_fail.fmt,@object ; @__const.__assert_fail.fmt
	.section	.rodata.str1.16,"aMS",@progbits,1
	.p2align	4, 0x0
__const.__assert_fail.fmt:
	.asciz	"%s:%u: %s: Device-side assertion `%s' failed.\n"
	.size	__const.__assert_fail.fmt, 47

	.type	.str.5,@object                  ; @.str.5
	.section	.rodata.str1.1,"aMS",@progbits,1
.str.5:
	.asciz	"std::isnan(a[k]) || std::isnan(a[k + 1]) || a[k] >= a[k + 1]"
	.size	.str.5, 61

	.type	.str.6,@object                  ; @.str.6
.str.6:
	.asciz	"/root/src/amdgpu-assembly/repos/ROCm__rocSOLVER/library/src/include/lib_device_helpers.hpp"
	.size	.str.6, 91

	.type	__PRETTY_FUNCTION__._ZN9rocsolver6v33100L21shell_sort_descendingIfiEEvT0_PT_PS2_,@object ; @__PRETTY_FUNCTION__._ZN9rocsolver6v33100L21shell_sort_descendingIfiEEvT0_PT_PS2_
__PRETTY_FUNCTION__._ZN9rocsolver6v33100L21shell_sort_descendingIfiEEvT0_PT_PS2_:
	.asciz	"void rocsolver::shell_sort_descending(const I, S *, I *) [S = float, I = int]"
	.size	__PRETTY_FUNCTION__._ZN9rocsolver6v33100L21shell_sort_descendingIfiEEvT0_PT_PS2_, 78

	.type	__PRETTY_FUNCTION__._ZN9rocsolver6v33100L21shell_sort_descendingIdiEEvT0_PT_PS2_,@object ; @__PRETTY_FUNCTION__._ZN9rocsolver6v33100L21shell_sort_descendingIdiEEvT0_PT_PS2_
__PRETTY_FUNCTION__._ZN9rocsolver6v33100L21shell_sort_descendingIdiEEvT0_PT_PS2_:
	.asciz	"void rocsolver::shell_sort_descending(const I, S *, I *) [S = double, I = int]"
	.size	__PRETTY_FUNCTION__._ZN9rocsolver6v33100L21shell_sort_descendingIdiEEvT0_PT_PS2_, 79

	.type	__hip_cuid_fa8ccecb501ad2d6,@object ; @__hip_cuid_fa8ccecb501ad2d6
	.section	.bss,"aw",@nobits
	.globl	__hip_cuid_fa8ccecb501ad2d6
__hip_cuid_fa8ccecb501ad2d6:
	.byte	0                               ; 0x0
	.size	__hip_cuid_fa8ccecb501ad2d6, 1

	.ident	"AMD clang version 22.0.0git (https://github.com/RadeonOpenCompute/llvm-project roc-7.2.4 26084 f58b06dce1f9c15707c5f808fd002e18c2accf7e)"
	.section	".note.GNU-stack","",@progbits
	.addrsig
	.addrsig_sym __hip_cuid_fa8ccecb501ad2d6
	.amdgpu_metadata
---
amdhsa.kernels:
  - .args:
      - .address_space:  global
        .offset:         0
        .size:           8
        .value_kind:     global_buffer
      - .offset:         8
        .size:           4
        .value_kind:     by_value
      - .offset:         12
        .size:           4
        .value_kind:     by_value
    .group_segment_fixed_size: 0
    .kernarg_segment_align: 8
    .kernarg_segment_size: 16
    .language:       OpenCL C
    .language_version:
      - 2
      - 0
    .max_flat_workgroup_size: 32
    .name:           _ZN9rocsolver6v33100L6iota_nIfEEvPT_jS2_
    .private_segment_fixed_size: 0
    .sgpr_count:     6
    .sgpr_spill_count: 0
    .symbol:         _ZN9rocsolver6v33100L6iota_nIfEEvPT_jS2_.kd
    .uniform_work_group_size: 1
    .uses_dynamic_stack: false
    .vgpr_count:     2
    .vgpr_spill_count: 0
    .wavefront_size: 32
  - .args:
      - .offset:         0
        .size:           4
        .value_kind:     by_value
      - .offset:         4
        .size:           4
        .value_kind:     by_value
      - .address_space:  global
        .offset:         8
        .size:           8
        .value_kind:     global_buffer
      - .offset:         16
        .size:           8
        .value_kind:     by_value
      - .offset:         24
        .size:           4
        .value_kind:     by_value
      - .offset:         32
        .size:           8
        .value_kind:     by_value
      - .address_space:  global
        .offset:         40
        .size:           8
        .value_kind:     global_buffer
      - .offset:         48
        .size:           8
        .value_kind:     by_value
      - .address_space:  global
        .offset:         56
        .size:           8
        .value_kind:     global_buffer
      - .offset:         64
        .size:           8
        .value_kind:     by_value
    .group_segment_fixed_size: 0
    .kernarg_segment_align: 8
    .kernarg_segment_size: 72
    .language:       OpenCL C
    .language_version:
      - 2
      - 0
    .max_flat_workgroup_size: 256
    .name:           _ZN9rocsolver6v33100L18geqr2_kernel_smallILi256EfifPfEEvT1_S3_T3_lS3_lPT2_lPT0_l
    .private_segment_fixed_size: 0
    .sgpr_count:     38
    .sgpr_spill_count: 0
    .symbol:         _ZN9rocsolver6v33100L18geqr2_kernel_smallILi256EfifPfEEvT1_S3_T3_lS3_lPT2_lPT0_l.kd
    .uniform_work_group_size: 1
    .uses_dynamic_stack: false
    .vgpr_count:     27
    .vgpr_spill_count: 0
    .wavefront_size: 32
  - .args:
      - .address_space:  global
        .offset:         0
        .size:           8
        .value_kind:     global_buffer
      - .offset:         8
        .size:           8
        .value_kind:     by_value
      - .offset:         16
        .size:           4
        .value_kind:     by_value
      - .offset:         20
        .size:           4
        .value_kind:     by_value
      - .offset:         24
        .size:           4
        .value_kind:     hidden_block_count_x
      - .offset:         28
        .size:           4
        .value_kind:     hidden_block_count_y
      - .offset:         32
        .size:           4
        .value_kind:     hidden_block_count_z
      - .offset:         36
        .size:           2
        .value_kind:     hidden_group_size_x
      - .offset:         38
        .size:           2
        .value_kind:     hidden_group_size_y
      - .offset:         40
        .size:           2
        .value_kind:     hidden_group_size_z
      - .offset:         42
        .size:           2
        .value_kind:     hidden_remainder_x
      - .offset:         44
        .size:           2
        .value_kind:     hidden_remainder_y
      - .offset:         46
        .size:           2
        .value_kind:     hidden_remainder_z
      - .offset:         64
        .size:           8
        .value_kind:     hidden_global_offset_x
      - .offset:         72
        .size:           8
        .value_kind:     hidden_global_offset_y
      - .offset:         80
        .size:           8
        .value_kind:     hidden_global_offset_z
      - .offset:         88
        .size:           2
        .value_kind:     hidden_grid_dims
    .group_segment_fixed_size: 0
    .kernarg_segment_align: 8
    .kernarg_segment_size: 280
    .language:       OpenCL C
    .language_version:
      - 2
      - 0
    .max_flat_workgroup_size: 1024
    .name:           _ZN9rocsolver6v33100L16reset_batch_infoIfiiPfEEvT2_lT0_T1_
    .private_segment_fixed_size: 0
    .sgpr_count:     14
    .sgpr_spill_count: 0
    .symbol:         _ZN9rocsolver6v33100L16reset_batch_infoIfiiPfEEvT2_lT0_T1_.kd
    .uniform_work_group_size: 1
    .uses_dynamic_stack: false
    .vgpr_count:     2
    .vgpr_spill_count: 0
    .wavefront_size: 32
  - .args:
      - .address_space:  global
        .offset:         0
        .size:           8
        .value_kind:     global_buffer
      - .offset:         8
        .size:           8
        .value_kind:     by_value
      - .offset:         16
        .size:           8
        .value_kind:     by_value
      - .address_space:  global
        .offset:         24
        .size:           8
        .value_kind:     global_buffer
      - .offset:         32
        .size:           8
        .value_kind:     by_value
      - .offset:         40
        .size:           4
        .value_kind:     by_value
      - .offset:         48
        .size:           8
        .value_kind:     by_value
      - .offset:         56
        .size:           4
        .value_kind:     by_value
      - .offset:         60
        .size:           1
        .value_kind:     by_value
      - .offset:         64
        .size:           4
        .value_kind:     hidden_block_count_x
      - .offset:         68
        .size:           4
        .value_kind:     hidden_block_count_y
      - .offset:         72
        .size:           4
        .value_kind:     hidden_block_count_z
      - .offset:         76
        .size:           2
        .value_kind:     hidden_group_size_x
      - .offset:         78
        .size:           2
        .value_kind:     hidden_group_size_y
      - .offset:         80
        .size:           2
        .value_kind:     hidden_group_size_z
      - .offset:         82
        .size:           2
        .value_kind:     hidden_remainder_x
      - .offset:         84
        .size:           2
        .value_kind:     hidden_remainder_y
      - .offset:         86
        .size:           2
        .value_kind:     hidden_remainder_z
      - .offset:         104
        .size:           8
        .value_kind:     hidden_global_offset_x
      - .offset:         112
        .size:           8
        .value_kind:     hidden_global_offset_y
      - .offset:         120
        .size:           8
        .value_kind:     hidden_global_offset_z
      - .offset:         128
        .size:           2
        .value_kind:     hidden_grid_dims
    .group_segment_fixed_size: 0
    .kernarg_segment_align: 8
    .kernarg_segment_size: 320
    .language:       OpenCL C
    .language_version:
      - 2
      - 0
    .max_flat_workgroup_size: 1024
    .name:           _ZN9rocsolver6v33100L8set_diagIfifPfTnNSt9enable_ifIXoont18rocblas_is_complexIT_E18rocblas_is_complexIT1_EEiE4typeELi0EEEvPS5_llT2_lT0_lSA_b
    .private_segment_fixed_size: 0
    .sgpr_count:     22
    .sgpr_spill_count: 0
    .symbol:         _ZN9rocsolver6v33100L8set_diagIfifPfTnNSt9enable_ifIXoont18rocblas_is_complexIT_E18rocblas_is_complexIT1_EEiE4typeELi0EEEvPS5_llT2_lT0_lSA_b.kd
    .uniform_work_group_size: 1
    .uses_dynamic_stack: false
    .vgpr_count:     4
    .vgpr_spill_count: 0
    .wavefront_size: 32
  - .args:
      - .address_space:  global
        .offset:         0
        .size:           8
        .value_kind:     global_buffer
      - .offset:         8
        .size:           8
        .value_kind:     by_value
      - .address_space:  global
        .offset:         16
        .size:           8
        .value_kind:     global_buffer
      - .address_space:  global
        .offset:         24
        .size:           8
        .value_kind:     global_buffer
      - .offset:         32
        .size:           8
        .value_kind:     by_value
      - .offset:         40
        .size:           8
        .value_kind:     by_value
      - .address_space:  global
        .offset:         48
        .size:           8
        .value_kind:     global_buffer
      - .offset:         56
        .size:           8
        .value_kind:     by_value
      - .offset:         64
        .size:           8
        .value_kind:     by_value
    .group_segment_fixed_size: 0
    .kernarg_segment_align: 8
    .kernarg_segment_size: 72
    .language:       OpenCL C
    .language_version:
      - 2
      - 0
    .max_flat_workgroup_size: 1024
    .name:           _ZN9rocsolver6v33100L11set_taubetaIfifPfEEvPT_lS4_T2_llPT1_ll
    .private_segment_fixed_size: 0
    .sgpr_count:     25
    .sgpr_spill_count: 0
    .symbol:         _ZN9rocsolver6v33100L11set_taubetaIfifPfEEvPT_lS4_T2_llPT1_ll.kd
    .uniform_work_group_size: 1
    .uses_dynamic_stack: false
    .vgpr_count:     8
    .vgpr_spill_count: 0
    .wavefront_size: 32
  - .args:
      - .offset:         0
        .size:           4
        .value_kind:     by_value
      - .offset:         4
        .size:           4
        .value_kind:     by_value
      - .address_space:  global
        .offset:         8
        .size:           8
        .value_kind:     global_buffer
      - .offset:         16
        .size:           8
        .value_kind:     by_value
      - .offset:         24
        .size:           4
        .value_kind:     by_value
      - .offset:         32
        .size:           8
        .value_kind:     by_value
    .group_segment_fixed_size: 0
    .kernarg_segment_align: 8
    .kernarg_segment_size: 40
    .language:       OpenCL C
    .language_version:
      - 2
      - 0
    .max_flat_workgroup_size: 1024
    .name:           _ZN9rocsolver6v33100L13conj_in_placeIfiPfTnNSt9enable_ifIXnt18rocblas_is_complexIT_EEiE4typeELi0EEEvT0_S7_T1_lS7_l
    .private_segment_fixed_size: 0
    .sgpr_count:     0
    .sgpr_spill_count: 0
    .symbol:         _ZN9rocsolver6v33100L13conj_in_placeIfiPfTnNSt9enable_ifIXnt18rocblas_is_complexIT_EEiE4typeELi0EEEvT0_S7_T1_lS7_l.kd
    .uniform_work_group_size: 1
    .uses_dynamic_stack: false
    .vgpr_count:     0
    .vgpr_spill_count: 0
    .wavefront_size: 32
  - .args:
      - .offset:         0
        .size:           4
        .value_kind:     by_value
      - .offset:         4
        .size:           4
        .value_kind:     by_value
      - .address_space:  global
        .offset:         8
        .size:           8
        .value_kind:     global_buffer
      - .offset:         16
        .size:           8
        .value_kind:     by_value
      - .offset:         24
        .size:           4
        .value_kind:     by_value
      - .offset:         32
        .size:           8
        .value_kind:     by_value
      - .address_space:  global
        .offset:         40
        .size:           8
        .value_kind:     global_buffer
      - .offset:         48
        .size:           8
        .value_kind:     by_value
      - .address_space:  global
        .offset:         56
        .size:           8
        .value_kind:     global_buffer
      - .offset:         64
        .size:           8
        .value_kind:     by_value
      - .offset:         72
        .size:           4
        .value_kind:     by_value
      - .offset:         80
        .size:           8
        .value_kind:     by_value
    .group_segment_fixed_size: 0
    .kernarg_segment_align: 8
    .kernarg_segment_size: 88
    .language:       OpenCL C
    .language_version:
      - 2
      - 0
    .max_flat_workgroup_size: 1024
    .name:           _ZN9rocsolver6v33100L16larf_left_kernelILi1024EfiPfEEvT1_S3_T2_lS3_lPKT0_lS4_lS3_l
    .private_segment_fixed_size: 0
    .sgpr_count:     38
    .sgpr_spill_count: 0
    .symbol:         _ZN9rocsolver6v33100L16larf_left_kernelILi1024EfiPfEEvT1_S3_T2_lS3_lPKT0_lS4_lS3_l.kd
    .uniform_work_group_size: 1
    .uses_dynamic_stack: false
    .vgpr_count:     20
    .vgpr_spill_count: 0
    .wavefront_size: 32
  - .args:
      - .offset:         0
        .size:           4
        .value_kind:     by_value
      - .offset:         4
        .size:           4
        .value_kind:     by_value
      - .address_space:  global
        .offset:         8
        .size:           8
        .value_kind:     global_buffer
      - .offset:         16
        .size:           8
        .value_kind:     by_value
      - .offset:         24
        .size:           4
        .value_kind:     by_value
      - .offset:         32
        .size:           8
        .value_kind:     by_value
      - .address_space:  global
        .offset:         40
        .size:           8
        .value_kind:     global_buffer
      - .offset:         48
        .size:           8
        .value_kind:     by_value
      - .address_space:  global
        .offset:         56
        .size:           8
        .value_kind:     global_buffer
      - .offset:         64
        .size:           8
        .value_kind:     by_value
      - .offset:         72
        .size:           4
        .value_kind:     by_value
      - .offset:         80
        .size:           8
        .value_kind:     by_value
    .group_segment_fixed_size: 0
    .kernarg_segment_align: 8
    .kernarg_segment_size: 88
    .language:       OpenCL C
    .language_version:
      - 2
      - 0
    .max_flat_workgroup_size: 1024
    .name:           _ZN9rocsolver6v33100L17larf_right_kernelILi1024EfiPfEEvT1_S3_T2_lS3_lPKT0_lS4_lS3_l
    .private_segment_fixed_size: 0
    .sgpr_count:     38
    .sgpr_spill_count: 0
    .symbol:         _ZN9rocsolver6v33100L17larf_right_kernelILi1024EfiPfEEvT1_S3_T2_lS3_lPKT0_lS4_lS3_l.kd
    .uniform_work_group_size: 1
    .uses_dynamic_stack: false
    .vgpr_count:     16
    .vgpr_spill_count: 0
    .wavefront_size: 32
  - .args:
      - .address_space:  global
        .offset:         0
        .size:           8
        .value_kind:     global_buffer
      - .offset:         8
        .size:           8
        .value_kind:     by_value
      - .offset:         16
        .size:           8
        .value_kind:     by_value
      - .address_space:  global
        .offset:         24
        .size:           8
        .value_kind:     global_buffer
      - .offset:         32
        .size:           8
        .value_kind:     by_value
      - .offset:         40
        .size:           4
        .value_kind:     by_value
      - .offset:         48
        .size:           8
        .value_kind:     by_value
      - .offset:         56
        .size:           4
        .value_kind:     by_value
      - .offset:         64
        .size:           4
        .value_kind:     hidden_block_count_x
      - .offset:         68
        .size:           4
        .value_kind:     hidden_block_count_y
      - .offset:         72
        .size:           4
        .value_kind:     hidden_block_count_z
      - .offset:         76
        .size:           2
        .value_kind:     hidden_group_size_x
      - .offset:         78
        .size:           2
        .value_kind:     hidden_group_size_y
      - .offset:         80
        .size:           2
        .value_kind:     hidden_group_size_z
      - .offset:         82
        .size:           2
        .value_kind:     hidden_remainder_x
      - .offset:         84
        .size:           2
        .value_kind:     hidden_remainder_y
      - .offset:         86
        .size:           2
        .value_kind:     hidden_remainder_z
      - .offset:         104
        .size:           8
        .value_kind:     hidden_global_offset_x
      - .offset:         112
        .size:           8
        .value_kind:     hidden_global_offset_y
      - .offset:         120
        .size:           8
        .value_kind:     hidden_global_offset_z
      - .offset:         128
        .size:           2
        .value_kind:     hidden_grid_dims
    .group_segment_fixed_size: 0
    .kernarg_segment_align: 8
    .kernarg_segment_size: 320
    .language:       OpenCL C
    .language_version:
      - 2
      - 0
    .max_flat_workgroup_size: 1024
    .name:           _ZN9rocsolver6v33100L12restore_diagIfifPfEEvPT1_llT2_lT0_lS6_
    .private_segment_fixed_size: 0
    .sgpr_count:     13
    .sgpr_spill_count: 0
    .symbol:         _ZN9rocsolver6v33100L12restore_diagIfifPfEEvPT1_llT2_lT0_lS6_.kd
    .uniform_work_group_size: 1
    .uses_dynamic_stack: false
    .vgpr_count:     2
    .vgpr_spill_count: 0
    .wavefront_size: 32
  - .args:
      - .offset:         0
        .size:           4
        .value_kind:     by_value
      - .offset:         4
        .size:           4
        .value_kind:     by_value
      - .address_space:  global
        .offset:         8
        .size:           8
        .value_kind:     global_buffer
      - .offset:         16
        .size:           4
        .value_kind:     by_value
      - .offset:         20
        .size:           4
        .value_kind:     by_value
      - .offset:         24
        .size:           8
        .value_kind:     by_value
      - .address_space:  global
        .offset:         32
        .size:           8
        .value_kind:     global_buffer
      - .offset:         40
        .size:           8
        .value_kind:     by_value
      - .address_space:  global
        .offset:         48
        .size:           8
        .value_kind:     global_buffer
      - .offset:         56
        .size:           4
        .value_kind:     by_value
      - .offset:         64
        .size:           8
        .value_kind:     by_value
      - .offset:         72
        .size:           4
        .value_kind:     by_value
      - .offset:         76
        .size:           4
        .value_kind:     by_value
      - .offset:         80
        .size:           1
        .value_kind:     by_value
      - .offset:         88
        .size:           4
        .value_kind:     hidden_block_count_x
      - .offset:         92
        .size:           4
        .value_kind:     hidden_block_count_y
      - .offset:         96
        .size:           4
        .value_kind:     hidden_block_count_z
      - .offset:         100
        .size:           2
        .value_kind:     hidden_group_size_x
      - .offset:         102
        .size:           2
        .value_kind:     hidden_group_size_y
      - .offset:         104
        .size:           2
        .value_kind:     hidden_group_size_z
      - .offset:         106
        .size:           2
        .value_kind:     hidden_remainder_x
      - .offset:         108
        .size:           2
        .value_kind:     hidden_remainder_y
      - .offset:         110
        .size:           2
        .value_kind:     hidden_remainder_z
      - .offset:         128
        .size:           8
        .value_kind:     hidden_global_offset_x
      - .offset:         136
        .size:           8
        .value_kind:     hidden_global_offset_y
      - .offset:         144
        .size:           8
        .value_kind:     hidden_global_offset_z
      - .offset:         152
        .size:           2
        .value_kind:     hidden_grid_dims
    .group_segment_fixed_size: 0
    .kernarg_segment_align: 8
    .kernarg_segment_size: 344
    .language:       OpenCL C
    .language_version:
      - 2
      - 0
    .max_flat_workgroup_size: 1024
    .name:           _ZN9rocsolver6v33100L14set_triangularIfPfTnNSt9enable_ifIXnt18rocblas_is_complexIT_EEiE4typeELi0EEEviiT0_iilPS4_lS8_il15rocblas_direct_15rocblas_storev_b
    .private_segment_fixed_size: 0
    .sgpr_count:     24
    .sgpr_spill_count: 0
    .symbol:         _ZN9rocsolver6v33100L14set_triangularIfPfTnNSt9enable_ifIXnt18rocblas_is_complexIT_EEiE4typeELi0EEEviiT0_iilPS4_lS8_il15rocblas_direct_15rocblas_storev_b.kd
    .uniform_work_group_size: 1
    .uses_dynamic_stack: false
    .vgpr_count:     12
    .vgpr_spill_count: 0
    .wavefront_size: 32
  - .args:
      - .offset:         0
        .size:           4
        .value_kind:     by_value
      - .address_space:  global
        .offset:         8
        .size:           8
        .value_kind:     global_buffer
      - .offset:         16
        .size:           8
        .value_kind:     by_value
      - .offset:         24
        .size:           4
        .value_kind:     hidden_block_count_x
      - .offset:         28
        .size:           4
        .value_kind:     hidden_block_count_y
      - .offset:         32
        .size:           4
        .value_kind:     hidden_block_count_z
      - .offset:         36
        .size:           2
        .value_kind:     hidden_group_size_x
      - .offset:         38
        .size:           2
        .value_kind:     hidden_group_size_y
      - .offset:         40
        .size:           2
        .value_kind:     hidden_group_size_z
      - .offset:         42
        .size:           2
        .value_kind:     hidden_remainder_x
      - .offset:         44
        .size:           2
        .value_kind:     hidden_remainder_y
      - .offset:         46
        .size:           2
        .value_kind:     hidden_remainder_z
      - .offset:         64
        .size:           8
        .value_kind:     hidden_global_offset_x
      - .offset:         72
        .size:           8
        .value_kind:     hidden_global_offset_y
      - .offset:         80
        .size:           8
        .value_kind:     hidden_global_offset_z
      - .offset:         88
        .size:           2
        .value_kind:     hidden_grid_dims
    .group_segment_fixed_size: 0
    .kernarg_segment_align: 8
    .kernarg_segment_size: 280
    .language:       OpenCL C
    .language_version:
      - 2
      - 0
    .max_flat_workgroup_size: 1024
    .name:           _ZN9rocsolver6v33100L7set_tauIfEEviPT_l
    .private_segment_fixed_size: 0
    .sgpr_count:     10
    .sgpr_spill_count: 0
    .symbol:         _ZN9rocsolver6v33100L7set_tauIfEEviPT_l.kd
    .uniform_work_group_size: 1
    .uses_dynamic_stack: false
    .vgpr_count:     2
    .vgpr_spill_count: 0
    .wavefront_size: 32
  - .args:
      - .offset:         0
        .size:           4
        .value_kind:     by_value
      - .offset:         4
        .size:           4
        .value_kind:     by_value
      - .offset:         8
        .size:           4
        .value_kind:     by_value
      - .address_space:  global
        .offset:         16
        .size:           8
        .value_kind:     global_buffer
      - .offset:         24
        .size:           4
        .value_kind:     by_value
      - .offset:         28
        .size:           4
        .value_kind:     by_value
      - .offset:         32
        .size:           8
        .value_kind:     by_value
      - .address_space:  global
        .offset:         40
        .size:           8
        .value_kind:     global_buffer
      - .offset:         48
        .size:           8
        .value_kind:     by_value
      - .address_space:  global
        .offset:         56
        .size:           8
        .value_kind:     global_buffer
      - .offset:         64
        .size:           4
        .value_kind:     by_value
      - .offset:         72
        .size:           8
        .value_kind:     by_value
      - .offset:         80
        .size:           4
        .value_kind:     hidden_block_count_x
      - .offset:         84
        .size:           4
        .value_kind:     hidden_block_count_y
      - .offset:         88
        .size:           4
        .value_kind:     hidden_block_count_z
      - .offset:         92
        .size:           2
        .value_kind:     hidden_group_size_x
      - .offset:         94
        .size:           2
        .value_kind:     hidden_group_size_y
      - .offset:         96
        .size:           2
        .value_kind:     hidden_group_size_z
      - .offset:         98
        .size:           2
        .value_kind:     hidden_remainder_x
      - .offset:         100
        .size:           2
        .value_kind:     hidden_remainder_y
      - .offset:         102
        .size:           2
        .value_kind:     hidden_remainder_z
      - .offset:         120
        .size:           8
        .value_kind:     hidden_global_offset_x
      - .offset:         128
        .size:           8
        .value_kind:     hidden_global_offset_y
      - .offset:         136
        .size:           8
        .value_kind:     hidden_global_offset_z
      - .offset:         144
        .size:           2
        .value_kind:     hidden_grid_dims
      - .offset:         200
        .size:           4
        .value_kind:     hidden_dynamic_lds_size
    .group_segment_fixed_size: 0
    .kernarg_segment_align: 8
    .kernarg_segment_size: 336
    .language:       OpenCL C
    .language_version:
      - 2
      - 0
    .max_flat_workgroup_size: 1024
    .name:           _ZN9rocsolver6v33100L20larft_kernel_forwardIfPfEEv15rocblas_storev_iiT0_iilPT_lS6_il
    .private_segment_fixed_size: 0
    .sgpr_count:     46
    .sgpr_spill_count: 0
    .symbol:         _ZN9rocsolver6v33100L20larft_kernel_forwardIfPfEEv15rocblas_storev_iiT0_iilPT_lS6_il.kd
    .uniform_work_group_size: 1
    .uses_dynamic_stack: false
    .vgpr_count:     20
    .vgpr_spill_count: 0
    .wavefront_size: 32
  - .args:
      - .offset:         0
        .size:           4
        .value_kind:     by_value
      - .offset:         4
        .size:           4
        .value_kind:     by_value
      - .offset:         8
        .size:           4
        .value_kind:     by_value
      - .address_space:  global
        .offset:         16
        .size:           8
        .value_kind:     global_buffer
      - .offset:         24
        .size:           4
        .value_kind:     by_value
      - .offset:         28
        .size:           4
        .value_kind:     by_value
      - .offset:         32
        .size:           8
        .value_kind:     by_value
      - .address_space:  global
        .offset:         40
        .size:           8
        .value_kind:     global_buffer
      - .offset:         48
        .size:           8
        .value_kind:     by_value
      - .address_space:  global
        .offset:         56
        .size:           8
        .value_kind:     global_buffer
      - .offset:         64
        .size:           4
        .value_kind:     by_value
      - .offset:         72
        .size:           8
        .value_kind:     by_value
      - .offset:         80
        .size:           4
        .value_kind:     hidden_block_count_x
      - .offset:         84
        .size:           4
        .value_kind:     hidden_block_count_y
      - .offset:         88
        .size:           4
        .value_kind:     hidden_block_count_z
      - .offset:         92
        .size:           2
        .value_kind:     hidden_group_size_x
      - .offset:         94
        .size:           2
        .value_kind:     hidden_group_size_y
      - .offset:         96
        .size:           2
        .value_kind:     hidden_group_size_z
      - .offset:         98
        .size:           2
        .value_kind:     hidden_remainder_x
      - .offset:         100
        .size:           2
        .value_kind:     hidden_remainder_y
      - .offset:         102
        .size:           2
        .value_kind:     hidden_remainder_z
      - .offset:         120
        .size:           8
        .value_kind:     hidden_global_offset_x
      - .offset:         128
        .size:           8
        .value_kind:     hidden_global_offset_y
      - .offset:         136
        .size:           8
        .value_kind:     hidden_global_offset_z
      - .offset:         144
        .size:           2
        .value_kind:     hidden_grid_dims
      - .offset:         200
        .size:           4
        .value_kind:     hidden_dynamic_lds_size
    .group_segment_fixed_size: 0
    .kernarg_segment_align: 8
    .kernarg_segment_size: 336
    .language:       OpenCL C
    .language_version:
      - 2
      - 0
    .max_flat_workgroup_size: 1024
    .name:           _ZN9rocsolver6v33100L21larft_kernel_backwardIfPfEEv15rocblas_storev_iiT0_iilPT_lS6_il
    .private_segment_fixed_size: 0
    .sgpr_count:     44
    .sgpr_spill_count: 0
    .symbol:         _ZN9rocsolver6v33100L21larft_kernel_backwardIfPfEEv15rocblas_storev_iiT0_iilPT_lS6_il.kd
    .uniform_work_group_size: 1
    .uses_dynamic_stack: false
    .vgpr_count:     14
    .vgpr_spill_count: 0
    .wavefront_size: 32
  - .args:
      - .offset:         0
        .size:           4
        .value_kind:     by_value
      - .offset:         4
        .size:           4
        .value_kind:     by_value
      - .address_space:  global
        .offset:         8
        .size:           8
        .value_kind:     global_buffer
      - .offset:         16
        .size:           4
        .value_kind:     by_value
      - .offset:         20
        .size:           4
        .value_kind:     by_value
      - .offset:         24
        .size:           8
        .value_kind:     by_value
      - .address_space:  global
        .offset:         32
        .size:           8
        .value_kind:     global_buffer
      - .offset:         40
        .size:           4
        .value_kind:     hidden_block_count_x
      - .offset:         44
        .size:           4
        .value_kind:     hidden_block_count_y
      - .offset:         48
        .size:           4
        .value_kind:     hidden_block_count_z
      - .offset:         52
        .size:           2
        .value_kind:     hidden_group_size_x
      - .offset:         54
        .size:           2
        .value_kind:     hidden_group_size_y
      - .offset:         56
        .size:           2
        .value_kind:     hidden_group_size_z
      - .offset:         58
        .size:           2
        .value_kind:     hidden_remainder_x
      - .offset:         60
        .size:           2
        .value_kind:     hidden_remainder_y
      - .offset:         62
        .size:           2
        .value_kind:     hidden_remainder_z
      - .offset:         80
        .size:           8
        .value_kind:     hidden_global_offset_x
      - .offset:         88
        .size:           8
        .value_kind:     hidden_global_offset_y
      - .offset:         96
        .size:           8
        .value_kind:     hidden_global_offset_z
      - .offset:         104
        .size:           2
        .value_kind:     hidden_grid_dims
    .group_segment_fixed_size: 0
    .kernarg_segment_align: 8
    .kernarg_segment_size: 296
    .language:       OpenCL C
    .language_version:
      - 2
      - 0
    .max_flat_workgroup_size: 1024
    .name:           _ZN9rocsolver6v33100L9copymatA1IfPfEEviiT0_iilPT_
    .private_segment_fixed_size: 0
    .sgpr_count:     19
    .sgpr_spill_count: 0
    .symbol:         _ZN9rocsolver6v33100L9copymatA1IfPfEEviiT0_iilPT_.kd
    .uniform_work_group_size: 1
    .uses_dynamic_stack: false
    .vgpr_count:     3
    .vgpr_spill_count: 0
    .wavefront_size: 32
  - .args:
      - .offset:         0
        .size:           4
        .value_kind:     by_value
      - .offset:         4
        .size:           4
        .value_kind:     by_value
      - .address_space:  global
        .offset:         8
        .size:           8
        .value_kind:     global_buffer
      - .offset:         16
        .size:           4
        .value_kind:     by_value
      - .offset:         20
        .size:           4
        .value_kind:     by_value
      - .offset:         24
        .size:           8
        .value_kind:     by_value
      - .address_space:  global
        .offset:         32
        .size:           8
        .value_kind:     global_buffer
      - .offset:         40
        .size:           4
        .value_kind:     hidden_block_count_x
      - .offset:         44
        .size:           4
        .value_kind:     hidden_block_count_y
      - .offset:         48
        .size:           4
        .value_kind:     hidden_block_count_z
      - .offset:         52
        .size:           2
        .value_kind:     hidden_group_size_x
      - .offset:         54
        .size:           2
        .value_kind:     hidden_group_size_y
      - .offset:         56
        .size:           2
        .value_kind:     hidden_group_size_z
      - .offset:         58
        .size:           2
        .value_kind:     hidden_remainder_x
      - .offset:         60
        .size:           2
        .value_kind:     hidden_remainder_y
      - .offset:         62
        .size:           2
        .value_kind:     hidden_remainder_z
      - .offset:         80
        .size:           8
        .value_kind:     hidden_global_offset_x
      - .offset:         88
        .size:           8
        .value_kind:     hidden_global_offset_y
      - .offset:         96
        .size:           8
        .value_kind:     hidden_global_offset_z
      - .offset:         104
        .size:           2
        .value_kind:     hidden_grid_dims
    .group_segment_fixed_size: 0
    .kernarg_segment_align: 8
    .kernarg_segment_size: 296
    .language:       OpenCL C
    .language_version:
      - 2
      - 0
    .max_flat_workgroup_size: 1024
    .name:           _ZN9rocsolver6v33100L8addmatA1IfPfEEviiT0_iilPT_
    .private_segment_fixed_size: 0
    .sgpr_count:     19
    .sgpr_spill_count: 0
    .symbol:         _ZN9rocsolver6v33100L8addmatA1IfPfEEviiT0_iilPT_.kd
    .uniform_work_group_size: 1
    .uses_dynamic_stack: false
    .vgpr_count:     4
    .vgpr_spill_count: 0
    .wavefront_size: 32
  - .args:
      - .offset:         0
        .size:           4
        .value_kind:     by_value
      - .offset:         4
        .size:           4
        .value_kind:     by_value
      - .address_space:  global
        .offset:         8
        .size:           8
        .value_kind:     global_buffer
      - .offset:         16
        .size:           4
        .value_kind:     by_value
      - .offset:         20
        .size:           4
        .value_kind:     by_value
      - .offset:         24
        .size:           8
        .value_kind:     by_value
      - .offset:         32
        .size:           4
        .value_kind:     by_value
      - .offset:         40
        .size:           4
        .value_kind:     hidden_block_count_x
      - .offset:         44
        .size:           4
        .value_kind:     hidden_block_count_y
      - .offset:         48
        .size:           4
        .value_kind:     hidden_block_count_z
      - .offset:         52
        .size:           2
        .value_kind:     hidden_group_size_x
      - .offset:         54
        .size:           2
        .value_kind:     hidden_group_size_y
      - .offset:         56
        .size:           2
        .value_kind:     hidden_group_size_z
      - .offset:         58
        .size:           2
        .value_kind:     hidden_remainder_x
      - .offset:         60
        .size:           2
        .value_kind:     hidden_remainder_y
      - .offset:         62
        .size:           2
        .value_kind:     hidden_remainder_z
      - .offset:         80
        .size:           8
        .value_kind:     hidden_global_offset_x
      - .offset:         88
        .size:           8
        .value_kind:     hidden_global_offset_y
      - .offset:         96
        .size:           8
        .value_kind:     hidden_global_offset_z
      - .offset:         104
        .size:           2
        .value_kind:     hidden_grid_dims
    .group_segment_fixed_size: 0
    .kernarg_segment_align: 8
    .kernarg_segment_size: 296
    .language:       OpenCL C
    .language_version:
      - 2
      - 0
    .max_flat_workgroup_size: 1024
    .name:           _ZN9rocsolver6v33100L8set_zeroIfPfEEviiT0_iil13rocblas_fill_
    .private_segment_fixed_size: 0
    .sgpr_count:     14
    .sgpr_spill_count: 0
    .symbol:         _ZN9rocsolver6v33100L8set_zeroIfPfEEviiT0_iil13rocblas_fill_.kd
    .uniform_work_group_size: 1
    .uses_dynamic_stack: false
    .vgpr_count:     3
    .vgpr_spill_count: 0
    .wavefront_size: 32
  - .args:
      - .offset:         0
        .size:           4
        .value_kind:     by_value
      - .offset:         4
        .size:           4
        .value_kind:     by_value
      - .offset:         8
        .size:           4
        .value_kind:     by_value
      - .address_space:  global
        .offset:         16
        .size:           8
        .value_kind:     global_buffer
      - .offset:         24
        .size:           4
        .value_kind:     by_value
      - .offset:         28
        .size:           4
        .value_kind:     by_value
      - .offset:         32
        .size:           8
        .value_kind:     by_value
      - .offset:         40
        .size:           4
        .value_kind:     hidden_block_count_x
      - .offset:         44
        .size:           4
        .value_kind:     hidden_block_count_y
      - .offset:         48
        .size:           4
        .value_kind:     hidden_block_count_z
      - .offset:         52
        .size:           2
        .value_kind:     hidden_group_size_x
      - .offset:         54
        .size:           2
        .value_kind:     hidden_group_size_y
      - .offset:         56
        .size:           2
        .value_kind:     hidden_group_size_z
      - .offset:         58
        .size:           2
        .value_kind:     hidden_remainder_x
      - .offset:         60
        .size:           2
        .value_kind:     hidden_remainder_y
      - .offset:         62
        .size:           2
        .value_kind:     hidden_remainder_z
      - .offset:         80
        .size:           8
        .value_kind:     hidden_global_offset_x
      - .offset:         88
        .size:           8
        .value_kind:     hidden_global_offset_y
      - .offset:         96
        .size:           8
        .value_kind:     hidden_global_offset_z
      - .offset:         104
        .size:           2
        .value_kind:     hidden_grid_dims
    .group_segment_fixed_size: 0
    .kernarg_segment_align: 8
    .kernarg_segment_size: 296
    .language:       OpenCL C
    .language_version:
      - 2
      - 0
    .max_flat_workgroup_size: 1024
    .name:           _ZN9rocsolver6v33100L16org2r_init_identIfPfEEviiiT0_iil
    .private_segment_fixed_size: 0
    .sgpr_count:     14
    .sgpr_spill_count: 0
    .symbol:         _ZN9rocsolver6v33100L16org2r_init_identIfPfEEviiiT0_iil.kd
    .uniform_work_group_size: 1
    .uses_dynamic_stack: false
    .vgpr_count:     3
    .vgpr_spill_count: 0
    .wavefront_size: 32
  - .args:
      - .offset:         0
        .size:           4
        .value_kind:     by_value
      - .offset:         4
        .size:           4
        .value_kind:     by_value
      - .address_space:  global
        .offset:         8
        .size:           8
        .value_kind:     global_buffer
      - .offset:         16
        .size:           4
        .value_kind:     by_value
      - .offset:         20
        .size:           4
        .value_kind:     by_value
      - .offset:         24
        .size:           8
        .value_kind:     by_value
      - .address_space:  global
        .offset:         32
        .size:           8
        .value_kind:     global_buffer
      - .offset:         40
        .size:           8
        .value_kind:     by_value
    .group_segment_fixed_size: 0
    .kernarg_segment_align: 8
    .kernarg_segment_size: 48
    .language:       OpenCL C
    .language_version:
      - 2
      - 0
    .max_flat_workgroup_size: 1024
    .name:           _ZN9rocsolver6v33100L12subtract_tauIfPfEEviiT0_iilPT_l
    .private_segment_fixed_size: 0
    .sgpr_count:     16
    .sgpr_spill_count: 0
    .symbol:         _ZN9rocsolver6v33100L12subtract_tauIfPfEEviiT0_iilPT_l.kd
    .uniform_work_group_size: 1
    .uses_dynamic_stack: false
    .vgpr_count:     4
    .vgpr_spill_count: 0
    .wavefront_size: 32
  - .args:
      - .offset:         0
        .size:           4
        .value_kind:     by_value
      - .address_space:  global
        .offset:         8
        .size:           8
        .value_kind:     global_buffer
      - .offset:         16
        .size:           8
        .value_kind:     by_value
      - .offset:         24
        .size:           4
        .value_kind:     hidden_block_count_x
      - .offset:         28
        .size:           4
        .value_kind:     hidden_block_count_y
      - .offset:         32
        .size:           4
        .value_kind:     hidden_block_count_z
      - .offset:         36
        .size:           2
        .value_kind:     hidden_group_size_x
      - .offset:         38
        .size:           2
        .value_kind:     hidden_group_size_y
      - .offset:         40
        .size:           2
        .value_kind:     hidden_group_size_z
      - .offset:         42
        .size:           2
        .value_kind:     hidden_remainder_x
      - .offset:         44
        .size:           2
        .value_kind:     hidden_remainder_y
      - .offset:         46
        .size:           2
        .value_kind:     hidden_remainder_z
      - .offset:         64
        .size:           8
        .value_kind:     hidden_global_offset_x
      - .offset:         72
        .size:           8
        .value_kind:     hidden_global_offset_y
      - .offset:         80
        .size:           8
        .value_kind:     hidden_global_offset_z
      - .offset:         88
        .size:           2
        .value_kind:     hidden_grid_dims
    .group_segment_fixed_size: 0
    .kernarg_segment_align: 8
    .kernarg_segment_size: 280
    .language:       OpenCL C
    .language_version:
      - 2
      - 0
    .max_flat_workgroup_size: 1024
    .name:           _ZN9rocsolver6v33100L6restauIfEEviPT_l
    .private_segment_fixed_size: 0
    .sgpr_count:     10
    .sgpr_spill_count: 0
    .symbol:         _ZN9rocsolver6v33100L6restauIfEEviPT_l.kd
    .uniform_work_group_size: 1
    .uses_dynamic_stack: false
    .vgpr_count:     2
    .vgpr_spill_count: 0
    .wavefront_size: 32
  - .args:
      - .offset:         0
        .size:           1
        .value_kind:     by_value
      - .offset:         4
        .size:           4
        .value_kind:     by_value
      - .address_space:  global
        .offset:         8
        .size:           8
        .value_kind:     global_buffer
      - .offset:         16
        .size:           4
        .value_kind:     by_value
      - .offset:         20
        .size:           4
        .value_kind:     by_value
      - .offset:         24
        .size:           8
        .value_kind:     by_value
      - .address_space:  global
        .offset:         32
        .size:           8
        .value_kind:     global_buffer
      - .offset:         40
        .size:           4
        .value_kind:     by_value
      - .offset:         44
        .size:           4
        .value_kind:     by_value
      - .offset:         48
        .size:           8
        .value_kind:     by_value
      - .offset:         56
        .size:           4
        .value_kind:     hidden_block_count_x
      - .offset:         60
        .size:           4
        .value_kind:     hidden_block_count_y
      - .offset:         64
        .size:           4
        .value_kind:     hidden_block_count_z
      - .offset:         68
        .size:           2
        .value_kind:     hidden_group_size_x
      - .offset:         70
        .size:           2
        .value_kind:     hidden_group_size_y
      - .offset:         72
        .size:           2
        .value_kind:     hidden_group_size_z
      - .offset:         74
        .size:           2
        .value_kind:     hidden_remainder_x
      - .offset:         76
        .size:           2
        .value_kind:     hidden_remainder_y
      - .offset:         78
        .size:           2
        .value_kind:     hidden_remainder_z
      - .offset:         96
        .size:           8
        .value_kind:     hidden_global_offset_x
      - .offset:         104
        .size:           8
        .value_kind:     hidden_global_offset_y
      - .offset:         112
        .size:           8
        .value_kind:     hidden_global_offset_z
      - .offset:         120
        .size:           2
        .value_kind:     hidden_grid_dims
    .group_segment_fixed_size: 0
    .kernarg_segment_align: 8
    .kernarg_segment_size: 312
    .language:       OpenCL C
    .language_version:
      - 2
      - 0
    .max_flat_workgroup_size: 1024
    .name:           _ZN9rocsolver6v33100L15copyshift_rightIfPfEEvbiT0_iilPT_iil
    .private_segment_fixed_size: 0
    .sgpr_count:     26
    .sgpr_spill_count: 0
    .symbol:         _ZN9rocsolver6v33100L15copyshift_rightIfPfEEvbiT0_iilPT_iil.kd
    .uniform_work_group_size: 1
    .uses_dynamic_stack: false
    .vgpr_count:     6
    .vgpr_spill_count: 0
    .wavefront_size: 32
  - .args:
      - .offset:         0
        .size:           4
        .value_kind:     by_value
      - .offset:         4
        .size:           4
        .value_kind:     by_value
      - .offset:         8
        .size:           4
        .value_kind:     by_value
      - .address_space:  global
        .offset:         16
        .size:           8
        .value_kind:     global_buffer
      - .offset:         24
        .size:           4
        .value_kind:     by_value
      - .offset:         28
        .size:           4
        .value_kind:     by_value
      - .offset:         32
        .size:           8
        .value_kind:     by_value
      - .offset:         40
        .size:           4
        .value_kind:     hidden_block_count_x
      - .offset:         44
        .size:           4
        .value_kind:     hidden_block_count_y
      - .offset:         48
        .size:           4
        .value_kind:     hidden_block_count_z
      - .offset:         52
        .size:           2
        .value_kind:     hidden_group_size_x
      - .offset:         54
        .size:           2
        .value_kind:     hidden_group_size_y
      - .offset:         56
        .size:           2
        .value_kind:     hidden_group_size_z
      - .offset:         58
        .size:           2
        .value_kind:     hidden_remainder_x
      - .offset:         60
        .size:           2
        .value_kind:     hidden_remainder_y
      - .offset:         62
        .size:           2
        .value_kind:     hidden_remainder_z
      - .offset:         80
        .size:           8
        .value_kind:     hidden_global_offset_x
      - .offset:         88
        .size:           8
        .value_kind:     hidden_global_offset_y
      - .offset:         96
        .size:           8
        .value_kind:     hidden_global_offset_z
      - .offset:         104
        .size:           2
        .value_kind:     hidden_grid_dims
    .group_segment_fixed_size: 0
    .kernarg_segment_align: 8
    .kernarg_segment_size: 296
    .language:       OpenCL C
    .language_version:
      - 2
      - 0
    .max_flat_workgroup_size: 1024
    .name:           _ZN9rocsolver6v33100L16orgl2_init_identIfPfEEviiiT0_iil
    .private_segment_fixed_size: 0
    .sgpr_count:     14
    .sgpr_spill_count: 0
    .symbol:         _ZN9rocsolver6v33100L16orgl2_init_identIfPfEEviiiT0_iil.kd
    .uniform_work_group_size: 1
    .uses_dynamic_stack: false
    .vgpr_count:     3
    .vgpr_spill_count: 0
    .wavefront_size: 32
  - .args:
      - .offset:         0
        .size:           1
        .value_kind:     by_value
      - .offset:         4
        .size:           4
        .value_kind:     by_value
      - .address_space:  global
        .offset:         8
        .size:           8
        .value_kind:     global_buffer
      - .offset:         16
        .size:           4
        .value_kind:     by_value
      - .offset:         20
        .size:           4
        .value_kind:     by_value
      - .offset:         24
        .size:           8
        .value_kind:     by_value
      - .address_space:  global
        .offset:         32
        .size:           8
        .value_kind:     global_buffer
      - .offset:         40
        .size:           4
        .value_kind:     by_value
      - .offset:         44
        .size:           4
        .value_kind:     by_value
      - .offset:         48
        .size:           8
        .value_kind:     by_value
      - .offset:         56
        .size:           4
        .value_kind:     hidden_block_count_x
      - .offset:         60
        .size:           4
        .value_kind:     hidden_block_count_y
      - .offset:         64
        .size:           4
        .value_kind:     hidden_block_count_z
      - .offset:         68
        .size:           2
        .value_kind:     hidden_group_size_x
      - .offset:         70
        .size:           2
        .value_kind:     hidden_group_size_y
      - .offset:         72
        .size:           2
        .value_kind:     hidden_group_size_z
      - .offset:         74
        .size:           2
        .value_kind:     hidden_remainder_x
      - .offset:         76
        .size:           2
        .value_kind:     hidden_remainder_y
      - .offset:         78
        .size:           2
        .value_kind:     hidden_remainder_z
      - .offset:         96
        .size:           8
        .value_kind:     hidden_global_offset_x
      - .offset:         104
        .size:           8
        .value_kind:     hidden_global_offset_y
      - .offset:         112
        .size:           8
        .value_kind:     hidden_global_offset_z
      - .offset:         120
        .size:           2
        .value_kind:     hidden_grid_dims
    .group_segment_fixed_size: 0
    .kernarg_segment_align: 8
    .kernarg_segment_size: 312
    .language:       OpenCL C
    .language_version:
      - 2
      - 0
    .max_flat_workgroup_size: 1024
    .name:           _ZN9rocsolver6v33100L14copyshift_downIfPfEEvbiT0_iilPT_iil
    .private_segment_fixed_size: 0
    .sgpr_count:     26
    .sgpr_spill_count: 0
    .symbol:         _ZN9rocsolver6v33100L14copyshift_downIfPfEEvbiT0_iilPT_iil.kd
    .uniform_work_group_size: 1
    .uses_dynamic_stack: false
    .vgpr_count:     6
    .vgpr_spill_count: 0
    .wavefront_size: 32
  - .args:
      - .address_space:  global
        .offset:         0
        .size:           8
        .value_kind:     global_buffer
      - .offset:         8
        .size:           4
        .value_kind:     by_value
      - .offset:         12
        .size:           4
        .value_kind:     by_value
      - .offset:         16
        .size:           4
        .value_kind:     by_value
      - .offset:         24
        .size:           4
        .value_kind:     hidden_block_count_x
      - .offset:         28
        .size:           4
        .value_kind:     hidden_block_count_y
      - .offset:         32
        .size:           4
        .value_kind:     hidden_block_count_z
      - .offset:         36
        .size:           2
        .value_kind:     hidden_group_size_x
      - .offset:         38
        .size:           2
        .value_kind:     hidden_group_size_y
      - .offset:         40
        .size:           2
        .value_kind:     hidden_group_size_z
      - .offset:         42
        .size:           2
        .value_kind:     hidden_remainder_x
      - .offset:         44
        .size:           2
        .value_kind:     hidden_remainder_y
      - .offset:         46
        .size:           2
        .value_kind:     hidden_remainder_z
      - .offset:         64
        .size:           8
        .value_kind:     hidden_global_offset_x
      - .offset:         72
        .size:           8
        .value_kind:     hidden_global_offset_y
      - .offset:         80
        .size:           8
        .value_kind:     hidden_global_offset_z
      - .offset:         88
        .size:           2
        .value_kind:     hidden_grid_dims
    .group_segment_fixed_size: 0
    .kernarg_segment_align: 8
    .kernarg_segment_size: 280
    .language:       OpenCL C
    .language_version:
      - 2
      - 0
    .max_flat_workgroup_size: 1024
    .name:           _ZN9rocsolver6v33100L10reset_infoIiiiEEvPT_T0_T1_S4_
    .private_segment_fixed_size: 0
    .sgpr_count:     9
    .sgpr_spill_count: 0
    .symbol:         _ZN9rocsolver6v33100L10reset_infoIiiiEEvPT_T0_T1_S4_.kd
    .uniform_work_group_size: 1
    .uses_dynamic_stack: false
    .vgpr_count:     2
    .vgpr_spill_count: 0
    .wavefront_size: 32
  - .args:
      - .offset:         0
        .size:           4
        .value_kind:     by_value
      - .address_space:  global
        .offset:         8
        .size:           8
        .value_kind:     global_buffer
      - .offset:         16
        .size:           8
        .value_kind:     by_value
      - .address_space:  global
        .offset:         24
        .size:           8
        .value_kind:     global_buffer
      - .offset:         32
        .size:           8
        .value_kind:     by_value
      - .address_space:  global
        .offset:         40
        .size:           8
        .value_kind:     global_buffer
      - .offset:         48
        .size:           4
        .value_kind:     by_value
      - .offset:         52
        .size:           4
        .value_kind:     by_value
      - .offset:         56
        .size:           4
        .value_kind:     by_value
      - .address_space:  global
        .offset:         64
        .size:           8
        .value_kind:     global_buffer
      - .address_space:  global
        .offset:         72
        .size:           8
        .value_kind:     global_buffer
      - .offset:         80
        .size:           8
        .value_kind:     by_value
      - .address_space:  global
        .offset:         88
        .size:           8
        .value_kind:     global_buffer
    .group_segment_fixed_size: 0
    .kernarg_segment_align: 8
    .kernarg_segment_size: 96
    .language:       OpenCL C
    .language_version:
      - 2
      - 0
    .max_flat_workgroup_size: 1024
    .name:           _ZN9rocsolver6v33100L10bdsqr_initIffEEviPT0_lS3_lPiiS2_S2_S4_S3_lS4_
    .private_segment_fixed_size: 0
    .sgpr_count:     38
    .sgpr_spill_count: 0
    .symbol:         _ZN9rocsolver6v33100L10bdsqr_initIffEEviPT0_lS3_lPiiS2_S2_S4_S3_lS4_.kd
    .uniform_work_group_size: 1
    .uses_dynamic_stack: false
    .vgpr_count:     10
    .vgpr_spill_count: 0
    .wavefront_size: 32
  - .args:
      - .offset:         0
        .size:           4
        .value_kind:     by_value
      - .address_space:  global
        .offset:         8
        .size:           8
        .value_kind:     global_buffer
      - .offset:         16
        .size:           4
        .value_kind:     by_value
      - .address_space:  global
        .offset:         24
        .size:           8
        .value_kind:     global_buffer
      - .offset:         32
        .size:           4
        .value_kind:     by_value
      - .offset:         40
        .size:           4
        .value_kind:     hidden_block_count_x
      - .offset:         44
        .size:           4
        .value_kind:     hidden_block_count_y
      - .offset:         48
        .size:           4
        .value_kind:     hidden_block_count_z
      - .offset:         52
        .size:           2
        .value_kind:     hidden_group_size_x
      - .offset:         54
        .size:           2
        .value_kind:     hidden_group_size_y
      - .offset:         56
        .size:           2
        .value_kind:     hidden_group_size_z
      - .offset:         58
        .size:           2
        .value_kind:     hidden_remainder_x
      - .offset:         60
        .size:           2
        .value_kind:     hidden_remainder_y
      - .offset:         62
        .size:           2
        .value_kind:     hidden_remainder_z
      - .offset:         80
        .size:           8
        .value_kind:     hidden_global_offset_x
      - .offset:         88
        .size:           8
        .value_kind:     hidden_global_offset_y
      - .offset:         96
        .size:           8
        .value_kind:     hidden_global_offset_z
      - .offset:         104
        .size:           2
        .value_kind:     hidden_grid_dims
    .group_segment_fixed_size: 0
    .kernarg_segment_align: 8
    .kernarg_segment_size: 296
    .language:       OpenCL C
    .language_version:
      - 2
      - 0
    .max_flat_workgroup_size: 1024
    .name:           _ZN9rocsolver6v33100L11swap_kernelIfiEEvT0_PT_S2_S4_S2_
    .private_segment_fixed_size: 0
    .sgpr_count:     18
    .sgpr_spill_count: 0
    .symbol:         _ZN9rocsolver6v33100L11swap_kernelIfiEEvT0_PT_S2_S4_S2_.kd
    .uniform_work_group_size: 1
    .uses_dynamic_stack: false
    .vgpr_count:     9
    .vgpr_spill_count: 0
    .wavefront_size: 32
  - .args:
      - .offset:         0
        .size:           4
        .value_kind:     by_value
      - .address_space:  global
        .offset:         8
        .size:           8
        .value_kind:     global_buffer
      - .offset:         16
        .size:           4
        .value_kind:     by_value
      - .address_space:  global
        .offset:         24
        .size:           8
        .value_kind:     global_buffer
      - .offset:         32
        .size:           4
        .value_kind:     by_value
      - .offset:         36
        .size:           4
        .value_kind:     by_value
      - .offset:         40
        .size:           4
        .value_kind:     by_value
      - .offset:         48
        .size:           4
        .value_kind:     hidden_block_count_x
      - .offset:         52
        .size:           4
        .value_kind:     hidden_block_count_y
      - .offset:         56
        .size:           4
        .value_kind:     hidden_block_count_z
      - .offset:         60
        .size:           2
        .value_kind:     hidden_group_size_x
      - .offset:         62
        .size:           2
        .value_kind:     hidden_group_size_y
      - .offset:         64
        .size:           2
        .value_kind:     hidden_group_size_z
      - .offset:         66
        .size:           2
        .value_kind:     hidden_remainder_x
      - .offset:         68
        .size:           2
        .value_kind:     hidden_remainder_y
      - .offset:         70
        .size:           2
        .value_kind:     hidden_remainder_z
      - .offset:         88
        .size:           8
        .value_kind:     hidden_global_offset_x
      - .offset:         96
        .size:           8
        .value_kind:     hidden_global_offset_y
      - .offset:         104
        .size:           8
        .value_kind:     hidden_global_offset_z
      - .offset:         112
        .size:           2
        .value_kind:     hidden_grid_dims
    .group_segment_fixed_size: 0
    .kernarg_segment_align: 8
    .kernarg_segment_size: 304
    .language:       OpenCL C
    .language_version:
      - 2
      - 0
    .max_flat_workgroup_size: 1024
    .name:           _ZN9rocsolver6v33100L10rot_kernelIffiEEvT1_PT0_S2_S4_S2_T_S5_
    .private_segment_fixed_size: 0
    .sgpr_count:     22
    .sgpr_spill_count: 0
    .symbol:         _ZN9rocsolver6v33100L10rot_kernelIffiEEvT1_PT0_S2_S4_S2_T_S5_.kd
    .uniform_work_group_size: 1
    .uses_dynamic_stack: false
    .vgpr_count:     14
    .vgpr_spill_count: 0
    .wavefront_size: 32
  - .args:
      - .offset:         0
        .size:           4
        .value_kind:     by_value
      - .offset:         4
        .size:           4
        .value_kind:     by_value
      - .offset:         8
        .size:           4
        .value_kind:     by_value
      - .offset:         12
        .size:           4
        .value_kind:     by_value
      - .offset:         16
        .size:           4
        .value_kind:     by_value
      - .address_space:  global
        .offset:         24
        .size:           8
        .value_kind:     global_buffer
      - .offset:         32
        .size:           8
        .value_kind:     by_value
      - .address_space:  global
        .offset:         40
        .size:           8
        .value_kind:     global_buffer
      - .offset:         48
        .size:           8
        .value_kind:     by_value
      - .address_space:  global
        .offset:         56
        .size:           8
        .value_kind:     global_buffer
      - .offset:         64
        .size:           8
        .value_kind:     by_value
      - .offset:         72
        .size:           4
        .value_kind:     by_value
      - .offset:         80
        .size:           8
        .value_kind:     by_value
      - .offset:         88
        .size:           4
        .value_kind:     by_value
      - .offset:         96
        .size:           4
        .value_kind:     hidden_block_count_x
      - .offset:         100
        .size:           4
        .value_kind:     hidden_block_count_y
      - .offset:         104
        .size:           4
        .value_kind:     hidden_block_count_z
      - .offset:         108
        .size:           2
        .value_kind:     hidden_group_size_x
      - .offset:         110
        .size:           2
        .value_kind:     hidden_group_size_y
      - .offset:         112
        .size:           2
        .value_kind:     hidden_group_size_z
      - .offset:         114
        .size:           2
        .value_kind:     hidden_remainder_x
      - .offset:         116
        .size:           2
        .value_kind:     hidden_remainder_y
      - .offset:         118
        .size:           2
        .value_kind:     hidden_remainder_z
      - .offset:         136
        .size:           8
        .value_kind:     hidden_global_offset_x
      - .offset:         144
        .size:           8
        .value_kind:     hidden_global_offset_y
      - .offset:         152
        .size:           8
        .value_kind:     hidden_global_offset_z
      - .offset:         160
        .size:           2
        .value_kind:     hidden_grid_dims
    .group_segment_fixed_size: 0
    .kernarg_segment_align: 8
    .kernarg_segment_size: 352
    .language:       OpenCL C
    .language_version:
      - 2
      - 0
    .max_flat_workgroup_size: 64
    .name:           _ZN9rocsolver6v33100L11lasr_kernelIffPfiEEv13rocblas_side_14rocblas_pivot_15rocblas_direct_T2_S6_PT0_lS8_lT1_lS6_lS6_
    .private_segment_fixed_size: 0
    .sgpr_count:     93
    .sgpr_spill_count: 0
    .symbol:         _ZN9rocsolver6v33100L11lasr_kernelIffPfiEEv13rocblas_side_14rocblas_pivot_15rocblas_direct_T2_S6_PT0_lS8_lT1_lS6_lS6_.kd
    .uniform_work_group_size: 1
    .uses_dynamic_stack: false
    .vgpr_count:     42
    .vgpr_spill_count: 0
    .wavefront_size: 32
  - .args:
      - .offset:         0
        .size:           4
        .value_kind:     by_value
      - .offset:         4
        .size:           4
        .value_kind:     by_value
      - .address_space:  global
        .offset:         8
        .size:           8
        .value_kind:     global_buffer
      - .offset:         16
        .size:           4
        .value_kind:     by_value
      - .offset:         24
        .size:           4
        .value_kind:     hidden_block_count_x
      - .offset:         28
        .size:           4
        .value_kind:     hidden_block_count_y
      - .offset:         32
        .size:           4
        .value_kind:     hidden_block_count_z
      - .offset:         36
        .size:           2
        .value_kind:     hidden_group_size_x
      - .offset:         38
        .size:           2
        .value_kind:     hidden_group_size_y
      - .offset:         40
        .size:           2
        .value_kind:     hidden_group_size_z
      - .offset:         42
        .size:           2
        .value_kind:     hidden_remainder_x
      - .offset:         44
        .size:           2
        .value_kind:     hidden_remainder_y
      - .offset:         46
        .size:           2
        .value_kind:     hidden_remainder_z
      - .offset:         64
        .size:           8
        .value_kind:     hidden_global_offset_x
      - .offset:         72
        .size:           8
        .value_kind:     hidden_global_offset_y
      - .offset:         80
        .size:           8
        .value_kind:     hidden_global_offset_z
      - .offset:         88
        .size:           2
        .value_kind:     hidden_grid_dims
    .group_segment_fixed_size: 0
    .kernarg_segment_align: 8
    .kernarg_segment_size: 280
    .language:       OpenCL C
    .language_version:
      - 2
      - 0
    .max_flat_workgroup_size: 1024
    .name:           _ZN9rocsolver6v33100L11scal_kernelIffiEEvT1_T_PT0_S2_
    .private_segment_fixed_size: 0
    .sgpr_count:     12
    .sgpr_spill_count: 0
    .symbol:         _ZN9rocsolver6v33100L11scal_kernelIffiEEvT1_T_PT0_S2_.kd
    .uniform_work_group_size: 1
    .uses_dynamic_stack: false
    .vgpr_count:     5
    .vgpr_spill_count: 0
    .wavefront_size: 32
  - .args:
      - .offset:         0
        .size:           4
        .value_kind:     by_value
      - .offset:         4
        .size:           4
        .value_kind:     by_value
      - .offset:         8
        .size:           4
        .value_kind:     by_value
      - .address_space:  global
        .offset:         16
        .size:           8
        .value_kind:     global_buffer
      - .offset:         24
        .size:           8
        .value_kind:     by_value
      - .address_space:  global
        .offset:         32
        .size:           8
        .value_kind:     global_buffer
      - .offset:         40
        .size:           8
        .value_kind:     by_value
      - .address_space:  global
        .offset:         48
        .size:           8
        .value_kind:     global_buffer
      - .offset:         56
        .size:           4
        .value_kind:     by_value
      - .offset:         60
        .size:           4
        .value_kind:     by_value
      - .offset:         64
        .size:           8
        .value_kind:     by_value
      - .address_space:  global
        .offset:         72
        .size:           8
        .value_kind:     global_buffer
      - .offset:         80
        .size:           4
        .value_kind:     by_value
      - .offset:         84
        .size:           4
        .value_kind:     by_value
      - .offset:         88
        .size:           8
        .value_kind:     by_value
      - .address_space:  global
        .offset:         96
        .size:           8
        .value_kind:     global_buffer
      - .address_space:  global
        .offset:         104
        .size:           8
        .value_kind:     global_buffer
      - .offset:         112
        .size:           8
        .value_kind:     by_value
      - .address_space:  global
        .offset:         120
        .size:           8
        .value_kind:     global_buffer
      - .offset:         128
        .size:           4
        .value_kind:     hidden_block_count_x
      - .offset:         132
        .size:           4
        .value_kind:     hidden_block_count_y
      - .offset:         136
        .size:           4
        .value_kind:     hidden_block_count_z
      - .offset:         140
        .size:           2
        .value_kind:     hidden_group_size_x
      - .offset:         142
        .size:           2
        .value_kind:     hidden_group_size_y
      - .offset:         144
        .size:           2
        .value_kind:     hidden_group_size_z
      - .offset:         146
        .size:           2
        .value_kind:     hidden_remainder_x
      - .offset:         148
        .size:           2
        .value_kind:     hidden_remainder_y
      - .offset:         150
        .size:           2
        .value_kind:     hidden_remainder_z
      - .offset:         168
        .size:           8
        .value_kind:     hidden_global_offset_x
      - .offset:         176
        .size:           8
        .value_kind:     hidden_global_offset_y
      - .offset:         184
        .size:           8
        .value_kind:     hidden_global_offset_z
      - .offset:         192
        .size:           2
        .value_kind:     hidden_grid_dims
    .group_segment_fixed_size: 0
    .kernarg_segment_align: 8
    .kernarg_segment_size: 384
    .language:       OpenCL C
    .language_version:
      - 2
      - 0
    .max_flat_workgroup_size: 1024
    .name:           _ZN9rocsolver6v33100L17bdsqr_lower2upperIffPfS2_EEviiiPT0_lS4_lT1_iilT2_iilPiS4_lS7_
    .private_segment_fixed_size: 0
    .sgpr_count:     39
    .sgpr_spill_count: 0
    .symbol:         _ZN9rocsolver6v33100L17bdsqr_lower2upperIffPfS2_EEviiiPT0_lS4_lT1_iilT2_iilPiS4_lS7_.kd
    .uniform_work_group_size: 1
    .uses_dynamic_stack: false
    .vgpr_count:     18
    .vgpr_spill_count: 0
    .wavefront_size: 32
  - .args:
      - .offset:         0
        .size:           4
        .value_kind:     by_value
      - .offset:         4
        .size:           4
        .value_kind:     by_value
      - .offset:         8
        .size:           4
        .value_kind:     by_value
      - .offset:         12
        .size:           4
        .value_kind:     by_value
      - .address_space:  global
        .offset:         16
        .size:           8
        .value_kind:     global_buffer
      - .offset:         24
        .size:           8
        .value_kind:     by_value
      - .address_space:  global
        .offset:         32
        .size:           8
        .value_kind:     global_buffer
      - .offset:         40
        .size:           8
        .value_kind:     by_value
      - .address_space:  global
        .offset:         48
        .size:           8
        .value_kind:     global_buffer
      - .offset:         56
        .size:           4
        .value_kind:     by_value
      - .offset:         60
        .size:           4
        .value_kind:     by_value
      - .offset:         64
        .size:           8
        .value_kind:     by_value
      - .address_space:  global
        .offset:         72
        .size:           8
        .value_kind:     global_buffer
      - .offset:         80
        .size:           4
        .value_kind:     by_value
      - .offset:         84
        .size:           4
        .value_kind:     by_value
      - .offset:         88
        .size:           8
        .value_kind:     by_value
      - .address_space:  global
        .offset:         96
        .size:           8
        .value_kind:     global_buffer
      - .offset:         104
        .size:           4
        .value_kind:     by_value
      - .offset:         108
        .size:           4
        .value_kind:     by_value
      - .offset:         112
        .size:           8
        .value_kind:     by_value
      - .offset:         120
        .size:           4
        .value_kind:     by_value
      - .offset:         124
        .size:           4
        .value_kind:     by_value
      - .offset:         128
        .size:           4
        .value_kind:     by_value
      - .offset:         132
        .size:           4
        .value_kind:     by_value
      - .offset:         136
        .size:           4
        .value_kind:     by_value
      - .address_space:  global
        .offset:         144
        .size:           8
        .value_kind:     global_buffer
      - .address_space:  global
        .offset:         152
        .size:           8
        .value_kind:     global_buffer
      - .offset:         160
        .size:           4
        .value_kind:     by_value
      - .offset:         168
        .size:           8
        .value_kind:     by_value
      - .address_space:  global
        .offset:         176
        .size:           8
        .value_kind:     global_buffer
      - .offset:         184
        .size:           4
        .value_kind:     hidden_block_count_x
      - .offset:         188
        .size:           4
        .value_kind:     hidden_block_count_y
      - .offset:         192
        .size:           4
        .value_kind:     hidden_block_count_z
      - .offset:         196
        .size:           2
        .value_kind:     hidden_group_size_x
      - .offset:         198
        .size:           2
        .value_kind:     hidden_group_size_y
      - .offset:         200
        .size:           2
        .value_kind:     hidden_group_size_z
      - .offset:         202
        .size:           2
        .value_kind:     hidden_remainder_x
      - .offset:         204
        .size:           2
        .value_kind:     hidden_remainder_y
      - .offset:         206
        .size:           2
        .value_kind:     hidden_remainder_z
      - .offset:         224
        .size:           8
        .value_kind:     hidden_global_offset_x
      - .offset:         232
        .size:           8
        .value_kind:     hidden_global_offset_y
      - .offset:         240
        .size:           8
        .value_kind:     hidden_global_offset_z
      - .offset:         248
        .size:           2
        .value_kind:     hidden_grid_dims
    .group_segment_fixed_size: 1040
    .kernarg_segment_align: 8
    .kernarg_segment_size: 440
    .language:       OpenCL C
    .language_version:
      - 2
      - 0
    .max_flat_workgroup_size: 1024
    .name:           _ZN9rocsolver6v33100L13bdsqr_computeILi256EffPfS2_S2_EEviiiiPT1_lS4_lT2_iilT3_iilT4_iiliS3_S3_S3_S3_PiS4_ilS8_
    .private_segment_fixed_size: 0
    .sgpr_count:     107
    .sgpr_spill_count: 13
    .symbol:         _ZN9rocsolver6v33100L13bdsqr_computeILi256EffPfS2_S2_EEviiiiPT1_lS4_lT2_iilT3_iilT4_iiliS3_S3_S3_S3_PiS4_ilS8_.kd
    .uniform_work_group_size: 1
    .uses_dynamic_stack: false
    .vgpr_count:     30
    .vgpr_spill_count: 0
    .wavefront_size: 32
  - .args:
      - .offset:         0
        .size:           4
        .value_kind:     by_value
      - .offset:         4
        .size:           4
        .value_kind:     by_value
      - .offset:         8
        .size:           4
        .value_kind:     by_value
      - .offset:         12
        .size:           4
        .value_kind:     by_value
      - .address_space:  global
        .offset:         16
        .size:           8
        .value_kind:     global_buffer
      - .offset:         24
        .size:           4
        .value_kind:     by_value
      - .offset:         28
        .size:           4
        .value_kind:     by_value
      - .offset:         32
        .size:           8
        .value_kind:     by_value
      - .address_space:  global
        .offset:         40
        .size:           8
        .value_kind:     global_buffer
      - .offset:         48
        .size:           4
        .value_kind:     by_value
      - .offset:         52
        .size:           4
        .value_kind:     by_value
      - .offset:         56
        .size:           8
        .value_kind:     by_value
      - .address_space:  global
        .offset:         64
        .size:           8
        .value_kind:     global_buffer
      - .offset:         72
        .size:           4
        .value_kind:     by_value
      - .offset:         76
        .size:           4
        .value_kind:     by_value
      - .offset:         80
        .size:           8
        .value_kind:     by_value
      - .offset:         88
        .size:           4
        .value_kind:     by_value
      - .address_space:  global
        .offset:         96
        .size:           8
        .value_kind:     global_buffer
      - .address_space:  global
        .offset:         104
        .size:           8
        .value_kind:     global_buffer
      - .offset:         112
        .size:           4
        .value_kind:     by_value
      - .offset:         120
        .size:           8
        .value_kind:     by_value
      - .address_space:  global
        .offset:         128
        .size:           8
        .value_kind:     global_buffer
      - .offset:         136
        .size:           4
        .value_kind:     hidden_block_count_x
      - .offset:         140
        .size:           4
        .value_kind:     hidden_block_count_y
      - .offset:         144
        .size:           4
        .value_kind:     hidden_block_count_z
      - .offset:         148
        .size:           2
        .value_kind:     hidden_group_size_x
      - .offset:         150
        .size:           2
        .value_kind:     hidden_group_size_y
      - .offset:         152
        .size:           2
        .value_kind:     hidden_group_size_z
      - .offset:         154
        .size:           2
        .value_kind:     hidden_remainder_x
      - .offset:         156
        .size:           2
        .value_kind:     hidden_remainder_y
      - .offset:         158
        .size:           2
        .value_kind:     hidden_remainder_z
      - .offset:         176
        .size:           8
        .value_kind:     hidden_global_offset_x
      - .offset:         184
        .size:           8
        .value_kind:     hidden_global_offset_y
      - .offset:         192
        .size:           8
        .value_kind:     hidden_global_offset_z
      - .offset:         200
        .size:           2
        .value_kind:     hidden_grid_dims
    .group_segment_fixed_size: 0
    .kernarg_segment_align: 8
    .kernarg_segment_size: 392
    .language:       OpenCL C
    .language_version:
      - 2
      - 0
    .max_flat_workgroup_size: 1024
    .name:           _ZN9rocsolver6v33100L12bdsqr_rotateIffPfS2_S2_EEviiiiT1_iilT2_iilT3_iiliPiPT0_ilS6_
    .private_segment_fixed_size: 0
    .sgpr_count:     48
    .sgpr_spill_count: 0
    .symbol:         _ZN9rocsolver6v33100L12bdsqr_rotateIffPfS2_S2_EEviiiiT1_iilT2_iilT3_iiliPiPT0_ilS6_.kd
    .uniform_work_group_size: 1
    .uses_dynamic_stack: false
    .vgpr_count:     18
    .vgpr_spill_count: 0
    .wavefront_size: 32
  - .args:
      - .offset:         0
        .size:           4
        .value_kind:     by_value
      - .address_space:  global
        .offset:         8
        .size:           8
        .value_kind:     global_buffer
      - .offset:         16
        .size:           8
        .value_kind:     by_value
      - .address_space:  global
        .offset:         24
        .size:           8
        .value_kind:     global_buffer
      - .address_space:  global
        .offset:         32
        .size:           8
        .value_kind:     global_buffer
      - .offset:         40
        .size:           8
        .value_kind:     by_value
      - .address_space:  global
        .offset:         48
        .size:           8
        .value_kind:     global_buffer
      - .offset:         56
        .size:           4
        .value_kind:     hidden_block_count_x
      - .offset:         60
        .size:           4
        .value_kind:     hidden_block_count_y
      - .offset:         64
        .size:           4
        .value_kind:     hidden_block_count_z
      - .offset:         68
        .size:           2
        .value_kind:     hidden_group_size_x
      - .offset:         70
        .size:           2
        .value_kind:     hidden_group_size_y
      - .offset:         72
        .size:           2
        .value_kind:     hidden_group_size_z
      - .offset:         74
        .size:           2
        .value_kind:     hidden_remainder_x
      - .offset:         76
        .size:           2
        .value_kind:     hidden_remainder_y
      - .offset:         78
        .size:           2
        .value_kind:     hidden_remainder_z
      - .offset:         96
        .size:           8
        .value_kind:     hidden_global_offset_x
      - .offset:         104
        .size:           8
        .value_kind:     hidden_global_offset_y
      - .offset:         112
        .size:           8
        .value_kind:     hidden_global_offset_z
      - .offset:         120
        .size:           2
        .value_kind:     hidden_grid_dims
    .group_segment_fixed_size: 0
    .kernarg_segment_align: 8
    .kernarg_segment_size: 312
    .language:       OpenCL C
    .language_version:
      - 2
      - 0
    .max_flat_workgroup_size: 1024
    .name:           _ZN9rocsolver6v33100L22bdsqr_update_endpointsIffEEviPT0_lPiS3_lS4_
    .private_segment_fixed_size: 0
    .sgpr_count:     26
    .sgpr_spill_count: 0
    .symbol:         _ZN9rocsolver6v33100L22bdsqr_update_endpointsIffEEviPT0_lPiS3_lS4_.kd
    .uniform_work_group_size: 1
    .uses_dynamic_stack: false
    .vgpr_count:     8
    .vgpr_spill_count: 0
    .wavefront_size: 32
  - .args:
      - .offset:         0
        .size:           4
        .value_kind:     by_value
      - .offset:         4
        .size:           4
        .value_kind:     by_value
      - .address_space:  global
        .offset:         8
        .size:           8
        .value_kind:     global_buffer
      - .address_space:  global
        .offset:         16
        .size:           8
        .value_kind:     global_buffer
      - .offset:         24
        .size:           8
        .value_kind:     by_value
      - .address_space:  global
        .offset:         32
        .size:           8
        .value_kind:     global_buffer
    .group_segment_fixed_size: 0
    .kernarg_segment_align: 8
    .kernarg_segment_size: 40
    .language:       OpenCL C
    .language_version:
      - 2
      - 0
    .max_flat_workgroup_size: 1024
    .name:           _ZN9rocsolver6v33100L19bdsqr_chk_completedIffEEviiPiPT0_lS2_
    .private_segment_fixed_size: 0
    .sgpr_count:     18
    .sgpr_spill_count: 0
    .symbol:         _ZN9rocsolver6v33100L19bdsqr_chk_completedIffEEviiPiPT0_lS2_.kd
    .uniform_work_group_size: 1
    .uses_dynamic_stack: false
    .vgpr_count:     4
    .vgpr_spill_count: 0
    .wavefront_size: 32
  - .args:
      - .offset:         0
        .size:           4
        .value_kind:     by_value
      - .offset:         4
        .size:           4
        .value_kind:     by_value
      - .offset:         8
        .size:           4
        .value_kind:     by_value
      - .offset:         12
        .size:           4
        .value_kind:     by_value
      - .address_space:  global
        .offset:         16
        .size:           8
        .value_kind:     global_buffer
      - .offset:         24
        .size:           8
        .value_kind:     by_value
      - .address_space:  global
        .offset:         32
        .size:           8
        .value_kind:     global_buffer
      - .offset:         40
        .size:           8
        .value_kind:     by_value
      - .address_space:  global
        .offset:         48
        .size:           8
        .value_kind:     global_buffer
      - .offset:         56
        .size:           4
        .value_kind:     by_value
      - .offset:         60
        .size:           4
        .value_kind:     by_value
      - .offset:         64
        .size:           8
        .value_kind:     by_value
      - .address_space:  global
        .offset:         72
        .size:           8
        .value_kind:     global_buffer
      - .offset:         80
        .size:           4
        .value_kind:     by_value
      - .offset:         84
        .size:           4
        .value_kind:     by_value
      - .offset:         88
        .size:           8
        .value_kind:     by_value
      - .address_space:  global
        .offset:         96
        .size:           8
        .value_kind:     global_buffer
      - .offset:         104
        .size:           4
        .value_kind:     by_value
      - .offset:         108
        .size:           4
        .value_kind:     by_value
      - .offset:         112
        .size:           8
        .value_kind:     by_value
      - .address_space:  global
        .offset:         120
        .size:           8
        .value_kind:     global_buffer
      - .address_space:  global
        .offset:         128
        .size:           8
        .value_kind:     global_buffer
      - .address_space:  global
        .offset:         136
        .size:           8
        .value_kind:     global_buffer
      - .offset:         144
        .size:           4
        .value_kind:     hidden_block_count_x
      - .offset:         148
        .size:           4
        .value_kind:     hidden_block_count_y
      - .offset:         152
        .size:           4
        .value_kind:     hidden_block_count_z
      - .offset:         156
        .size:           2
        .value_kind:     hidden_group_size_x
      - .offset:         158
        .size:           2
        .value_kind:     hidden_group_size_y
      - .offset:         160
        .size:           2
        .value_kind:     hidden_group_size_z
      - .offset:         162
        .size:           2
        .value_kind:     hidden_remainder_x
      - .offset:         164
        .size:           2
        .value_kind:     hidden_remainder_y
      - .offset:         166
        .size:           2
        .value_kind:     hidden_remainder_z
      - .offset:         184
        .size:           8
        .value_kind:     hidden_global_offset_x
      - .offset:         192
        .size:           8
        .value_kind:     hidden_global_offset_y
      - .offset:         200
        .size:           8
        .value_kind:     hidden_global_offset_z
      - .offset:         208
        .size:           2
        .value_kind:     hidden_grid_dims
      - .offset:         224
        .size:           8
        .value_kind:     hidden_hostcall_buffer
    .group_segment_fixed_size: 0
    .kernarg_segment_align: 8
    .kernarg_segment_size: 400
    .language:       OpenCL C
    .language_version:
      - 2
      - 0
    .max_flat_workgroup_size: 1024
    .name:           _ZN9rocsolver6v33100L14bdsqr_finalizeIffPfS2_S2_EEviiiiPT0_lS4_lT1_iilT2_iilT3_iilPiS8_S8_
    .private_segment_fixed_size: 64
    .sgpr_count:     62
    .sgpr_spill_count: 0
    .symbol:         _ZN9rocsolver6v33100L14bdsqr_finalizeIffPfS2_S2_EEviiiiPT0_lS4_lT1_iilT2_iilT3_iilPiS8_S8_.kd
    .uniform_work_group_size: 1
    .uses_dynamic_stack: false
    .vgpr_count:     49
    .vgpr_spill_count: 0
    .wavefront_size: 32
  - .args:
      - .offset:         0
        .size:           4
        .value_kind:     by_value
      - .offset:         4
        .size:           4
        .value_kind:     by_value
      - .address_space:  global
        .offset:         8
        .size:           8
        .value_kind:     global_buffer
      - .offset:         16
        .size:           4
        .value_kind:     by_value
      - .offset:         20
        .size:           4
        .value_kind:     by_value
      - .offset:         24
        .size:           8
        .value_kind:     by_value
      - .address_space:  global
        .offset:         32
        .size:           8
        .value_kind:     global_buffer
      - .offset:         40
        .size:           4
        .value_kind:     by_value
      - .offset:         44
        .size:           4
        .value_kind:     by_value
      - .offset:         48
        .size:           8
        .value_kind:     by_value
      - .offset:         56
        .size:           1
        .value_kind:     by_value
      - .offset:         60
        .size:           4
        .value_kind:     by_value
      - .offset:         64
        .size:           4
        .value_kind:     by_value
      - .offset:         72
        .size:           4
        .value_kind:     hidden_block_count_x
      - .offset:         76
        .size:           4
        .value_kind:     hidden_block_count_y
      - .offset:         80
        .size:           4
        .value_kind:     hidden_block_count_z
      - .offset:         84
        .size:           2
        .value_kind:     hidden_group_size_x
      - .offset:         86
        .size:           2
        .value_kind:     hidden_group_size_y
      - .offset:         88
        .size:           2
        .value_kind:     hidden_group_size_z
      - .offset:         90
        .size:           2
        .value_kind:     hidden_remainder_x
      - .offset:         92
        .size:           2
        .value_kind:     hidden_remainder_y
      - .offset:         94
        .size:           2
        .value_kind:     hidden_remainder_z
      - .offset:         112
        .size:           8
        .value_kind:     hidden_global_offset_x
      - .offset:         120
        .size:           8
        .value_kind:     hidden_global_offset_y
      - .offset:         128
        .size:           8
        .value_kind:     hidden_global_offset_z
      - .offset:         136
        .size:           2
        .value_kind:     hidden_grid_dims
    .group_segment_fixed_size: 0
    .kernarg_segment_align: 8
    .kernarg_segment_size: 328
    .language:       OpenCL C
    .language_version:
      - 2
      - 0
    .max_flat_workgroup_size: 1024
    .name:           _ZN9rocsolver6v33100L8copy_matIfPfS2_NS0_7no_maskEEEviiT0_iilT1_iilT2_13rocblas_fill_17rocblas_diagonal_
    .private_segment_fixed_size: 0
    .sgpr_count:     18
    .sgpr_spill_count: 0
    .symbol:         _ZN9rocsolver6v33100L8copy_matIfPfS2_NS0_7no_maskEEEviiT0_iilT1_iilT2_13rocblas_fill_17rocblas_diagonal_.kd
    .uniform_work_group_size: 1
    .uses_dynamic_stack: false
    .vgpr_count:     3
    .vgpr_spill_count: 0
    .wavefront_size: 32
  - .args:
      - .address_space:  global
        .offset:         0
        .size:           8
        .value_kind:     global_buffer
      - .offset:         8
        .size:           4
        .value_kind:     by_value
      - .offset:         16
        .size:           8
        .value_kind:     by_value
    .group_segment_fixed_size: 0
    .kernarg_segment_align: 8
    .kernarg_segment_size: 24
    .language:       OpenCL C
    .language_version:
      - 2
      - 0
    .max_flat_workgroup_size: 32
    .name:           _ZN9rocsolver6v33100L6iota_nIdEEvPT_jS2_
    .private_segment_fixed_size: 0
    .sgpr_count:     6
    .sgpr_spill_count: 0
    .symbol:         _ZN9rocsolver6v33100L6iota_nIdEEvPT_jS2_.kd
    .uniform_work_group_size: 1
    .uses_dynamic_stack: false
    .vgpr_count:     4
    .vgpr_spill_count: 0
    .wavefront_size: 32
  - .args:
      - .offset:         0
        .size:           4
        .value_kind:     by_value
      - .offset:         4
        .size:           4
        .value_kind:     by_value
      - .address_space:  global
        .offset:         8
        .size:           8
        .value_kind:     global_buffer
      - .offset:         16
        .size:           8
        .value_kind:     by_value
      - .offset:         24
        .size:           4
        .value_kind:     by_value
      - .offset:         32
        .size:           8
        .value_kind:     by_value
      - .address_space:  global
        .offset:         40
        .size:           8
        .value_kind:     global_buffer
      - .offset:         48
        .size:           8
        .value_kind:     by_value
      - .address_space:  global
        .offset:         56
        .size:           8
        .value_kind:     global_buffer
      - .offset:         64
        .size:           8
        .value_kind:     by_value
    .group_segment_fixed_size: 0
    .kernarg_segment_align: 8
    .kernarg_segment_size: 72
    .language:       OpenCL C
    .language_version:
      - 2
      - 0
    .max_flat_workgroup_size: 256
    .name:           _ZN9rocsolver6v33100L18geqr2_kernel_smallILi256EdidPdEEvT1_S3_T3_lS3_lPT2_lPT0_l
    .private_segment_fixed_size: 0
    .sgpr_count:     38
    .sgpr_spill_count: 0
    .symbol:         _ZN9rocsolver6v33100L18geqr2_kernel_smallILi256EdidPdEEvT1_S3_T3_lS3_lPT2_lPT0_l.kd
    .uniform_work_group_size: 1
    .uses_dynamic_stack: false
    .vgpr_count:     38
    .vgpr_spill_count: 0
    .wavefront_size: 32
  - .args:
      - .address_space:  global
        .offset:         0
        .size:           8
        .value_kind:     global_buffer
      - .offset:         8
        .size:           8
        .value_kind:     by_value
      - .offset:         16
        .size:           4
        .value_kind:     by_value
      - .offset:         20
        .size:           4
        .value_kind:     by_value
      - .offset:         24
        .size:           4
        .value_kind:     hidden_block_count_x
      - .offset:         28
        .size:           4
        .value_kind:     hidden_block_count_y
      - .offset:         32
        .size:           4
        .value_kind:     hidden_block_count_z
      - .offset:         36
        .size:           2
        .value_kind:     hidden_group_size_x
      - .offset:         38
        .size:           2
        .value_kind:     hidden_group_size_y
      - .offset:         40
        .size:           2
        .value_kind:     hidden_group_size_z
      - .offset:         42
        .size:           2
        .value_kind:     hidden_remainder_x
      - .offset:         44
        .size:           2
        .value_kind:     hidden_remainder_y
      - .offset:         46
        .size:           2
        .value_kind:     hidden_remainder_z
      - .offset:         64
        .size:           8
        .value_kind:     hidden_global_offset_x
      - .offset:         72
        .size:           8
        .value_kind:     hidden_global_offset_y
      - .offset:         80
        .size:           8
        .value_kind:     hidden_global_offset_z
      - .offset:         88
        .size:           2
        .value_kind:     hidden_grid_dims
    .group_segment_fixed_size: 0
    .kernarg_segment_align: 8
    .kernarg_segment_size: 280
    .language:       OpenCL C
    .language_version:
      - 2
      - 0
    .max_flat_workgroup_size: 1024
    .name:           _ZN9rocsolver6v33100L16reset_batch_infoIdiiPdEEvT2_lT0_T1_
    .private_segment_fixed_size: 0
    .sgpr_count:     10
    .sgpr_spill_count: 0
    .symbol:         _ZN9rocsolver6v33100L16reset_batch_infoIdiiPdEEvT2_lT0_T1_.kd
    .uniform_work_group_size: 1
    .uses_dynamic_stack: false
    .vgpr_count:     4
    .vgpr_spill_count: 0
    .wavefront_size: 32
  - .args:
      - .address_space:  global
        .offset:         0
        .size:           8
        .value_kind:     global_buffer
      - .offset:         8
        .size:           8
        .value_kind:     by_value
      - .offset:         16
        .size:           8
        .value_kind:     by_value
      - .address_space:  global
        .offset:         24
        .size:           8
        .value_kind:     global_buffer
      - .offset:         32
        .size:           8
        .value_kind:     by_value
      - .offset:         40
        .size:           4
        .value_kind:     by_value
      - .offset:         48
        .size:           8
        .value_kind:     by_value
      - .offset:         56
        .size:           4
        .value_kind:     by_value
      - .offset:         60
        .size:           1
        .value_kind:     by_value
      - .offset:         64
        .size:           4
        .value_kind:     hidden_block_count_x
      - .offset:         68
        .size:           4
        .value_kind:     hidden_block_count_y
      - .offset:         72
        .size:           4
        .value_kind:     hidden_block_count_z
      - .offset:         76
        .size:           2
        .value_kind:     hidden_group_size_x
      - .offset:         78
        .size:           2
        .value_kind:     hidden_group_size_y
      - .offset:         80
        .size:           2
        .value_kind:     hidden_group_size_z
      - .offset:         82
        .size:           2
        .value_kind:     hidden_remainder_x
      - .offset:         84
        .size:           2
        .value_kind:     hidden_remainder_y
      - .offset:         86
        .size:           2
        .value_kind:     hidden_remainder_z
      - .offset:         104
        .size:           8
        .value_kind:     hidden_global_offset_x
      - .offset:         112
        .size:           8
        .value_kind:     hidden_global_offset_y
      - .offset:         120
        .size:           8
        .value_kind:     hidden_global_offset_z
      - .offset:         128
        .size:           2
        .value_kind:     hidden_grid_dims
    .group_segment_fixed_size: 0
    .kernarg_segment_align: 8
    .kernarg_segment_size: 320
    .language:       OpenCL C
    .language_version:
      - 2
      - 0
    .max_flat_workgroup_size: 1024
    .name:           _ZN9rocsolver6v33100L8set_diagIdidPdTnNSt9enable_ifIXoont18rocblas_is_complexIT_E18rocblas_is_complexIT1_EEiE4typeELi0EEEvPS5_llT2_lT0_lSA_b
    .private_segment_fixed_size: 0
    .sgpr_count:     22
    .sgpr_spill_count: 0
    .symbol:         _ZN9rocsolver6v33100L8set_diagIdidPdTnNSt9enable_ifIXoont18rocblas_is_complexIT_E18rocblas_is_complexIT1_EEiE4typeELi0EEEvPS5_llT2_lT0_lSA_b.kd
    .uniform_work_group_size: 1
    .uses_dynamic_stack: false
    .vgpr_count:     6
    .vgpr_spill_count: 0
    .wavefront_size: 32
  - .args:
      - .address_space:  global
        .offset:         0
        .size:           8
        .value_kind:     global_buffer
      - .offset:         8
        .size:           8
        .value_kind:     by_value
      - .address_space:  global
        .offset:         16
        .size:           8
        .value_kind:     global_buffer
      - .address_space:  global
        .offset:         24
        .size:           8
        .value_kind:     global_buffer
      - .offset:         32
        .size:           8
        .value_kind:     by_value
      - .offset:         40
        .size:           8
        .value_kind:     by_value
      - .address_space:  global
        .offset:         48
        .size:           8
        .value_kind:     global_buffer
      - .offset:         56
        .size:           8
        .value_kind:     by_value
      - .offset:         64
        .size:           8
        .value_kind:     by_value
    .group_segment_fixed_size: 0
    .kernarg_segment_align: 8
    .kernarg_segment_size: 72
    .language:       OpenCL C
    .language_version:
      - 2
      - 0
    .max_flat_workgroup_size: 1024
    .name:           _ZN9rocsolver6v33100L11set_taubetaIdidPdEEvPT_lS4_T2_llPT1_ll
    .private_segment_fixed_size: 0
    .sgpr_count:     25
    .sgpr_spill_count: 0
    .symbol:         _ZN9rocsolver6v33100L11set_taubetaIdidPdEEvPT_lS4_T2_llPT1_ll.kd
    .uniform_work_group_size: 1
    .uses_dynamic_stack: false
    .vgpr_count:     13
    .vgpr_spill_count: 0
    .wavefront_size: 32
  - .args:
      - .offset:         0
        .size:           4
        .value_kind:     by_value
      - .offset:         4
        .size:           4
        .value_kind:     by_value
      - .address_space:  global
        .offset:         8
        .size:           8
        .value_kind:     global_buffer
      - .offset:         16
        .size:           8
        .value_kind:     by_value
      - .offset:         24
        .size:           4
        .value_kind:     by_value
      - .offset:         32
        .size:           8
        .value_kind:     by_value
    .group_segment_fixed_size: 0
    .kernarg_segment_align: 8
    .kernarg_segment_size: 40
    .language:       OpenCL C
    .language_version:
      - 2
      - 0
    .max_flat_workgroup_size: 1024
    .name:           _ZN9rocsolver6v33100L13conj_in_placeIdiPdTnNSt9enable_ifIXnt18rocblas_is_complexIT_EEiE4typeELi0EEEvT0_S7_T1_lS7_l
    .private_segment_fixed_size: 0
    .sgpr_count:     0
    .sgpr_spill_count: 0
    .symbol:         _ZN9rocsolver6v33100L13conj_in_placeIdiPdTnNSt9enable_ifIXnt18rocblas_is_complexIT_EEiE4typeELi0EEEvT0_S7_T1_lS7_l.kd
    .uniform_work_group_size: 1
    .uses_dynamic_stack: false
    .vgpr_count:     0
    .vgpr_spill_count: 0
    .wavefront_size: 32
  - .args:
      - .offset:         0
        .size:           4
        .value_kind:     by_value
      - .offset:         4
        .size:           4
        .value_kind:     by_value
      - .address_space:  global
        .offset:         8
        .size:           8
        .value_kind:     global_buffer
      - .offset:         16
        .size:           8
        .value_kind:     by_value
      - .offset:         24
        .size:           4
        .value_kind:     by_value
      - .offset:         32
        .size:           8
        .value_kind:     by_value
      - .address_space:  global
        .offset:         40
        .size:           8
        .value_kind:     global_buffer
      - .offset:         48
        .size:           8
        .value_kind:     by_value
      - .address_space:  global
        .offset:         56
        .size:           8
        .value_kind:     global_buffer
      - .offset:         64
        .size:           8
        .value_kind:     by_value
      - .offset:         72
        .size:           4
        .value_kind:     by_value
      - .offset:         80
        .size:           8
        .value_kind:     by_value
    .group_segment_fixed_size: 0
    .kernarg_segment_align: 8
    .kernarg_segment_size: 88
    .language:       OpenCL C
    .language_version:
      - 2
      - 0
    .max_flat_workgroup_size: 1024
    .name:           _ZN9rocsolver6v33100L16larf_left_kernelILi1024EdiPdEEvT1_S3_T2_lS3_lPKT0_lS4_lS3_l
    .private_segment_fixed_size: 0
    .sgpr_count:     28
    .sgpr_spill_count: 0
    .symbol:         _ZN9rocsolver6v33100L16larf_left_kernelILi1024EdiPdEEvT1_S3_T2_lS3_lPKT0_lS4_lS3_l.kd
    .uniform_work_group_size: 1
    .uses_dynamic_stack: false
    .vgpr_count:     14
    .vgpr_spill_count: 0
    .wavefront_size: 32
  - .args:
      - .offset:         0
        .size:           4
        .value_kind:     by_value
      - .offset:         4
        .size:           4
        .value_kind:     by_value
      - .address_space:  global
        .offset:         8
        .size:           8
        .value_kind:     global_buffer
      - .offset:         16
        .size:           8
        .value_kind:     by_value
      - .offset:         24
        .size:           4
        .value_kind:     by_value
      - .offset:         32
        .size:           8
        .value_kind:     by_value
      - .address_space:  global
        .offset:         40
        .size:           8
        .value_kind:     global_buffer
      - .offset:         48
        .size:           8
        .value_kind:     by_value
      - .address_space:  global
        .offset:         56
        .size:           8
        .value_kind:     global_buffer
      - .offset:         64
        .size:           8
        .value_kind:     by_value
      - .offset:         72
        .size:           4
        .value_kind:     by_value
      - .offset:         80
        .size:           8
        .value_kind:     by_value
    .group_segment_fixed_size: 0
    .kernarg_segment_align: 8
    .kernarg_segment_size: 88
    .language:       OpenCL C
    .language_version:
      - 2
      - 0
    .max_flat_workgroup_size: 1024
    .name:           _ZN9rocsolver6v33100L17larf_right_kernelILi1024EdiPdEEvT1_S3_T2_lS3_lPKT0_lS4_lS3_l
    .private_segment_fixed_size: 0
    .sgpr_count:     28
    .sgpr_spill_count: 0
    .symbol:         _ZN9rocsolver6v33100L17larf_right_kernelILi1024EdiPdEEvT1_S3_T2_lS3_lPKT0_lS4_lS3_l.kd
    .uniform_work_group_size: 1
    .uses_dynamic_stack: false
    .vgpr_count:     16
    .vgpr_spill_count: 0
    .wavefront_size: 32
  - .args:
      - .address_space:  global
        .offset:         0
        .size:           8
        .value_kind:     global_buffer
      - .offset:         8
        .size:           8
        .value_kind:     by_value
      - .offset:         16
        .size:           8
        .value_kind:     by_value
      - .address_space:  global
        .offset:         24
        .size:           8
        .value_kind:     global_buffer
      - .offset:         32
        .size:           8
        .value_kind:     by_value
      - .offset:         40
        .size:           4
        .value_kind:     by_value
      - .offset:         48
        .size:           8
        .value_kind:     by_value
      - .offset:         56
        .size:           4
        .value_kind:     by_value
      - .offset:         64
        .size:           4
        .value_kind:     hidden_block_count_x
      - .offset:         68
        .size:           4
        .value_kind:     hidden_block_count_y
      - .offset:         72
        .size:           4
        .value_kind:     hidden_block_count_z
      - .offset:         76
        .size:           2
        .value_kind:     hidden_group_size_x
      - .offset:         78
        .size:           2
        .value_kind:     hidden_group_size_y
      - .offset:         80
        .size:           2
        .value_kind:     hidden_group_size_z
      - .offset:         82
        .size:           2
        .value_kind:     hidden_remainder_x
      - .offset:         84
        .size:           2
        .value_kind:     hidden_remainder_y
      - .offset:         86
        .size:           2
        .value_kind:     hidden_remainder_z
      - .offset:         104
        .size:           8
        .value_kind:     hidden_global_offset_x
      - .offset:         112
        .size:           8
        .value_kind:     hidden_global_offset_y
      - .offset:         120
        .size:           8
        .value_kind:     hidden_global_offset_z
      - .offset:         128
        .size:           2
        .value_kind:     hidden_grid_dims
    .group_segment_fixed_size: 0
    .kernarg_segment_align: 8
    .kernarg_segment_size: 320
    .language:       OpenCL C
    .language_version:
      - 2
      - 0
    .max_flat_workgroup_size: 1024
    .name:           _ZN9rocsolver6v33100L12restore_diagIdidPdEEvPT1_llT2_lT0_lS6_
    .private_segment_fixed_size: 0
    .sgpr_count:     13
    .sgpr_spill_count: 0
    .symbol:         _ZN9rocsolver6v33100L12restore_diagIdidPdEEvPT1_llT2_lT0_lS6_.kd
    .uniform_work_group_size: 1
    .uses_dynamic_stack: false
    .vgpr_count:     4
    .vgpr_spill_count: 0
    .wavefront_size: 32
  - .args:
      - .offset:         0
        .size:           4
        .value_kind:     by_value
      - .offset:         4
        .size:           4
        .value_kind:     by_value
      - .address_space:  global
        .offset:         8
        .size:           8
        .value_kind:     global_buffer
      - .offset:         16
        .size:           4
        .value_kind:     by_value
      - .offset:         20
        .size:           4
        .value_kind:     by_value
      - .offset:         24
        .size:           8
        .value_kind:     by_value
      - .address_space:  global
        .offset:         32
        .size:           8
        .value_kind:     global_buffer
      - .offset:         40
        .size:           8
        .value_kind:     by_value
      - .address_space:  global
        .offset:         48
        .size:           8
        .value_kind:     global_buffer
      - .offset:         56
        .size:           4
        .value_kind:     by_value
      - .offset:         64
        .size:           8
        .value_kind:     by_value
      - .offset:         72
        .size:           4
        .value_kind:     by_value
      - .offset:         76
        .size:           4
        .value_kind:     by_value
      - .offset:         80
        .size:           1
        .value_kind:     by_value
      - .offset:         88
        .size:           4
        .value_kind:     hidden_block_count_x
      - .offset:         92
        .size:           4
        .value_kind:     hidden_block_count_y
      - .offset:         96
        .size:           4
        .value_kind:     hidden_block_count_z
      - .offset:         100
        .size:           2
        .value_kind:     hidden_group_size_x
      - .offset:         102
        .size:           2
        .value_kind:     hidden_group_size_y
      - .offset:         104
        .size:           2
        .value_kind:     hidden_group_size_z
      - .offset:         106
        .size:           2
        .value_kind:     hidden_remainder_x
      - .offset:         108
        .size:           2
        .value_kind:     hidden_remainder_y
      - .offset:         110
        .size:           2
        .value_kind:     hidden_remainder_z
      - .offset:         128
        .size:           8
        .value_kind:     hidden_global_offset_x
      - .offset:         136
        .size:           8
        .value_kind:     hidden_global_offset_y
      - .offset:         144
        .size:           8
        .value_kind:     hidden_global_offset_z
      - .offset:         152
        .size:           2
        .value_kind:     hidden_grid_dims
    .group_segment_fixed_size: 0
    .kernarg_segment_align: 8
    .kernarg_segment_size: 344
    .language:       OpenCL C
    .language_version:
      - 2
      - 0
    .max_flat_workgroup_size: 1024
    .name:           _ZN9rocsolver6v33100L14set_triangularIdPdTnNSt9enable_ifIXnt18rocblas_is_complexIT_EEiE4typeELi0EEEviiT0_iilPS4_lS8_il15rocblas_direct_15rocblas_storev_b
    .private_segment_fixed_size: 0
    .sgpr_count:     24
    .sgpr_spill_count: 0
    .symbol:         _ZN9rocsolver6v33100L14set_triangularIdPdTnNSt9enable_ifIXnt18rocblas_is_complexIT_EEiE4typeELi0EEEviiT0_iilPS4_lS8_il15rocblas_direct_15rocblas_storev_b.kd
    .uniform_work_group_size: 1
    .uses_dynamic_stack: false
    .vgpr_count:     14
    .vgpr_spill_count: 0
    .wavefront_size: 32
  - .args:
      - .offset:         0
        .size:           4
        .value_kind:     by_value
      - .address_space:  global
        .offset:         8
        .size:           8
        .value_kind:     global_buffer
      - .offset:         16
        .size:           8
        .value_kind:     by_value
      - .offset:         24
        .size:           4
        .value_kind:     hidden_block_count_x
      - .offset:         28
        .size:           4
        .value_kind:     hidden_block_count_y
      - .offset:         32
        .size:           4
        .value_kind:     hidden_block_count_z
      - .offset:         36
        .size:           2
        .value_kind:     hidden_group_size_x
      - .offset:         38
        .size:           2
        .value_kind:     hidden_group_size_y
      - .offset:         40
        .size:           2
        .value_kind:     hidden_group_size_z
      - .offset:         42
        .size:           2
        .value_kind:     hidden_remainder_x
      - .offset:         44
        .size:           2
        .value_kind:     hidden_remainder_y
      - .offset:         46
        .size:           2
        .value_kind:     hidden_remainder_z
      - .offset:         64
        .size:           8
        .value_kind:     hidden_global_offset_x
      - .offset:         72
        .size:           8
        .value_kind:     hidden_global_offset_y
      - .offset:         80
        .size:           8
        .value_kind:     hidden_global_offset_z
      - .offset:         88
        .size:           2
        .value_kind:     hidden_grid_dims
    .group_segment_fixed_size: 0
    .kernarg_segment_align: 8
    .kernarg_segment_size: 280
    .language:       OpenCL C
    .language_version:
      - 2
      - 0
    .max_flat_workgroup_size: 1024
    .name:           _ZN9rocsolver6v33100L7set_tauIdEEviPT_l
    .private_segment_fixed_size: 0
    .sgpr_count:     10
    .sgpr_spill_count: 0
    .symbol:         _ZN9rocsolver6v33100L7set_tauIdEEviPT_l.kd
    .uniform_work_group_size: 1
    .uses_dynamic_stack: false
    .vgpr_count:     4
    .vgpr_spill_count: 0
    .wavefront_size: 32
  - .args:
      - .offset:         0
        .size:           4
        .value_kind:     by_value
      - .offset:         4
        .size:           4
        .value_kind:     by_value
      - .offset:         8
        .size:           4
        .value_kind:     by_value
      - .address_space:  global
        .offset:         16
        .size:           8
        .value_kind:     global_buffer
      - .offset:         24
        .size:           4
        .value_kind:     by_value
      - .offset:         28
        .size:           4
        .value_kind:     by_value
      - .offset:         32
        .size:           8
        .value_kind:     by_value
      - .address_space:  global
        .offset:         40
        .size:           8
        .value_kind:     global_buffer
      - .offset:         48
        .size:           8
        .value_kind:     by_value
      - .address_space:  global
        .offset:         56
        .size:           8
        .value_kind:     global_buffer
      - .offset:         64
        .size:           4
        .value_kind:     by_value
      - .offset:         72
        .size:           8
        .value_kind:     by_value
      - .offset:         80
        .size:           4
        .value_kind:     hidden_block_count_x
      - .offset:         84
        .size:           4
        .value_kind:     hidden_block_count_y
      - .offset:         88
        .size:           4
        .value_kind:     hidden_block_count_z
      - .offset:         92
        .size:           2
        .value_kind:     hidden_group_size_x
      - .offset:         94
        .size:           2
        .value_kind:     hidden_group_size_y
      - .offset:         96
        .size:           2
        .value_kind:     hidden_group_size_z
      - .offset:         98
        .size:           2
        .value_kind:     hidden_remainder_x
      - .offset:         100
        .size:           2
        .value_kind:     hidden_remainder_y
      - .offset:         102
        .size:           2
        .value_kind:     hidden_remainder_z
      - .offset:         120
        .size:           8
        .value_kind:     hidden_global_offset_x
      - .offset:         128
        .size:           8
        .value_kind:     hidden_global_offset_y
      - .offset:         136
        .size:           8
        .value_kind:     hidden_global_offset_z
      - .offset:         144
        .size:           2
        .value_kind:     hidden_grid_dims
      - .offset:         200
        .size:           4
        .value_kind:     hidden_dynamic_lds_size
    .group_segment_fixed_size: 0
    .kernarg_segment_align: 8
    .kernarg_segment_size: 336
    .language:       OpenCL C
    .language_version:
      - 2
      - 0
    .max_flat_workgroup_size: 1024
    .name:           _ZN9rocsolver6v33100L20larft_kernel_forwardIdPdEEv15rocblas_storev_iiT0_iilPT_lS6_il
    .private_segment_fixed_size: 0
    .sgpr_count:     46
    .sgpr_spill_count: 0
    .symbol:         _ZN9rocsolver6v33100L20larft_kernel_forwardIdPdEEv15rocblas_storev_iiT0_iilPT_lS6_il.kd
    .uniform_work_group_size: 1
    .uses_dynamic_stack: false
    .vgpr_count:     20
    .vgpr_spill_count: 0
    .wavefront_size: 32
  - .args:
      - .offset:         0
        .size:           4
        .value_kind:     by_value
      - .offset:         4
        .size:           4
        .value_kind:     by_value
      - .offset:         8
        .size:           4
        .value_kind:     by_value
      - .address_space:  global
        .offset:         16
        .size:           8
        .value_kind:     global_buffer
      - .offset:         24
        .size:           4
        .value_kind:     by_value
      - .offset:         28
        .size:           4
        .value_kind:     by_value
      - .offset:         32
        .size:           8
        .value_kind:     by_value
      - .address_space:  global
        .offset:         40
        .size:           8
        .value_kind:     global_buffer
      - .offset:         48
        .size:           8
        .value_kind:     by_value
      - .address_space:  global
        .offset:         56
        .size:           8
        .value_kind:     global_buffer
      - .offset:         64
        .size:           4
        .value_kind:     by_value
      - .offset:         72
        .size:           8
        .value_kind:     by_value
      - .offset:         80
        .size:           4
        .value_kind:     hidden_block_count_x
      - .offset:         84
        .size:           4
        .value_kind:     hidden_block_count_y
      - .offset:         88
        .size:           4
        .value_kind:     hidden_block_count_z
      - .offset:         92
        .size:           2
        .value_kind:     hidden_group_size_x
      - .offset:         94
        .size:           2
        .value_kind:     hidden_group_size_y
      - .offset:         96
        .size:           2
        .value_kind:     hidden_group_size_z
      - .offset:         98
        .size:           2
        .value_kind:     hidden_remainder_x
      - .offset:         100
        .size:           2
        .value_kind:     hidden_remainder_y
      - .offset:         102
        .size:           2
        .value_kind:     hidden_remainder_z
      - .offset:         120
        .size:           8
        .value_kind:     hidden_global_offset_x
      - .offset:         128
        .size:           8
        .value_kind:     hidden_global_offset_y
      - .offset:         136
        .size:           8
        .value_kind:     hidden_global_offset_z
      - .offset:         144
        .size:           2
        .value_kind:     hidden_grid_dims
      - .offset:         200
        .size:           4
        .value_kind:     hidden_dynamic_lds_size
    .group_segment_fixed_size: 0
    .kernarg_segment_align: 8
    .kernarg_segment_size: 336
    .language:       OpenCL C
    .language_version:
      - 2
      - 0
    .max_flat_workgroup_size: 1024
    .name:           _ZN9rocsolver6v33100L21larft_kernel_backwardIdPdEEv15rocblas_storev_iiT0_iilPT_lS6_il
    .private_segment_fixed_size: 0
    .sgpr_count:     46
    .sgpr_spill_count: 0
    .symbol:         _ZN9rocsolver6v33100L21larft_kernel_backwardIdPdEEv15rocblas_storev_iiT0_iilPT_lS6_il.kd
    .uniform_work_group_size: 1
    .uses_dynamic_stack: false
    .vgpr_count:     18
    .vgpr_spill_count: 0
    .wavefront_size: 32
  - .args:
      - .offset:         0
        .size:           4
        .value_kind:     by_value
      - .offset:         4
        .size:           4
        .value_kind:     by_value
      - .address_space:  global
        .offset:         8
        .size:           8
        .value_kind:     global_buffer
      - .offset:         16
        .size:           4
        .value_kind:     by_value
      - .offset:         20
        .size:           4
        .value_kind:     by_value
      - .offset:         24
        .size:           8
        .value_kind:     by_value
      - .address_space:  global
        .offset:         32
        .size:           8
        .value_kind:     global_buffer
      - .offset:         40
        .size:           4
        .value_kind:     hidden_block_count_x
      - .offset:         44
        .size:           4
        .value_kind:     hidden_block_count_y
      - .offset:         48
        .size:           4
        .value_kind:     hidden_block_count_z
      - .offset:         52
        .size:           2
        .value_kind:     hidden_group_size_x
      - .offset:         54
        .size:           2
        .value_kind:     hidden_group_size_y
      - .offset:         56
        .size:           2
        .value_kind:     hidden_group_size_z
      - .offset:         58
        .size:           2
        .value_kind:     hidden_remainder_x
      - .offset:         60
        .size:           2
        .value_kind:     hidden_remainder_y
      - .offset:         62
        .size:           2
        .value_kind:     hidden_remainder_z
      - .offset:         80
        .size:           8
        .value_kind:     hidden_global_offset_x
      - .offset:         88
        .size:           8
        .value_kind:     hidden_global_offset_y
      - .offset:         96
        .size:           8
        .value_kind:     hidden_global_offset_z
      - .offset:         104
        .size:           2
        .value_kind:     hidden_grid_dims
    .group_segment_fixed_size: 0
    .kernarg_segment_align: 8
    .kernarg_segment_size: 296
    .language:       OpenCL C
    .language_version:
      - 2
      - 0
    .max_flat_workgroup_size: 1024
    .name:           _ZN9rocsolver6v33100L9copymatA1IdPdEEviiT0_iilPT_
    .private_segment_fixed_size: 0
    .sgpr_count:     19
    .sgpr_spill_count: 0
    .symbol:         _ZN9rocsolver6v33100L9copymatA1IdPdEEviiT0_iilPT_.kd
    .uniform_work_group_size: 1
    .uses_dynamic_stack: false
    .vgpr_count:     4
    .vgpr_spill_count: 0
    .wavefront_size: 32
  - .args:
      - .offset:         0
        .size:           4
        .value_kind:     by_value
      - .offset:         4
        .size:           4
        .value_kind:     by_value
      - .address_space:  global
        .offset:         8
        .size:           8
        .value_kind:     global_buffer
      - .offset:         16
        .size:           4
        .value_kind:     by_value
      - .offset:         20
        .size:           4
        .value_kind:     by_value
      - .offset:         24
        .size:           8
        .value_kind:     by_value
      - .address_space:  global
        .offset:         32
        .size:           8
        .value_kind:     global_buffer
      - .offset:         40
        .size:           4
        .value_kind:     hidden_block_count_x
      - .offset:         44
        .size:           4
        .value_kind:     hidden_block_count_y
      - .offset:         48
        .size:           4
        .value_kind:     hidden_block_count_z
      - .offset:         52
        .size:           2
        .value_kind:     hidden_group_size_x
      - .offset:         54
        .size:           2
        .value_kind:     hidden_group_size_y
      - .offset:         56
        .size:           2
        .value_kind:     hidden_group_size_z
      - .offset:         58
        .size:           2
        .value_kind:     hidden_remainder_x
      - .offset:         60
        .size:           2
        .value_kind:     hidden_remainder_y
      - .offset:         62
        .size:           2
        .value_kind:     hidden_remainder_z
      - .offset:         80
        .size:           8
        .value_kind:     hidden_global_offset_x
      - .offset:         88
        .size:           8
        .value_kind:     hidden_global_offset_y
      - .offset:         96
        .size:           8
        .value_kind:     hidden_global_offset_z
      - .offset:         104
        .size:           2
        .value_kind:     hidden_grid_dims
    .group_segment_fixed_size: 0
    .kernarg_segment_align: 8
    .kernarg_segment_size: 296
    .language:       OpenCL C
    .language_version:
      - 2
      - 0
    .max_flat_workgroup_size: 1024
    .name:           _ZN9rocsolver6v33100L8addmatA1IdPdEEviiT0_iilPT_
    .private_segment_fixed_size: 0
    .sgpr_count:     19
    .sgpr_spill_count: 0
    .symbol:         _ZN9rocsolver6v33100L8addmatA1IdPdEEviiT0_iilPT_.kd
    .uniform_work_group_size: 1
    .uses_dynamic_stack: false
    .vgpr_count:     6
    .vgpr_spill_count: 0
    .wavefront_size: 32
  - .args:
      - .offset:         0
        .size:           4
        .value_kind:     by_value
      - .offset:         4
        .size:           4
        .value_kind:     by_value
      - .address_space:  global
        .offset:         8
        .size:           8
        .value_kind:     global_buffer
      - .offset:         16
        .size:           4
        .value_kind:     by_value
      - .offset:         20
        .size:           4
        .value_kind:     by_value
      - .offset:         24
        .size:           8
        .value_kind:     by_value
      - .offset:         32
        .size:           4
        .value_kind:     by_value
      - .offset:         40
        .size:           4
        .value_kind:     hidden_block_count_x
      - .offset:         44
        .size:           4
        .value_kind:     hidden_block_count_y
      - .offset:         48
        .size:           4
        .value_kind:     hidden_block_count_z
      - .offset:         52
        .size:           2
        .value_kind:     hidden_group_size_x
      - .offset:         54
        .size:           2
        .value_kind:     hidden_group_size_y
      - .offset:         56
        .size:           2
        .value_kind:     hidden_group_size_z
      - .offset:         58
        .size:           2
        .value_kind:     hidden_remainder_x
      - .offset:         60
        .size:           2
        .value_kind:     hidden_remainder_y
      - .offset:         62
        .size:           2
        .value_kind:     hidden_remainder_z
      - .offset:         80
        .size:           8
        .value_kind:     hidden_global_offset_x
      - .offset:         88
        .size:           8
        .value_kind:     hidden_global_offset_y
      - .offset:         96
        .size:           8
        .value_kind:     hidden_global_offset_z
      - .offset:         104
        .size:           2
        .value_kind:     hidden_grid_dims
    .group_segment_fixed_size: 0
    .kernarg_segment_align: 8
    .kernarg_segment_size: 296
    .language:       OpenCL C
    .language_version:
      - 2
      - 0
    .max_flat_workgroup_size: 1024
    .name:           _ZN9rocsolver6v33100L8set_zeroIdPdEEviiT0_iil13rocblas_fill_
    .private_segment_fixed_size: 0
    .sgpr_count:     14
    .sgpr_spill_count: 0
    .symbol:         _ZN9rocsolver6v33100L8set_zeroIdPdEEviiT0_iil13rocblas_fill_.kd
    .uniform_work_group_size: 1
    .uses_dynamic_stack: false
    .vgpr_count:     3
    .vgpr_spill_count: 0
    .wavefront_size: 32
  - .args:
      - .offset:         0
        .size:           4
        .value_kind:     by_value
      - .offset:         4
        .size:           4
        .value_kind:     by_value
      - .offset:         8
        .size:           4
        .value_kind:     by_value
      - .address_space:  global
        .offset:         16
        .size:           8
        .value_kind:     global_buffer
      - .offset:         24
        .size:           4
        .value_kind:     by_value
      - .offset:         28
        .size:           4
        .value_kind:     by_value
      - .offset:         32
        .size:           8
        .value_kind:     by_value
      - .offset:         40
        .size:           4
        .value_kind:     hidden_block_count_x
      - .offset:         44
        .size:           4
        .value_kind:     hidden_block_count_y
      - .offset:         48
        .size:           4
        .value_kind:     hidden_block_count_z
      - .offset:         52
        .size:           2
        .value_kind:     hidden_group_size_x
      - .offset:         54
        .size:           2
        .value_kind:     hidden_group_size_y
      - .offset:         56
        .size:           2
        .value_kind:     hidden_group_size_z
      - .offset:         58
        .size:           2
        .value_kind:     hidden_remainder_x
      - .offset:         60
        .size:           2
        .value_kind:     hidden_remainder_y
      - .offset:         62
        .size:           2
        .value_kind:     hidden_remainder_z
      - .offset:         80
        .size:           8
        .value_kind:     hidden_global_offset_x
      - .offset:         88
        .size:           8
        .value_kind:     hidden_global_offset_y
      - .offset:         96
        .size:           8
        .value_kind:     hidden_global_offset_z
      - .offset:         104
        .size:           2
        .value_kind:     hidden_grid_dims
    .group_segment_fixed_size: 0
    .kernarg_segment_align: 8
    .kernarg_segment_size: 296
    .language:       OpenCL C
    .language_version:
      - 2
      - 0
    .max_flat_workgroup_size: 1024
    .name:           _ZN9rocsolver6v33100L16org2r_init_identIdPdEEviiiT0_iil
    .private_segment_fixed_size: 0
    .sgpr_count:     14
    .sgpr_spill_count: 0
    .symbol:         _ZN9rocsolver6v33100L16org2r_init_identIdPdEEviiiT0_iil.kd
    .uniform_work_group_size: 1
    .uses_dynamic_stack: false
    .vgpr_count:     4
    .vgpr_spill_count: 0
    .wavefront_size: 32
  - .args:
      - .offset:         0
        .size:           4
        .value_kind:     by_value
      - .offset:         4
        .size:           4
        .value_kind:     by_value
      - .address_space:  global
        .offset:         8
        .size:           8
        .value_kind:     global_buffer
      - .offset:         16
        .size:           4
        .value_kind:     by_value
      - .offset:         20
        .size:           4
        .value_kind:     by_value
      - .offset:         24
        .size:           8
        .value_kind:     by_value
      - .address_space:  global
        .offset:         32
        .size:           8
        .value_kind:     global_buffer
      - .offset:         40
        .size:           8
        .value_kind:     by_value
    .group_segment_fixed_size: 0
    .kernarg_segment_align: 8
    .kernarg_segment_size: 48
    .language:       OpenCL C
    .language_version:
      - 2
      - 0
    .max_flat_workgroup_size: 1024
    .name:           _ZN9rocsolver6v33100L12subtract_tauIdPdEEviiT0_iilPT_l
    .private_segment_fixed_size: 0
    .sgpr_count:     18
    .sgpr_spill_count: 0
    .symbol:         _ZN9rocsolver6v33100L12subtract_tauIdPdEEviiT0_iilPT_l.kd
    .uniform_work_group_size: 1
    .uses_dynamic_stack: false
    .vgpr_count:     6
    .vgpr_spill_count: 0
    .wavefront_size: 32
  - .args:
      - .offset:         0
        .size:           4
        .value_kind:     by_value
      - .address_space:  global
        .offset:         8
        .size:           8
        .value_kind:     global_buffer
      - .offset:         16
        .size:           8
        .value_kind:     by_value
      - .offset:         24
        .size:           4
        .value_kind:     hidden_block_count_x
      - .offset:         28
        .size:           4
        .value_kind:     hidden_block_count_y
      - .offset:         32
        .size:           4
        .value_kind:     hidden_block_count_z
      - .offset:         36
        .size:           2
        .value_kind:     hidden_group_size_x
      - .offset:         38
        .size:           2
        .value_kind:     hidden_group_size_y
      - .offset:         40
        .size:           2
        .value_kind:     hidden_group_size_z
      - .offset:         42
        .size:           2
        .value_kind:     hidden_remainder_x
      - .offset:         44
        .size:           2
        .value_kind:     hidden_remainder_y
      - .offset:         46
        .size:           2
        .value_kind:     hidden_remainder_z
      - .offset:         64
        .size:           8
        .value_kind:     hidden_global_offset_x
      - .offset:         72
        .size:           8
        .value_kind:     hidden_global_offset_y
      - .offset:         80
        .size:           8
        .value_kind:     hidden_global_offset_z
      - .offset:         88
        .size:           2
        .value_kind:     hidden_grid_dims
    .group_segment_fixed_size: 0
    .kernarg_segment_align: 8
    .kernarg_segment_size: 280
    .language:       OpenCL C
    .language_version:
      - 2
      - 0
    .max_flat_workgroup_size: 1024
    .name:           _ZN9rocsolver6v33100L6restauIdEEviPT_l
    .private_segment_fixed_size: 0
    .sgpr_count:     10
    .sgpr_spill_count: 0
    .symbol:         _ZN9rocsolver6v33100L6restauIdEEviPT_l.kd
    .uniform_work_group_size: 1
    .uses_dynamic_stack: false
    .vgpr_count:     4
    .vgpr_spill_count: 0
    .wavefront_size: 32
  - .args:
      - .offset:         0
        .size:           1
        .value_kind:     by_value
      - .offset:         4
        .size:           4
        .value_kind:     by_value
      - .address_space:  global
        .offset:         8
        .size:           8
        .value_kind:     global_buffer
      - .offset:         16
        .size:           4
        .value_kind:     by_value
      - .offset:         20
        .size:           4
        .value_kind:     by_value
      - .offset:         24
        .size:           8
        .value_kind:     by_value
      - .address_space:  global
        .offset:         32
        .size:           8
        .value_kind:     global_buffer
      - .offset:         40
        .size:           4
        .value_kind:     by_value
      - .offset:         44
        .size:           4
        .value_kind:     by_value
      - .offset:         48
        .size:           8
        .value_kind:     by_value
      - .offset:         56
        .size:           4
        .value_kind:     hidden_block_count_x
      - .offset:         60
        .size:           4
        .value_kind:     hidden_block_count_y
      - .offset:         64
        .size:           4
        .value_kind:     hidden_block_count_z
      - .offset:         68
        .size:           2
        .value_kind:     hidden_group_size_x
      - .offset:         70
        .size:           2
        .value_kind:     hidden_group_size_y
      - .offset:         72
        .size:           2
        .value_kind:     hidden_group_size_z
      - .offset:         74
        .size:           2
        .value_kind:     hidden_remainder_x
      - .offset:         76
        .size:           2
        .value_kind:     hidden_remainder_y
      - .offset:         78
        .size:           2
        .value_kind:     hidden_remainder_z
      - .offset:         96
        .size:           8
        .value_kind:     hidden_global_offset_x
      - .offset:         104
        .size:           8
        .value_kind:     hidden_global_offset_y
      - .offset:         112
        .size:           8
        .value_kind:     hidden_global_offset_z
      - .offset:         120
        .size:           2
        .value_kind:     hidden_grid_dims
    .group_segment_fixed_size: 0
    .kernarg_segment_align: 8
    .kernarg_segment_size: 312
    .language:       OpenCL C
    .language_version:
      - 2
      - 0
    .max_flat_workgroup_size: 1024
    .name:           _ZN9rocsolver6v33100L15copyshift_rightIdPdEEvbiT0_iilPT_iil
    .private_segment_fixed_size: 0
    .sgpr_count:     26
    .sgpr_spill_count: 0
    .symbol:         _ZN9rocsolver6v33100L15copyshift_rightIdPdEEvbiT0_iilPT_iil.kd
    .uniform_work_group_size: 1
    .uses_dynamic_stack: false
    .vgpr_count:     8
    .vgpr_spill_count: 0
    .wavefront_size: 32
  - .args:
      - .offset:         0
        .size:           4
        .value_kind:     by_value
      - .offset:         4
        .size:           4
        .value_kind:     by_value
      - .offset:         8
        .size:           4
        .value_kind:     by_value
      - .address_space:  global
        .offset:         16
        .size:           8
        .value_kind:     global_buffer
      - .offset:         24
        .size:           4
        .value_kind:     by_value
      - .offset:         28
        .size:           4
        .value_kind:     by_value
      - .offset:         32
        .size:           8
        .value_kind:     by_value
      - .offset:         40
        .size:           4
        .value_kind:     hidden_block_count_x
      - .offset:         44
        .size:           4
        .value_kind:     hidden_block_count_y
      - .offset:         48
        .size:           4
        .value_kind:     hidden_block_count_z
      - .offset:         52
        .size:           2
        .value_kind:     hidden_group_size_x
      - .offset:         54
        .size:           2
        .value_kind:     hidden_group_size_y
      - .offset:         56
        .size:           2
        .value_kind:     hidden_group_size_z
      - .offset:         58
        .size:           2
        .value_kind:     hidden_remainder_x
      - .offset:         60
        .size:           2
        .value_kind:     hidden_remainder_y
      - .offset:         62
        .size:           2
        .value_kind:     hidden_remainder_z
      - .offset:         80
        .size:           8
        .value_kind:     hidden_global_offset_x
      - .offset:         88
        .size:           8
        .value_kind:     hidden_global_offset_y
      - .offset:         96
        .size:           8
        .value_kind:     hidden_global_offset_z
      - .offset:         104
        .size:           2
        .value_kind:     hidden_grid_dims
    .group_segment_fixed_size: 0
    .kernarg_segment_align: 8
    .kernarg_segment_size: 296
    .language:       OpenCL C
    .language_version:
      - 2
      - 0
    .max_flat_workgroup_size: 1024
    .name:           _ZN9rocsolver6v33100L16orgl2_init_identIdPdEEviiiT0_iil
    .private_segment_fixed_size: 0
    .sgpr_count:     14
    .sgpr_spill_count: 0
    .symbol:         _ZN9rocsolver6v33100L16orgl2_init_identIdPdEEviiiT0_iil.kd
    .uniform_work_group_size: 1
    .uses_dynamic_stack: false
    .vgpr_count:     4
    .vgpr_spill_count: 0
    .wavefront_size: 32
  - .args:
      - .offset:         0
        .size:           1
        .value_kind:     by_value
      - .offset:         4
        .size:           4
        .value_kind:     by_value
      - .address_space:  global
        .offset:         8
        .size:           8
        .value_kind:     global_buffer
      - .offset:         16
        .size:           4
        .value_kind:     by_value
      - .offset:         20
        .size:           4
        .value_kind:     by_value
      - .offset:         24
        .size:           8
        .value_kind:     by_value
      - .address_space:  global
        .offset:         32
        .size:           8
        .value_kind:     global_buffer
      - .offset:         40
        .size:           4
        .value_kind:     by_value
      - .offset:         44
        .size:           4
        .value_kind:     by_value
      - .offset:         48
        .size:           8
        .value_kind:     by_value
      - .offset:         56
        .size:           4
        .value_kind:     hidden_block_count_x
      - .offset:         60
        .size:           4
        .value_kind:     hidden_block_count_y
      - .offset:         64
        .size:           4
        .value_kind:     hidden_block_count_z
      - .offset:         68
        .size:           2
        .value_kind:     hidden_group_size_x
      - .offset:         70
        .size:           2
        .value_kind:     hidden_group_size_y
      - .offset:         72
        .size:           2
        .value_kind:     hidden_group_size_z
      - .offset:         74
        .size:           2
        .value_kind:     hidden_remainder_x
      - .offset:         76
        .size:           2
        .value_kind:     hidden_remainder_y
      - .offset:         78
        .size:           2
        .value_kind:     hidden_remainder_z
      - .offset:         96
        .size:           8
        .value_kind:     hidden_global_offset_x
      - .offset:         104
        .size:           8
        .value_kind:     hidden_global_offset_y
      - .offset:         112
        .size:           8
        .value_kind:     hidden_global_offset_z
      - .offset:         120
        .size:           2
        .value_kind:     hidden_grid_dims
    .group_segment_fixed_size: 0
    .kernarg_segment_align: 8
    .kernarg_segment_size: 312
    .language:       OpenCL C
    .language_version:
      - 2
      - 0
    .max_flat_workgroup_size: 1024
    .name:           _ZN9rocsolver6v33100L14copyshift_downIdPdEEvbiT0_iilPT_iil
    .private_segment_fixed_size: 0
    .sgpr_count:     26
    .sgpr_spill_count: 0
    .symbol:         _ZN9rocsolver6v33100L14copyshift_downIdPdEEvbiT0_iilPT_iil.kd
    .uniform_work_group_size: 1
    .uses_dynamic_stack: false
    .vgpr_count:     8
    .vgpr_spill_count: 0
    .wavefront_size: 32
  - .args:
      - .offset:         0
        .size:           4
        .value_kind:     by_value
      - .address_space:  global
        .offset:         8
        .size:           8
        .value_kind:     global_buffer
      - .offset:         16
        .size:           8
        .value_kind:     by_value
      - .address_space:  global
        .offset:         24
        .size:           8
        .value_kind:     global_buffer
      - .offset:         32
        .size:           8
        .value_kind:     by_value
      - .address_space:  global
        .offset:         40
        .size:           8
        .value_kind:     global_buffer
      - .offset:         48
        .size:           4
        .value_kind:     by_value
      - .offset:         56
        .size:           8
        .value_kind:     by_value
      - .offset:         64
        .size:           8
        .value_kind:     by_value
      - .address_space:  global
        .offset:         72
        .size:           8
        .value_kind:     global_buffer
      - .address_space:  global
        .offset:         80
        .size:           8
        .value_kind:     global_buffer
      - .offset:         88
        .size:           8
        .value_kind:     by_value
      - .address_space:  global
        .offset:         96
        .size:           8
        .value_kind:     global_buffer
    .group_segment_fixed_size: 0
    .kernarg_segment_align: 8
    .kernarg_segment_size: 104
    .language:       OpenCL C
    .language_version:
      - 2
      - 0
    .max_flat_workgroup_size: 1024
    .name:           _ZN9rocsolver6v33100L10bdsqr_initIddEEviPT0_lS3_lPiiS2_S2_S4_S3_lS4_
    .private_segment_fixed_size: 0
    .sgpr_count:     46
    .sgpr_spill_count: 0
    .symbol:         _ZN9rocsolver6v33100L10bdsqr_initIddEEviPT0_lS3_lPiiS2_S2_S4_S3_lS4_.kd
    .uniform_work_group_size: 1
    .uses_dynamic_stack: false
    .vgpr_count:     14
    .vgpr_spill_count: 0
    .wavefront_size: 32
  - .args:
      - .offset:         0
        .size:           4
        .value_kind:     by_value
      - .address_space:  global
        .offset:         8
        .size:           8
        .value_kind:     global_buffer
      - .offset:         16
        .size:           4
        .value_kind:     by_value
      - .address_space:  global
        .offset:         24
        .size:           8
        .value_kind:     global_buffer
      - .offset:         32
        .size:           4
        .value_kind:     by_value
      - .offset:         40
        .size:           4
        .value_kind:     hidden_block_count_x
      - .offset:         44
        .size:           4
        .value_kind:     hidden_block_count_y
      - .offset:         48
        .size:           4
        .value_kind:     hidden_block_count_z
      - .offset:         52
        .size:           2
        .value_kind:     hidden_group_size_x
      - .offset:         54
        .size:           2
        .value_kind:     hidden_group_size_y
      - .offset:         56
        .size:           2
        .value_kind:     hidden_group_size_z
      - .offset:         58
        .size:           2
        .value_kind:     hidden_remainder_x
      - .offset:         60
        .size:           2
        .value_kind:     hidden_remainder_y
      - .offset:         62
        .size:           2
        .value_kind:     hidden_remainder_z
      - .offset:         80
        .size:           8
        .value_kind:     hidden_global_offset_x
      - .offset:         88
        .size:           8
        .value_kind:     hidden_global_offset_y
      - .offset:         96
        .size:           8
        .value_kind:     hidden_global_offset_z
      - .offset:         104
        .size:           2
        .value_kind:     hidden_grid_dims
    .group_segment_fixed_size: 0
    .kernarg_segment_align: 8
    .kernarg_segment_size: 296
    .language:       OpenCL C
    .language_version:
      - 2
      - 0
    .max_flat_workgroup_size: 1024
    .name:           _ZN9rocsolver6v33100L11swap_kernelIdiEEvT0_PT_S2_S4_S2_
    .private_segment_fixed_size: 0
    .sgpr_count:     18
    .sgpr_spill_count: 0
    .symbol:         _ZN9rocsolver6v33100L11swap_kernelIdiEEvT0_PT_S2_S4_S2_.kd
    .uniform_work_group_size: 1
    .uses_dynamic_stack: false
    .vgpr_count:     12
    .vgpr_spill_count: 0
    .wavefront_size: 32
  - .args:
      - .offset:         0
        .size:           4
        .value_kind:     by_value
      - .address_space:  global
        .offset:         8
        .size:           8
        .value_kind:     global_buffer
      - .offset:         16
        .size:           4
        .value_kind:     by_value
      - .address_space:  global
        .offset:         24
        .size:           8
        .value_kind:     global_buffer
      - .offset:         32
        .size:           4
        .value_kind:     by_value
      - .offset:         40
        .size:           8
        .value_kind:     by_value
      - .offset:         48
        .size:           8
        .value_kind:     by_value
      - .offset:         56
        .size:           4
        .value_kind:     hidden_block_count_x
      - .offset:         60
        .size:           4
        .value_kind:     hidden_block_count_y
      - .offset:         64
        .size:           4
        .value_kind:     hidden_block_count_z
      - .offset:         68
        .size:           2
        .value_kind:     hidden_group_size_x
      - .offset:         70
        .size:           2
        .value_kind:     hidden_group_size_y
      - .offset:         72
        .size:           2
        .value_kind:     hidden_group_size_z
      - .offset:         74
        .size:           2
        .value_kind:     hidden_remainder_x
      - .offset:         76
        .size:           2
        .value_kind:     hidden_remainder_y
      - .offset:         78
        .size:           2
        .value_kind:     hidden_remainder_z
      - .offset:         96
        .size:           8
        .value_kind:     hidden_global_offset_x
      - .offset:         104
        .size:           8
        .value_kind:     hidden_global_offset_y
      - .offset:         112
        .size:           8
        .value_kind:     hidden_global_offset_z
      - .offset:         120
        .size:           2
        .value_kind:     hidden_grid_dims
    .group_segment_fixed_size: 0
    .kernarg_segment_align: 8
    .kernarg_segment_size: 312
    .language:       OpenCL C
    .language_version:
      - 2
      - 0
    .max_flat_workgroup_size: 1024
    .name:           _ZN9rocsolver6v33100L10rot_kernelIddiEEvT1_PT0_S2_S4_S2_T_S5_
    .private_segment_fixed_size: 0
    .sgpr_count:     22
    .sgpr_spill_count: 0
    .symbol:         _ZN9rocsolver6v33100L10rot_kernelIddiEEvT1_PT0_S2_S4_S2_T_S5_.kd
    .uniform_work_group_size: 1
    .uses_dynamic_stack: false
    .vgpr_count:     16
    .vgpr_spill_count: 0
    .wavefront_size: 32
  - .args:
      - .offset:         0
        .size:           4
        .value_kind:     by_value
      - .offset:         4
        .size:           4
        .value_kind:     by_value
      - .offset:         8
        .size:           4
        .value_kind:     by_value
      - .offset:         12
        .size:           4
        .value_kind:     by_value
      - .offset:         16
        .size:           4
        .value_kind:     by_value
      - .address_space:  global
        .offset:         24
        .size:           8
        .value_kind:     global_buffer
      - .offset:         32
        .size:           8
        .value_kind:     by_value
      - .address_space:  global
        .offset:         40
        .size:           8
        .value_kind:     global_buffer
      - .offset:         48
        .size:           8
        .value_kind:     by_value
      - .address_space:  global
        .offset:         56
        .size:           8
        .value_kind:     global_buffer
      - .offset:         64
        .size:           8
        .value_kind:     by_value
      - .offset:         72
        .size:           4
        .value_kind:     by_value
      - .offset:         80
        .size:           8
        .value_kind:     by_value
      - .offset:         88
        .size:           4
        .value_kind:     by_value
      - .offset:         96
        .size:           4
        .value_kind:     hidden_block_count_x
      - .offset:         100
        .size:           4
        .value_kind:     hidden_block_count_y
      - .offset:         104
        .size:           4
        .value_kind:     hidden_block_count_z
      - .offset:         108
        .size:           2
        .value_kind:     hidden_group_size_x
      - .offset:         110
        .size:           2
        .value_kind:     hidden_group_size_y
      - .offset:         112
        .size:           2
        .value_kind:     hidden_group_size_z
      - .offset:         114
        .size:           2
        .value_kind:     hidden_remainder_x
      - .offset:         116
        .size:           2
        .value_kind:     hidden_remainder_y
      - .offset:         118
        .size:           2
        .value_kind:     hidden_remainder_z
      - .offset:         136
        .size:           8
        .value_kind:     hidden_global_offset_x
      - .offset:         144
        .size:           8
        .value_kind:     hidden_global_offset_y
      - .offset:         152
        .size:           8
        .value_kind:     hidden_global_offset_z
      - .offset:         160
        .size:           2
        .value_kind:     hidden_grid_dims
    .group_segment_fixed_size: 0
    .kernarg_segment_align: 8
    .kernarg_segment_size: 352
    .language:       OpenCL C
    .language_version:
      - 2
      - 0
    .max_flat_workgroup_size: 64
    .name:           _ZN9rocsolver6v33100L11lasr_kernelIddPdiEEv13rocblas_side_14rocblas_pivot_15rocblas_direct_T2_S6_PT0_lS8_lT1_lS6_lS6_
    .private_segment_fixed_size: 0
    .sgpr_count:     93
    .sgpr_spill_count: 0
    .symbol:         _ZN9rocsolver6v33100L11lasr_kernelIddPdiEEv13rocblas_side_14rocblas_pivot_15rocblas_direct_T2_S6_PT0_lS8_lT1_lS6_lS6_.kd
    .uniform_work_group_size: 1
    .uses_dynamic_stack: false
    .vgpr_count:     46
    .vgpr_spill_count: 0
    .wavefront_size: 32
  - .args:
      - .offset:         0
        .size:           4
        .value_kind:     by_value
      - .offset:         8
        .size:           8
        .value_kind:     by_value
      - .address_space:  global
        .offset:         16
        .size:           8
        .value_kind:     global_buffer
      - .offset:         24
        .size:           4
        .value_kind:     by_value
      - .offset:         32
        .size:           4
        .value_kind:     hidden_block_count_x
      - .offset:         36
        .size:           4
        .value_kind:     hidden_block_count_y
      - .offset:         40
        .size:           4
        .value_kind:     hidden_block_count_z
      - .offset:         44
        .size:           2
        .value_kind:     hidden_group_size_x
      - .offset:         46
        .size:           2
        .value_kind:     hidden_group_size_y
      - .offset:         48
        .size:           2
        .value_kind:     hidden_group_size_z
      - .offset:         50
        .size:           2
        .value_kind:     hidden_remainder_x
      - .offset:         52
        .size:           2
        .value_kind:     hidden_remainder_y
      - .offset:         54
        .size:           2
        .value_kind:     hidden_remainder_z
      - .offset:         72
        .size:           8
        .value_kind:     hidden_global_offset_x
      - .offset:         80
        .size:           8
        .value_kind:     hidden_global_offset_y
      - .offset:         88
        .size:           8
        .value_kind:     hidden_global_offset_z
      - .offset:         96
        .size:           2
        .value_kind:     hidden_grid_dims
    .group_segment_fixed_size: 0
    .kernarg_segment_align: 8
    .kernarg_segment_size: 288
    .language:       OpenCL C
    .language_version:
      - 2
      - 0
    .max_flat_workgroup_size: 1024
    .name:           _ZN9rocsolver6v33100L11scal_kernelIddiEEvT1_T_PT0_S2_
    .private_segment_fixed_size: 0
    .sgpr_count:     13
    .sgpr_spill_count: 0
    .symbol:         _ZN9rocsolver6v33100L11scal_kernelIddiEEvT1_T_PT0_S2_.kd
    .uniform_work_group_size: 1
    .uses_dynamic_stack: false
    .vgpr_count:     6
    .vgpr_spill_count: 0
    .wavefront_size: 32
  - .args:
      - .offset:         0
        .size:           4
        .value_kind:     by_value
      - .offset:         4
        .size:           4
        .value_kind:     by_value
      - .offset:         8
        .size:           4
        .value_kind:     by_value
      - .address_space:  global
        .offset:         16
        .size:           8
        .value_kind:     global_buffer
      - .offset:         24
        .size:           8
        .value_kind:     by_value
      - .address_space:  global
        .offset:         32
        .size:           8
        .value_kind:     global_buffer
      - .offset:         40
        .size:           8
        .value_kind:     by_value
      - .address_space:  global
        .offset:         48
        .size:           8
        .value_kind:     global_buffer
      - .offset:         56
        .size:           4
        .value_kind:     by_value
      - .offset:         60
        .size:           4
        .value_kind:     by_value
      - .offset:         64
        .size:           8
        .value_kind:     by_value
      - .address_space:  global
        .offset:         72
        .size:           8
        .value_kind:     global_buffer
      - .offset:         80
        .size:           4
        .value_kind:     by_value
      - .offset:         84
        .size:           4
        .value_kind:     by_value
      - .offset:         88
        .size:           8
        .value_kind:     by_value
      - .address_space:  global
        .offset:         96
        .size:           8
        .value_kind:     global_buffer
      - .address_space:  global
        .offset:         104
        .size:           8
        .value_kind:     global_buffer
      - .offset:         112
        .size:           8
        .value_kind:     by_value
      - .address_space:  global
        .offset:         120
        .size:           8
        .value_kind:     global_buffer
      - .offset:         128
        .size:           4
        .value_kind:     hidden_block_count_x
      - .offset:         132
        .size:           4
        .value_kind:     hidden_block_count_y
      - .offset:         136
        .size:           4
        .value_kind:     hidden_block_count_z
      - .offset:         140
        .size:           2
        .value_kind:     hidden_group_size_x
      - .offset:         142
        .size:           2
        .value_kind:     hidden_group_size_y
      - .offset:         144
        .size:           2
        .value_kind:     hidden_group_size_z
      - .offset:         146
        .size:           2
        .value_kind:     hidden_remainder_x
      - .offset:         148
        .size:           2
        .value_kind:     hidden_remainder_y
      - .offset:         150
        .size:           2
        .value_kind:     hidden_remainder_z
      - .offset:         168
        .size:           8
        .value_kind:     hidden_global_offset_x
      - .offset:         176
        .size:           8
        .value_kind:     hidden_global_offset_y
      - .offset:         184
        .size:           8
        .value_kind:     hidden_global_offset_z
      - .offset:         192
        .size:           2
        .value_kind:     hidden_grid_dims
    .group_segment_fixed_size: 0
    .kernarg_segment_align: 8
    .kernarg_segment_size: 384
    .language:       OpenCL C
    .language_version:
      - 2
      - 0
    .max_flat_workgroup_size: 1024
    .name:           _ZN9rocsolver6v33100L17bdsqr_lower2upperIddPdS2_EEviiiPT0_lS4_lT1_iilT2_iilPiS4_lS7_
    .private_segment_fixed_size: 0
    .sgpr_count:     34
    .sgpr_spill_count: 0
    .symbol:         _ZN9rocsolver6v33100L17bdsqr_lower2upperIddPdS2_EEviiiPT0_lS4_lT1_iilT2_iilPiS4_lS7_.kd
    .uniform_work_group_size: 1
    .uses_dynamic_stack: false
    .vgpr_count:     20
    .vgpr_spill_count: 0
    .wavefront_size: 32
  - .args:
      - .offset:         0
        .size:           4
        .value_kind:     by_value
      - .offset:         4
        .size:           4
        .value_kind:     by_value
      - .offset:         8
        .size:           4
        .value_kind:     by_value
      - .offset:         12
        .size:           4
        .value_kind:     by_value
      - .address_space:  global
        .offset:         16
        .size:           8
        .value_kind:     global_buffer
      - .offset:         24
        .size:           8
        .value_kind:     by_value
      - .address_space:  global
        .offset:         32
        .size:           8
        .value_kind:     global_buffer
      - .offset:         40
        .size:           8
        .value_kind:     by_value
      - .address_space:  global
        .offset:         48
        .size:           8
        .value_kind:     global_buffer
      - .offset:         56
        .size:           4
        .value_kind:     by_value
      - .offset:         60
        .size:           4
        .value_kind:     by_value
      - .offset:         64
        .size:           8
        .value_kind:     by_value
      - .address_space:  global
        .offset:         72
        .size:           8
        .value_kind:     global_buffer
      - .offset:         80
        .size:           4
        .value_kind:     by_value
      - .offset:         84
        .size:           4
        .value_kind:     by_value
      - .offset:         88
        .size:           8
        .value_kind:     by_value
      - .address_space:  global
        .offset:         96
        .size:           8
        .value_kind:     global_buffer
      - .offset:         104
        .size:           4
        .value_kind:     by_value
      - .offset:         108
        .size:           4
        .value_kind:     by_value
      - .offset:         112
        .size:           8
        .value_kind:     by_value
      - .offset:         120
        .size:           4
        .value_kind:     by_value
      - .offset:         128
        .size:           8
        .value_kind:     by_value
      - .offset:         136
        .size:           8
        .value_kind:     by_value
      - .offset:         144
        .size:           8
        .value_kind:     by_value
      - .offset:         152
        .size:           8
        .value_kind:     by_value
      - .address_space:  global
        .offset:         160
        .size:           8
        .value_kind:     global_buffer
      - .address_space:  global
        .offset:         168
        .size:           8
        .value_kind:     global_buffer
      - .offset:         176
        .size:           4
        .value_kind:     by_value
      - .offset:         184
        .size:           8
        .value_kind:     by_value
      - .address_space:  global
        .offset:         192
        .size:           8
        .value_kind:     global_buffer
      - .offset:         200
        .size:           4
        .value_kind:     hidden_block_count_x
      - .offset:         204
        .size:           4
        .value_kind:     hidden_block_count_y
      - .offset:         208
        .size:           4
        .value_kind:     hidden_block_count_z
      - .offset:         212
        .size:           2
        .value_kind:     hidden_group_size_x
      - .offset:         214
        .size:           2
        .value_kind:     hidden_group_size_y
      - .offset:         216
        .size:           2
        .value_kind:     hidden_group_size_z
      - .offset:         218
        .size:           2
        .value_kind:     hidden_remainder_x
      - .offset:         220
        .size:           2
        .value_kind:     hidden_remainder_y
      - .offset:         222
        .size:           2
        .value_kind:     hidden_remainder_z
      - .offset:         240
        .size:           8
        .value_kind:     hidden_global_offset_x
      - .offset:         248
        .size:           8
        .value_kind:     hidden_global_offset_y
      - .offset:         256
        .size:           8
        .value_kind:     hidden_global_offset_z
      - .offset:         264
        .size:           2
        .value_kind:     hidden_grid_dims
    .group_segment_fixed_size: 2072
    .kernarg_segment_align: 8
    .kernarg_segment_size: 456
    .language:       OpenCL C
    .language_version:
      - 2
      - 0
    .max_flat_workgroup_size: 1024
    .name:           _ZN9rocsolver6v33100L13bdsqr_computeILi256EddPdS2_S2_EEviiiiPT1_lS4_lT2_iilT3_iilT4_iiliS3_S3_S3_S3_PiS4_ilS8_
    .private_segment_fixed_size: 0
    .sgpr_count:     107
    .sgpr_spill_count: 10
    .symbol:         _ZN9rocsolver6v33100L13bdsqr_computeILi256EddPdS2_S2_EEviiiiPT1_lS4_lT2_iilT3_iilT4_iiliS3_S3_S3_S3_PiS4_ilS8_.kd
    .uniform_work_group_size: 1
    .uses_dynamic_stack: false
    .vgpr_count:     35
    .vgpr_spill_count: 0
    .wavefront_size: 32
  - .args:
      - .offset:         0
        .size:           4
        .value_kind:     by_value
      - .offset:         4
        .size:           4
        .value_kind:     by_value
      - .offset:         8
        .size:           4
        .value_kind:     by_value
      - .offset:         12
        .size:           4
        .value_kind:     by_value
      - .address_space:  global
        .offset:         16
        .size:           8
        .value_kind:     global_buffer
      - .offset:         24
        .size:           4
        .value_kind:     by_value
      - .offset:         28
        .size:           4
        .value_kind:     by_value
      - .offset:         32
        .size:           8
        .value_kind:     by_value
      - .address_space:  global
        .offset:         40
        .size:           8
        .value_kind:     global_buffer
      - .offset:         48
        .size:           4
        .value_kind:     by_value
      - .offset:         52
        .size:           4
        .value_kind:     by_value
      - .offset:         56
        .size:           8
        .value_kind:     by_value
      - .address_space:  global
        .offset:         64
        .size:           8
        .value_kind:     global_buffer
      - .offset:         72
        .size:           4
        .value_kind:     by_value
      - .offset:         76
        .size:           4
        .value_kind:     by_value
      - .offset:         80
        .size:           8
        .value_kind:     by_value
      - .offset:         88
        .size:           4
        .value_kind:     by_value
      - .address_space:  global
        .offset:         96
        .size:           8
        .value_kind:     global_buffer
      - .address_space:  global
        .offset:         104
        .size:           8
        .value_kind:     global_buffer
      - .offset:         112
        .size:           4
        .value_kind:     by_value
      - .offset:         120
        .size:           8
        .value_kind:     by_value
      - .address_space:  global
        .offset:         128
        .size:           8
        .value_kind:     global_buffer
      - .offset:         136
        .size:           4
        .value_kind:     hidden_block_count_x
      - .offset:         140
        .size:           4
        .value_kind:     hidden_block_count_y
      - .offset:         144
        .size:           4
        .value_kind:     hidden_block_count_z
      - .offset:         148
        .size:           2
        .value_kind:     hidden_group_size_x
      - .offset:         150
        .size:           2
        .value_kind:     hidden_group_size_y
      - .offset:         152
        .size:           2
        .value_kind:     hidden_group_size_z
      - .offset:         154
        .size:           2
        .value_kind:     hidden_remainder_x
      - .offset:         156
        .size:           2
        .value_kind:     hidden_remainder_y
      - .offset:         158
        .size:           2
        .value_kind:     hidden_remainder_z
      - .offset:         176
        .size:           8
        .value_kind:     hidden_global_offset_x
      - .offset:         184
        .size:           8
        .value_kind:     hidden_global_offset_y
      - .offset:         192
        .size:           8
        .value_kind:     hidden_global_offset_z
      - .offset:         200
        .size:           2
        .value_kind:     hidden_grid_dims
    .group_segment_fixed_size: 0
    .kernarg_segment_align: 8
    .kernarg_segment_size: 392
    .language:       OpenCL C
    .language_version:
      - 2
      - 0
    .max_flat_workgroup_size: 1024
    .name:           _ZN9rocsolver6v33100L12bdsqr_rotateIddPdS2_S2_EEviiiiT1_iilT2_iilT3_iiliPiPT0_ilS6_
    .private_segment_fixed_size: 0
    .sgpr_count:     48
    .sgpr_spill_count: 0
    .symbol:         _ZN9rocsolver6v33100L12bdsqr_rotateIddPdS2_S2_EEviiiiT1_iilT2_iilT3_iiliPiPT0_ilS6_.kd
    .uniform_work_group_size: 1
    .uses_dynamic_stack: false
    .vgpr_count:     22
    .vgpr_spill_count: 0
    .wavefront_size: 32
  - .args:
      - .offset:         0
        .size:           4
        .value_kind:     by_value
      - .address_space:  global
        .offset:         8
        .size:           8
        .value_kind:     global_buffer
      - .offset:         16
        .size:           8
        .value_kind:     by_value
      - .address_space:  global
        .offset:         24
        .size:           8
        .value_kind:     global_buffer
      - .address_space:  global
        .offset:         32
        .size:           8
        .value_kind:     global_buffer
      - .offset:         40
        .size:           8
        .value_kind:     by_value
      - .address_space:  global
        .offset:         48
        .size:           8
        .value_kind:     global_buffer
      - .offset:         56
        .size:           4
        .value_kind:     hidden_block_count_x
      - .offset:         60
        .size:           4
        .value_kind:     hidden_block_count_y
      - .offset:         64
        .size:           4
        .value_kind:     hidden_block_count_z
      - .offset:         68
        .size:           2
        .value_kind:     hidden_group_size_x
      - .offset:         70
        .size:           2
        .value_kind:     hidden_group_size_y
      - .offset:         72
        .size:           2
        .value_kind:     hidden_group_size_z
      - .offset:         74
        .size:           2
        .value_kind:     hidden_remainder_x
      - .offset:         76
        .size:           2
        .value_kind:     hidden_remainder_y
      - .offset:         78
        .size:           2
        .value_kind:     hidden_remainder_z
      - .offset:         96
        .size:           8
        .value_kind:     hidden_global_offset_x
      - .offset:         104
        .size:           8
        .value_kind:     hidden_global_offset_y
      - .offset:         112
        .size:           8
        .value_kind:     hidden_global_offset_z
      - .offset:         120
        .size:           2
        .value_kind:     hidden_grid_dims
    .group_segment_fixed_size: 0
    .kernarg_segment_align: 8
    .kernarg_segment_size: 312
    .language:       OpenCL C
    .language_version:
      - 2
      - 0
    .max_flat_workgroup_size: 1024
    .name:           _ZN9rocsolver6v33100L22bdsqr_update_endpointsIddEEviPT0_lPiS3_lS4_
    .private_segment_fixed_size: 0
    .sgpr_count:     25
    .sgpr_spill_count: 0
    .symbol:         _ZN9rocsolver6v33100L22bdsqr_update_endpointsIddEEviPT0_lPiS3_lS4_.kd
    .uniform_work_group_size: 1
    .uses_dynamic_stack: false
    .vgpr_count:     12
    .vgpr_spill_count: 0
    .wavefront_size: 32
  - .args:
      - .offset:         0
        .size:           4
        .value_kind:     by_value
      - .offset:         4
        .size:           4
        .value_kind:     by_value
      - .address_space:  global
        .offset:         8
        .size:           8
        .value_kind:     global_buffer
      - .address_space:  global
        .offset:         16
        .size:           8
        .value_kind:     global_buffer
      - .offset:         24
        .size:           8
        .value_kind:     by_value
      - .address_space:  global
        .offset:         32
        .size:           8
        .value_kind:     global_buffer
    .group_segment_fixed_size: 0
    .kernarg_segment_align: 8
    .kernarg_segment_size: 40
    .language:       OpenCL C
    .language_version:
      - 2
      - 0
    .max_flat_workgroup_size: 1024
    .name:           _ZN9rocsolver6v33100L19bdsqr_chk_completedIddEEviiPiPT0_lS2_
    .private_segment_fixed_size: 0
    .sgpr_count:     22
    .sgpr_spill_count: 0
    .symbol:         _ZN9rocsolver6v33100L19bdsqr_chk_completedIddEEviiPiPT0_lS2_.kd
    .uniform_work_group_size: 1
    .uses_dynamic_stack: false
    .vgpr_count:     6
    .vgpr_spill_count: 0
    .wavefront_size: 32
  - .args:
      - .offset:         0
        .size:           4
        .value_kind:     by_value
      - .offset:         4
        .size:           4
        .value_kind:     by_value
      - .offset:         8
        .size:           4
        .value_kind:     by_value
      - .offset:         12
        .size:           4
        .value_kind:     by_value
      - .address_space:  global
        .offset:         16
        .size:           8
        .value_kind:     global_buffer
      - .offset:         24
        .size:           8
        .value_kind:     by_value
      - .address_space:  global
        .offset:         32
        .size:           8
        .value_kind:     global_buffer
      - .offset:         40
        .size:           8
        .value_kind:     by_value
      - .address_space:  global
        .offset:         48
        .size:           8
        .value_kind:     global_buffer
      - .offset:         56
        .size:           4
        .value_kind:     by_value
      - .offset:         60
        .size:           4
        .value_kind:     by_value
      - .offset:         64
        .size:           8
        .value_kind:     by_value
      - .address_space:  global
        .offset:         72
        .size:           8
        .value_kind:     global_buffer
      - .offset:         80
        .size:           4
        .value_kind:     by_value
      - .offset:         84
        .size:           4
        .value_kind:     by_value
      - .offset:         88
        .size:           8
        .value_kind:     by_value
      - .address_space:  global
        .offset:         96
        .size:           8
        .value_kind:     global_buffer
      - .offset:         104
        .size:           4
        .value_kind:     by_value
      - .offset:         108
        .size:           4
        .value_kind:     by_value
      - .offset:         112
        .size:           8
        .value_kind:     by_value
      - .address_space:  global
        .offset:         120
        .size:           8
        .value_kind:     global_buffer
      - .address_space:  global
        .offset:         128
        .size:           8
        .value_kind:     global_buffer
      - .address_space:  global
        .offset:         136
        .size:           8
        .value_kind:     global_buffer
      - .offset:         144
        .size:           4
        .value_kind:     hidden_block_count_x
      - .offset:         148
        .size:           4
        .value_kind:     hidden_block_count_y
      - .offset:         152
        .size:           4
        .value_kind:     hidden_block_count_z
      - .offset:         156
        .size:           2
        .value_kind:     hidden_group_size_x
      - .offset:         158
        .size:           2
        .value_kind:     hidden_group_size_y
      - .offset:         160
        .size:           2
        .value_kind:     hidden_group_size_z
      - .offset:         162
        .size:           2
        .value_kind:     hidden_remainder_x
      - .offset:         164
        .size:           2
        .value_kind:     hidden_remainder_y
      - .offset:         166
        .size:           2
        .value_kind:     hidden_remainder_z
      - .offset:         184
        .size:           8
        .value_kind:     hidden_global_offset_x
      - .offset:         192
        .size:           8
        .value_kind:     hidden_global_offset_y
      - .offset:         200
        .size:           8
        .value_kind:     hidden_global_offset_z
      - .offset:         208
        .size:           2
        .value_kind:     hidden_grid_dims
      - .offset:         224
        .size:           8
        .value_kind:     hidden_hostcall_buffer
    .group_segment_fixed_size: 0
    .kernarg_segment_align: 8
    .kernarg_segment_size: 400
    .language:       OpenCL C
    .language_version:
      - 2
      - 0
    .max_flat_workgroup_size: 1024
    .name:           _ZN9rocsolver6v33100L14bdsqr_finalizeIddPdS2_S2_EEviiiiPT0_lS4_lT1_iilT2_iilT3_iilPiS8_S8_
    .private_segment_fixed_size: 64
    .sgpr_count:     62
    .sgpr_spill_count: 0
    .symbol:         _ZN9rocsolver6v33100L14bdsqr_finalizeIddPdS2_S2_EEviiiiPT0_lS4_lT1_iilT2_iilT3_iilPiS8_S8_.kd
    .uniform_work_group_size: 1
    .uses_dynamic_stack: false
    .vgpr_count:     49
    .vgpr_spill_count: 0
    .wavefront_size: 32
  - .args:
      - .offset:         0
        .size:           4
        .value_kind:     by_value
      - .offset:         4
        .size:           4
        .value_kind:     by_value
      - .address_space:  global
        .offset:         8
        .size:           8
        .value_kind:     global_buffer
      - .offset:         16
        .size:           4
        .value_kind:     by_value
      - .offset:         20
        .size:           4
        .value_kind:     by_value
      - .offset:         24
        .size:           8
        .value_kind:     by_value
      - .address_space:  global
        .offset:         32
        .size:           8
        .value_kind:     global_buffer
      - .offset:         40
        .size:           4
        .value_kind:     by_value
      - .offset:         44
        .size:           4
        .value_kind:     by_value
      - .offset:         48
        .size:           8
        .value_kind:     by_value
      - .offset:         56
        .size:           1
        .value_kind:     by_value
      - .offset:         60
        .size:           4
        .value_kind:     by_value
      - .offset:         64
        .size:           4
        .value_kind:     by_value
      - .offset:         72
        .size:           4
        .value_kind:     hidden_block_count_x
      - .offset:         76
        .size:           4
        .value_kind:     hidden_block_count_y
      - .offset:         80
        .size:           4
        .value_kind:     hidden_block_count_z
      - .offset:         84
        .size:           2
        .value_kind:     hidden_group_size_x
      - .offset:         86
        .size:           2
        .value_kind:     hidden_group_size_y
      - .offset:         88
        .size:           2
        .value_kind:     hidden_group_size_z
      - .offset:         90
        .size:           2
        .value_kind:     hidden_remainder_x
      - .offset:         92
        .size:           2
        .value_kind:     hidden_remainder_y
      - .offset:         94
        .size:           2
        .value_kind:     hidden_remainder_z
      - .offset:         112
        .size:           8
        .value_kind:     hidden_global_offset_x
      - .offset:         120
        .size:           8
        .value_kind:     hidden_global_offset_y
      - .offset:         128
        .size:           8
        .value_kind:     hidden_global_offset_z
      - .offset:         136
        .size:           2
        .value_kind:     hidden_grid_dims
    .group_segment_fixed_size: 0
    .kernarg_segment_align: 8
    .kernarg_segment_size: 328
    .language:       OpenCL C
    .language_version:
      - 2
      - 0
    .max_flat_workgroup_size: 1024
    .name:           _ZN9rocsolver6v33100L8copy_matIdPdS2_NS0_7no_maskEEEviiT0_iilT1_iilT2_13rocblas_fill_17rocblas_diagonal_
    .private_segment_fixed_size: 0
    .sgpr_count:     18
    .sgpr_spill_count: 0
    .symbol:         _ZN9rocsolver6v33100L8copy_matIdPdS2_NS0_7no_maskEEEviiT0_iilT1_iilT2_13rocblas_fill_17rocblas_diagonal_.kd
    .uniform_work_group_size: 1
    .uses_dynamic_stack: false
    .vgpr_count:     4
    .vgpr_spill_count: 0
    .wavefront_size: 32
  - .args:
      - .address_space:  global
        .offset:         0
        .size:           8
        .value_kind:     global_buffer
      - .offset:         8
        .size:           4
        .value_kind:     by_value
      - .offset:         12
        .size:           8
        .value_kind:     by_value
    .group_segment_fixed_size: 0
    .kernarg_segment_align: 8
    .kernarg_segment_size: 20
    .language:       OpenCL C
    .language_version:
      - 2
      - 0
    .max_flat_workgroup_size: 32
    .name:           _ZN9rocsolver6v33100L6iota_nI19rocblas_complex_numIfEEEvPT_jS4_
    .private_segment_fixed_size: 0
    .sgpr_count:     8
    .sgpr_spill_count: 0
    .symbol:         _ZN9rocsolver6v33100L6iota_nI19rocblas_complex_numIfEEEvPT_jS4_.kd
    .uniform_work_group_size: 1
    .uses_dynamic_stack: false
    .vgpr_count:     6
    .vgpr_spill_count: 0
    .wavefront_size: 32
  - .args:
      - .offset:         0
        .size:           4
        .value_kind:     by_value
      - .offset:         4
        .size:           4
        .value_kind:     by_value
      - .address_space:  global
        .offset:         8
        .size:           8
        .value_kind:     global_buffer
      - .offset:         16
        .size:           8
        .value_kind:     by_value
      - .offset:         24
        .size:           4
        .value_kind:     by_value
      - .offset:         32
        .size:           8
        .value_kind:     by_value
      - .address_space:  global
        .offset:         40
        .size:           8
        .value_kind:     global_buffer
      - .offset:         48
        .size:           8
        .value_kind:     by_value
      - .address_space:  global
        .offset:         56
        .size:           8
        .value_kind:     global_buffer
      - .offset:         64
        .size:           8
        .value_kind:     by_value
    .group_segment_fixed_size: 0
    .kernarg_segment_align: 8
    .kernarg_segment_size: 72
    .language:       OpenCL C
    .language_version:
      - 2
      - 0
    .max_flat_workgroup_size: 256
    .name:           _ZN9rocsolver6v33100L18geqr2_kernel_smallILi256E19rocblas_complex_numIfEifPS3_EEvT1_S5_T3_lS5_lPT2_lPT0_l
    .private_segment_fixed_size: 0
    .sgpr_count:     39
    .sgpr_spill_count: 0
    .symbol:         _ZN9rocsolver6v33100L18geqr2_kernel_smallILi256E19rocblas_complex_numIfEifPS3_EEvT1_S5_T3_lS5_lPT2_lPT0_l.kd
    .uniform_work_group_size: 1
    .uses_dynamic_stack: false
    .vgpr_count:     44
    .vgpr_spill_count: 0
    .wavefront_size: 32
  - .args:
      - .address_space:  global
        .offset:         0
        .size:           8
        .value_kind:     global_buffer
      - .offset:         8
        .size:           8
        .value_kind:     by_value
      - .offset:         16
        .size:           4
        .value_kind:     by_value
      - .offset:         20
        .size:           4
        .value_kind:     by_value
      - .offset:         24
        .size:           4
        .value_kind:     hidden_block_count_x
      - .offset:         28
        .size:           4
        .value_kind:     hidden_block_count_y
      - .offset:         32
        .size:           4
        .value_kind:     hidden_block_count_z
      - .offset:         36
        .size:           2
        .value_kind:     hidden_group_size_x
      - .offset:         38
        .size:           2
        .value_kind:     hidden_group_size_y
      - .offset:         40
        .size:           2
        .value_kind:     hidden_group_size_z
      - .offset:         42
        .size:           2
        .value_kind:     hidden_remainder_x
      - .offset:         44
        .size:           2
        .value_kind:     hidden_remainder_y
      - .offset:         46
        .size:           2
        .value_kind:     hidden_remainder_z
      - .offset:         64
        .size:           8
        .value_kind:     hidden_global_offset_x
      - .offset:         72
        .size:           8
        .value_kind:     hidden_global_offset_y
      - .offset:         80
        .size:           8
        .value_kind:     hidden_global_offset_z
      - .offset:         88
        .size:           2
        .value_kind:     hidden_grid_dims
    .group_segment_fixed_size: 0
    .kernarg_segment_align: 8
    .kernarg_segment_size: 280
    .language:       OpenCL C
    .language_version:
      - 2
      - 0
    .max_flat_workgroup_size: 1024
    .name:           _ZN9rocsolver6v33100L16reset_batch_infoI19rocblas_complex_numIfEiiPS3_EEvT2_lT0_T1_
    .private_segment_fixed_size: 0
    .sgpr_count:     14
    .sgpr_spill_count: 0
    .symbol:         _ZN9rocsolver6v33100L16reset_batch_infoI19rocblas_complex_numIfEiiPS3_EEvT2_lT0_T1_.kd
    .uniform_work_group_size: 1
    .uses_dynamic_stack: false
    .vgpr_count:     4
    .vgpr_spill_count: 0
    .wavefront_size: 32
  - .args:
      - .address_space:  global
        .offset:         0
        .size:           8
        .value_kind:     global_buffer
      - .offset:         8
        .size:           8
        .value_kind:     by_value
      - .offset:         16
        .size:           8
        .value_kind:     by_value
      - .address_space:  global
        .offset:         24
        .size:           8
        .value_kind:     global_buffer
      - .offset:         32
        .size:           8
        .value_kind:     by_value
      - .offset:         40
        .size:           4
        .value_kind:     by_value
      - .offset:         48
        .size:           8
        .value_kind:     by_value
      - .offset:         56
        .size:           4
        .value_kind:     by_value
      - .offset:         60
        .size:           1
        .value_kind:     by_value
      - .offset:         64
        .size:           4
        .value_kind:     hidden_block_count_x
      - .offset:         68
        .size:           4
        .value_kind:     hidden_block_count_y
      - .offset:         72
        .size:           4
        .value_kind:     hidden_block_count_z
      - .offset:         76
        .size:           2
        .value_kind:     hidden_group_size_x
      - .offset:         78
        .size:           2
        .value_kind:     hidden_group_size_y
      - .offset:         80
        .size:           2
        .value_kind:     hidden_group_size_z
      - .offset:         82
        .size:           2
        .value_kind:     hidden_remainder_x
      - .offset:         84
        .size:           2
        .value_kind:     hidden_remainder_y
      - .offset:         86
        .size:           2
        .value_kind:     hidden_remainder_z
      - .offset:         104
        .size:           8
        .value_kind:     hidden_global_offset_x
      - .offset:         112
        .size:           8
        .value_kind:     hidden_global_offset_y
      - .offset:         120
        .size:           8
        .value_kind:     hidden_global_offset_z
      - .offset:         128
        .size:           2
        .value_kind:     hidden_grid_dims
    .group_segment_fixed_size: 0
    .kernarg_segment_align: 8
    .kernarg_segment_size: 320
    .language:       OpenCL C
    .language_version:
      - 2
      - 0
    .max_flat_workgroup_size: 1024
    .name:           _ZN9rocsolver6v33100L8set_diagI19rocblas_complex_numIfEifPS3_TnNSt9enable_ifIXaa18rocblas_is_complexIT_Ent18rocblas_is_complexIT1_EEiE4typeELi0EEEvPS7_llT2_lT0_lSC_b
    .private_segment_fixed_size: 0
    .sgpr_count:     22
    .sgpr_spill_count: 0
    .symbol:         _ZN9rocsolver6v33100L8set_diagI19rocblas_complex_numIfEifPS3_TnNSt9enable_ifIXaa18rocblas_is_complexIT_Ent18rocblas_is_complexIT1_EEiE4typeELi0EEEvPS7_llT2_lT0_lSC_b.kd
    .uniform_work_group_size: 1
    .uses_dynamic_stack: false
    .vgpr_count:     4
    .vgpr_spill_count: 0
    .wavefront_size: 32
  - .args:
      - .address_space:  global
        .offset:         0
        .size:           8
        .value_kind:     global_buffer
      - .offset:         8
        .size:           8
        .value_kind:     by_value
      - .address_space:  global
        .offset:         16
        .size:           8
        .value_kind:     global_buffer
      - .address_space:  global
        .offset:         24
        .size:           8
        .value_kind:     global_buffer
      - .offset:         32
        .size:           8
        .value_kind:     by_value
      - .offset:         40
        .size:           8
        .value_kind:     by_value
      - .address_space:  global
        .offset:         48
        .size:           8
        .value_kind:     global_buffer
      - .offset:         56
        .size:           8
        .value_kind:     by_value
      - .offset:         64
        .size:           8
        .value_kind:     by_value
    .group_segment_fixed_size: 0
    .kernarg_segment_align: 8
    .kernarg_segment_size: 72
    .language:       OpenCL C
    .language_version:
      - 2
      - 0
    .max_flat_workgroup_size: 1024
    .name:           _ZN9rocsolver6v33100L11set_taubetaI19rocblas_complex_numIfEifPS3_EEvPT_lS6_T2_llPT1_ll
    .private_segment_fixed_size: 0
    .sgpr_count:     25
    .sgpr_spill_count: 0
    .symbol:         _ZN9rocsolver6v33100L11set_taubetaI19rocblas_complex_numIfEifPS3_EEvPT_lS6_T2_llPT1_ll.kd
    .uniform_work_group_size: 1
    .uses_dynamic_stack: false
    .vgpr_count:     25
    .vgpr_spill_count: 0
    .wavefront_size: 32
  - .args:
      - .offset:         0
        .size:           4
        .value_kind:     by_value
      - .offset:         4
        .size:           4
        .value_kind:     by_value
      - .address_space:  global
        .offset:         8
        .size:           8
        .value_kind:     global_buffer
      - .offset:         16
        .size:           8
        .value_kind:     by_value
      - .offset:         24
        .size:           4
        .value_kind:     by_value
      - .offset:         32
        .size:           8
        .value_kind:     by_value
      - .offset:         40
        .size:           4
        .value_kind:     hidden_block_count_x
      - .offset:         44
        .size:           4
        .value_kind:     hidden_block_count_y
      - .offset:         48
        .size:           4
        .value_kind:     hidden_block_count_z
      - .offset:         52
        .size:           2
        .value_kind:     hidden_group_size_x
      - .offset:         54
        .size:           2
        .value_kind:     hidden_group_size_y
      - .offset:         56
        .size:           2
        .value_kind:     hidden_group_size_z
      - .offset:         58
        .size:           2
        .value_kind:     hidden_remainder_x
      - .offset:         60
        .size:           2
        .value_kind:     hidden_remainder_y
      - .offset:         62
        .size:           2
        .value_kind:     hidden_remainder_z
      - .offset:         80
        .size:           8
        .value_kind:     hidden_global_offset_x
      - .offset:         88
        .size:           8
        .value_kind:     hidden_global_offset_y
      - .offset:         96
        .size:           8
        .value_kind:     hidden_global_offset_z
      - .offset:         104
        .size:           2
        .value_kind:     hidden_grid_dims
    .group_segment_fixed_size: 0
    .kernarg_segment_align: 8
    .kernarg_segment_size: 296
    .language:       OpenCL C
    .language_version:
      - 2
      - 0
    .max_flat_workgroup_size: 1024
    .name:           _ZN9rocsolver6v33100L13conj_in_placeI19rocblas_complex_numIfEiPS3_TnNSt9enable_ifIX18rocblas_is_complexIT_EEiE4typeELi0EEEvT0_S9_T1_lS9_l
    .private_segment_fixed_size: 0
    .sgpr_count:     16
    .sgpr_spill_count: 0
    .symbol:         _ZN9rocsolver6v33100L13conj_in_placeI19rocblas_complex_numIfEiPS3_TnNSt9enable_ifIX18rocblas_is_complexIT_EEiE4typeELi0EEEvT0_S9_T1_lS9_l.kd
    .uniform_work_group_size: 1
    .uses_dynamic_stack: false
    .vgpr_count:     6
    .vgpr_spill_count: 0
    .wavefront_size: 32
  - .args:
      - .offset:         0
        .size:           4
        .value_kind:     by_value
      - .offset:         4
        .size:           4
        .value_kind:     by_value
      - .address_space:  global
        .offset:         8
        .size:           8
        .value_kind:     global_buffer
      - .offset:         16
        .size:           8
        .value_kind:     by_value
      - .offset:         24
        .size:           4
        .value_kind:     by_value
      - .offset:         32
        .size:           8
        .value_kind:     by_value
      - .address_space:  global
        .offset:         40
        .size:           8
        .value_kind:     global_buffer
      - .offset:         48
        .size:           8
        .value_kind:     by_value
      - .address_space:  global
        .offset:         56
        .size:           8
        .value_kind:     global_buffer
      - .offset:         64
        .size:           8
        .value_kind:     by_value
      - .offset:         72
        .size:           4
        .value_kind:     by_value
      - .offset:         80
        .size:           8
        .value_kind:     by_value
    .group_segment_fixed_size: 0
    .kernarg_segment_align: 8
    .kernarg_segment_size: 88
    .language:       OpenCL C
    .language_version:
      - 2
      - 0
    .max_flat_workgroup_size: 1024
    .name:           _ZN9rocsolver6v33100L16larf_left_kernelILi1024E19rocblas_complex_numIfEiPS3_EEvT1_S5_T2_lS5_lPKT0_lS6_lS5_l
    .private_segment_fixed_size: 0
    .sgpr_count:     28
    .sgpr_spill_count: 0
    .symbol:         _ZN9rocsolver6v33100L16larf_left_kernelILi1024E19rocblas_complex_numIfEiPS3_EEvT1_S5_T2_lS5_lPKT0_lS6_lS5_l.kd
    .uniform_work_group_size: 1
    .uses_dynamic_stack: false
    .vgpr_count:     28
    .vgpr_spill_count: 0
    .wavefront_size: 32
  - .args:
      - .offset:         0
        .size:           4
        .value_kind:     by_value
      - .offset:         4
        .size:           4
        .value_kind:     by_value
      - .address_space:  global
        .offset:         8
        .size:           8
        .value_kind:     global_buffer
      - .offset:         16
        .size:           8
        .value_kind:     by_value
      - .offset:         24
        .size:           4
        .value_kind:     by_value
      - .offset:         32
        .size:           8
        .value_kind:     by_value
      - .address_space:  global
        .offset:         40
        .size:           8
        .value_kind:     global_buffer
      - .offset:         48
        .size:           8
        .value_kind:     by_value
      - .address_space:  global
        .offset:         56
        .size:           8
        .value_kind:     global_buffer
      - .offset:         64
        .size:           8
        .value_kind:     by_value
      - .offset:         72
        .size:           4
        .value_kind:     by_value
      - .offset:         80
        .size:           8
        .value_kind:     by_value
    .group_segment_fixed_size: 0
    .kernarg_segment_align: 8
    .kernarg_segment_size: 88
    .language:       OpenCL C
    .language_version:
      - 2
      - 0
    .max_flat_workgroup_size: 1024
    .name:           _ZN9rocsolver6v33100L17larf_right_kernelILi1024E19rocblas_complex_numIfEiPS3_EEvT1_S5_T2_lS5_lPKT0_lS6_lS5_l
    .private_segment_fixed_size: 0
    .sgpr_count:     28
    .sgpr_spill_count: 0
    .symbol:         _ZN9rocsolver6v33100L17larf_right_kernelILi1024E19rocblas_complex_numIfEiPS3_EEvT1_S5_T2_lS5_lPKT0_lS6_lS5_l.kd
    .uniform_work_group_size: 1
    .uses_dynamic_stack: false
    .vgpr_count:     20
    .vgpr_spill_count: 0
    .wavefront_size: 32
  - .args:
      - .address_space:  global
        .offset:         0
        .size:           8
        .value_kind:     global_buffer
      - .offset:         8
        .size:           8
        .value_kind:     by_value
      - .offset:         16
        .size:           8
        .value_kind:     by_value
      - .address_space:  global
        .offset:         24
        .size:           8
        .value_kind:     global_buffer
      - .offset:         32
        .size:           8
        .value_kind:     by_value
      - .offset:         40
        .size:           4
        .value_kind:     by_value
      - .offset:         48
        .size:           8
        .value_kind:     by_value
      - .offset:         56
        .size:           4
        .value_kind:     by_value
      - .offset:         64
        .size:           4
        .value_kind:     hidden_block_count_x
      - .offset:         68
        .size:           4
        .value_kind:     hidden_block_count_y
      - .offset:         72
        .size:           4
        .value_kind:     hidden_block_count_z
      - .offset:         76
        .size:           2
        .value_kind:     hidden_group_size_x
      - .offset:         78
        .size:           2
        .value_kind:     hidden_group_size_y
      - .offset:         80
        .size:           2
        .value_kind:     hidden_group_size_z
      - .offset:         82
        .size:           2
        .value_kind:     hidden_remainder_x
      - .offset:         84
        .size:           2
        .value_kind:     hidden_remainder_y
      - .offset:         86
        .size:           2
        .value_kind:     hidden_remainder_z
      - .offset:         104
        .size:           8
        .value_kind:     hidden_global_offset_x
      - .offset:         112
        .size:           8
        .value_kind:     hidden_global_offset_y
      - .offset:         120
        .size:           8
        .value_kind:     hidden_global_offset_z
      - .offset:         128
        .size:           2
        .value_kind:     hidden_grid_dims
    .group_segment_fixed_size: 0
    .kernarg_segment_align: 8
    .kernarg_segment_size: 320
    .language:       OpenCL C
    .language_version:
      - 2
      - 0
    .max_flat_workgroup_size: 1024
    .name:           _ZN9rocsolver6v33100L12restore_diagI19rocblas_complex_numIfEifPS3_EEvPT1_llT2_lT0_lS8_
    .private_segment_fixed_size: 0
    .sgpr_count:     13
    .sgpr_spill_count: 0
    .symbol:         _ZN9rocsolver6v33100L12restore_diagI19rocblas_complex_numIfEifPS3_EEvPT1_llT2_lT0_lS8_.kd
    .uniform_work_group_size: 1
    .uses_dynamic_stack: false
    .vgpr_count:     4
    .vgpr_spill_count: 0
    .wavefront_size: 32
  - .args:
      - .offset:         0
        .size:           4
        .value_kind:     by_value
      - .offset:         4
        .size:           4
        .value_kind:     by_value
      - .address_space:  global
        .offset:         8
        .size:           8
        .value_kind:     global_buffer
      - .offset:         16
        .size:           4
        .value_kind:     by_value
      - .offset:         20
        .size:           4
        .value_kind:     by_value
      - .offset:         24
        .size:           8
        .value_kind:     by_value
      - .address_space:  global
        .offset:         32
        .size:           8
        .value_kind:     global_buffer
      - .offset:         40
        .size:           8
        .value_kind:     by_value
      - .address_space:  global
        .offset:         48
        .size:           8
        .value_kind:     global_buffer
      - .offset:         56
        .size:           4
        .value_kind:     by_value
      - .offset:         64
        .size:           8
        .value_kind:     by_value
      - .offset:         72
        .size:           4
        .value_kind:     by_value
      - .offset:         76
        .size:           4
        .value_kind:     by_value
      - .offset:         80
        .size:           1
        .value_kind:     by_value
      - .offset:         88
        .size:           4
        .value_kind:     hidden_block_count_x
      - .offset:         92
        .size:           4
        .value_kind:     hidden_block_count_y
      - .offset:         96
        .size:           4
        .value_kind:     hidden_block_count_z
      - .offset:         100
        .size:           2
        .value_kind:     hidden_group_size_x
      - .offset:         102
        .size:           2
        .value_kind:     hidden_group_size_y
      - .offset:         104
        .size:           2
        .value_kind:     hidden_group_size_z
      - .offset:         106
        .size:           2
        .value_kind:     hidden_remainder_x
      - .offset:         108
        .size:           2
        .value_kind:     hidden_remainder_y
      - .offset:         110
        .size:           2
        .value_kind:     hidden_remainder_z
      - .offset:         128
        .size:           8
        .value_kind:     hidden_global_offset_x
      - .offset:         136
        .size:           8
        .value_kind:     hidden_global_offset_y
      - .offset:         144
        .size:           8
        .value_kind:     hidden_global_offset_z
      - .offset:         152
        .size:           2
        .value_kind:     hidden_grid_dims
    .group_segment_fixed_size: 0
    .kernarg_segment_align: 8
    .kernarg_segment_size: 344
    .language:       OpenCL C
    .language_version:
      - 2
      - 0
    .max_flat_workgroup_size: 1024
    .name:           _ZN9rocsolver6v33100L14set_triangularI19rocblas_complex_numIfEPS3_TnNSt9enable_ifIX18rocblas_is_complexIT_EEiE4typeELi0EEEviiT0_iilPS6_lSA_il15rocblas_direct_15rocblas_storev_b
    .private_segment_fixed_size: 0
    .sgpr_count:     24
    .sgpr_spill_count: 0
    .symbol:         _ZN9rocsolver6v33100L14set_triangularI19rocblas_complex_numIfEPS3_TnNSt9enable_ifIX18rocblas_is_complexIT_EEiE4typeELi0EEEviiT0_iilPS6_lSA_il15rocblas_direct_15rocblas_storev_b.kd
    .uniform_work_group_size: 1
    .uses_dynamic_stack: false
    .vgpr_count:     14
    .vgpr_spill_count: 0
    .wavefront_size: 32
  - .args:
      - .offset:         0
        .size:           4
        .value_kind:     by_value
      - .address_space:  global
        .offset:         8
        .size:           8
        .value_kind:     global_buffer
      - .offset:         16
        .size:           8
        .value_kind:     by_value
      - .offset:         24
        .size:           4
        .value_kind:     hidden_block_count_x
      - .offset:         28
        .size:           4
        .value_kind:     hidden_block_count_y
      - .offset:         32
        .size:           4
        .value_kind:     hidden_block_count_z
      - .offset:         36
        .size:           2
        .value_kind:     hidden_group_size_x
      - .offset:         38
        .size:           2
        .value_kind:     hidden_group_size_y
      - .offset:         40
        .size:           2
        .value_kind:     hidden_group_size_z
      - .offset:         42
        .size:           2
        .value_kind:     hidden_remainder_x
      - .offset:         44
        .size:           2
        .value_kind:     hidden_remainder_y
      - .offset:         46
        .size:           2
        .value_kind:     hidden_remainder_z
      - .offset:         64
        .size:           8
        .value_kind:     hidden_global_offset_x
      - .offset:         72
        .size:           8
        .value_kind:     hidden_global_offset_y
      - .offset:         80
        .size:           8
        .value_kind:     hidden_global_offset_z
      - .offset:         88
        .size:           2
        .value_kind:     hidden_grid_dims
    .group_segment_fixed_size: 0
    .kernarg_segment_align: 8
    .kernarg_segment_size: 280
    .language:       OpenCL C
    .language_version:
      - 2
      - 0
    .max_flat_workgroup_size: 1024
    .name:           _ZN9rocsolver6v33100L7set_tauI19rocblas_complex_numIfEEEviPT_l
    .private_segment_fixed_size: 0
    .sgpr_count:     10
    .sgpr_spill_count: 0
    .symbol:         _ZN9rocsolver6v33100L7set_tauI19rocblas_complex_numIfEEEviPT_l.kd
    .uniform_work_group_size: 1
    .uses_dynamic_stack: false
    .vgpr_count:     4
    .vgpr_spill_count: 0
    .wavefront_size: 32
  - .args:
      - .offset:         0
        .size:           4
        .value_kind:     by_value
      - .offset:         4
        .size:           4
        .value_kind:     by_value
      - .offset:         8
        .size:           4
        .value_kind:     by_value
      - .address_space:  global
        .offset:         16
        .size:           8
        .value_kind:     global_buffer
      - .offset:         24
        .size:           4
        .value_kind:     by_value
      - .offset:         28
        .size:           4
        .value_kind:     by_value
      - .offset:         32
        .size:           8
        .value_kind:     by_value
      - .address_space:  global
        .offset:         40
        .size:           8
        .value_kind:     global_buffer
      - .offset:         48
        .size:           8
        .value_kind:     by_value
      - .address_space:  global
        .offset:         56
        .size:           8
        .value_kind:     global_buffer
      - .offset:         64
        .size:           4
        .value_kind:     by_value
      - .offset:         72
        .size:           8
        .value_kind:     by_value
      - .offset:         80
        .size:           4
        .value_kind:     hidden_block_count_x
      - .offset:         84
        .size:           4
        .value_kind:     hidden_block_count_y
      - .offset:         88
        .size:           4
        .value_kind:     hidden_block_count_z
      - .offset:         92
        .size:           2
        .value_kind:     hidden_group_size_x
      - .offset:         94
        .size:           2
        .value_kind:     hidden_group_size_y
      - .offset:         96
        .size:           2
        .value_kind:     hidden_group_size_z
      - .offset:         98
        .size:           2
        .value_kind:     hidden_remainder_x
      - .offset:         100
        .size:           2
        .value_kind:     hidden_remainder_y
      - .offset:         102
        .size:           2
        .value_kind:     hidden_remainder_z
      - .offset:         120
        .size:           8
        .value_kind:     hidden_global_offset_x
      - .offset:         128
        .size:           8
        .value_kind:     hidden_global_offset_y
      - .offset:         136
        .size:           8
        .value_kind:     hidden_global_offset_z
      - .offset:         144
        .size:           2
        .value_kind:     hidden_grid_dims
      - .offset:         200
        .size:           4
        .value_kind:     hidden_dynamic_lds_size
    .group_segment_fixed_size: 0
    .kernarg_segment_align: 8
    .kernarg_segment_size: 336
    .language:       OpenCL C
    .language_version:
      - 2
      - 0
    .max_flat_workgroup_size: 1024
    .name:           _ZN9rocsolver6v33100L20larft_kernel_forwardI19rocblas_complex_numIfEPS3_EEv15rocblas_storev_iiT0_iilPT_lS8_il
    .private_segment_fixed_size: 0
    .sgpr_count:     52
    .sgpr_spill_count: 0
    .symbol:         _ZN9rocsolver6v33100L20larft_kernel_forwardI19rocblas_complex_numIfEPS3_EEv15rocblas_storev_iiT0_iilPT_lS8_il.kd
    .uniform_work_group_size: 1
    .uses_dynamic_stack: false
    .vgpr_count:     24
    .vgpr_spill_count: 0
    .wavefront_size: 32
  - .args:
      - .offset:         0
        .size:           4
        .value_kind:     by_value
      - .offset:         4
        .size:           4
        .value_kind:     by_value
      - .offset:         8
        .size:           4
        .value_kind:     by_value
      - .address_space:  global
        .offset:         16
        .size:           8
        .value_kind:     global_buffer
      - .offset:         24
        .size:           4
        .value_kind:     by_value
      - .offset:         28
        .size:           4
        .value_kind:     by_value
      - .offset:         32
        .size:           8
        .value_kind:     by_value
      - .address_space:  global
        .offset:         40
        .size:           8
        .value_kind:     global_buffer
      - .offset:         48
        .size:           8
        .value_kind:     by_value
      - .address_space:  global
        .offset:         56
        .size:           8
        .value_kind:     global_buffer
      - .offset:         64
        .size:           4
        .value_kind:     by_value
      - .offset:         72
        .size:           8
        .value_kind:     by_value
      - .offset:         80
        .size:           4
        .value_kind:     hidden_block_count_x
      - .offset:         84
        .size:           4
        .value_kind:     hidden_block_count_y
      - .offset:         88
        .size:           4
        .value_kind:     hidden_block_count_z
      - .offset:         92
        .size:           2
        .value_kind:     hidden_group_size_x
      - .offset:         94
        .size:           2
        .value_kind:     hidden_group_size_y
      - .offset:         96
        .size:           2
        .value_kind:     hidden_group_size_z
      - .offset:         98
        .size:           2
        .value_kind:     hidden_remainder_x
      - .offset:         100
        .size:           2
        .value_kind:     hidden_remainder_y
      - .offset:         102
        .size:           2
        .value_kind:     hidden_remainder_z
      - .offset:         120
        .size:           8
        .value_kind:     hidden_global_offset_x
      - .offset:         128
        .size:           8
        .value_kind:     hidden_global_offset_y
      - .offset:         136
        .size:           8
        .value_kind:     hidden_global_offset_z
      - .offset:         144
        .size:           2
        .value_kind:     hidden_grid_dims
      - .offset:         200
        .size:           4
        .value_kind:     hidden_dynamic_lds_size
    .group_segment_fixed_size: 0
    .kernarg_segment_align: 8
    .kernarg_segment_size: 336
    .language:       OpenCL C
    .language_version:
      - 2
      - 0
    .max_flat_workgroup_size: 1024
    .name:           _ZN9rocsolver6v33100L21larft_kernel_backwardI19rocblas_complex_numIfEPS3_EEv15rocblas_storev_iiT0_iilPT_lS8_il
    .private_segment_fixed_size: 0
    .sgpr_count:     50
    .sgpr_spill_count: 0
    .symbol:         _ZN9rocsolver6v33100L21larft_kernel_backwardI19rocblas_complex_numIfEPS3_EEv15rocblas_storev_iiT0_iilPT_lS8_il.kd
    .uniform_work_group_size: 1
    .uses_dynamic_stack: false
    .vgpr_count:     22
    .vgpr_spill_count: 0
    .wavefront_size: 32
  - .args:
      - .offset:         0
        .size:           4
        .value_kind:     by_value
      - .offset:         4
        .size:           4
        .value_kind:     by_value
      - .address_space:  global
        .offset:         8
        .size:           8
        .value_kind:     global_buffer
      - .offset:         16
        .size:           4
        .value_kind:     by_value
      - .offset:         20
        .size:           4
        .value_kind:     by_value
      - .offset:         24
        .size:           8
        .value_kind:     by_value
      - .address_space:  global
        .offset:         32
        .size:           8
        .value_kind:     global_buffer
      - .offset:         40
        .size:           4
        .value_kind:     hidden_block_count_x
      - .offset:         44
        .size:           4
        .value_kind:     hidden_block_count_y
      - .offset:         48
        .size:           4
        .value_kind:     hidden_block_count_z
      - .offset:         52
        .size:           2
        .value_kind:     hidden_group_size_x
      - .offset:         54
        .size:           2
        .value_kind:     hidden_group_size_y
      - .offset:         56
        .size:           2
        .value_kind:     hidden_group_size_z
      - .offset:         58
        .size:           2
        .value_kind:     hidden_remainder_x
      - .offset:         60
        .size:           2
        .value_kind:     hidden_remainder_y
      - .offset:         62
        .size:           2
        .value_kind:     hidden_remainder_z
      - .offset:         80
        .size:           8
        .value_kind:     hidden_global_offset_x
      - .offset:         88
        .size:           8
        .value_kind:     hidden_global_offset_y
      - .offset:         96
        .size:           8
        .value_kind:     hidden_global_offset_z
      - .offset:         104
        .size:           2
        .value_kind:     hidden_grid_dims
    .group_segment_fixed_size: 0
    .kernarg_segment_align: 8
    .kernarg_segment_size: 296
    .language:       OpenCL C
    .language_version:
      - 2
      - 0
    .max_flat_workgroup_size: 1024
    .name:           _ZN9rocsolver6v33100L9copymatA1I19rocblas_complex_numIfEPS3_EEviiT0_iilPT_
    .private_segment_fixed_size: 0
    .sgpr_count:     19
    .sgpr_spill_count: 0
    .symbol:         _ZN9rocsolver6v33100L9copymatA1I19rocblas_complex_numIfEPS3_EEviiT0_iilPT_.kd
    .uniform_work_group_size: 1
    .uses_dynamic_stack: false
    .vgpr_count:     4
    .vgpr_spill_count: 0
    .wavefront_size: 32
  - .args:
      - .offset:         0
        .size:           4
        .value_kind:     by_value
      - .offset:         4
        .size:           4
        .value_kind:     by_value
      - .address_space:  global
        .offset:         8
        .size:           8
        .value_kind:     global_buffer
      - .offset:         16
        .size:           4
        .value_kind:     by_value
      - .offset:         20
        .size:           4
        .value_kind:     by_value
      - .offset:         24
        .size:           8
        .value_kind:     by_value
      - .address_space:  global
        .offset:         32
        .size:           8
        .value_kind:     global_buffer
      - .offset:         40
        .size:           4
        .value_kind:     hidden_block_count_x
      - .offset:         44
        .size:           4
        .value_kind:     hidden_block_count_y
      - .offset:         48
        .size:           4
        .value_kind:     hidden_block_count_z
      - .offset:         52
        .size:           2
        .value_kind:     hidden_group_size_x
      - .offset:         54
        .size:           2
        .value_kind:     hidden_group_size_y
      - .offset:         56
        .size:           2
        .value_kind:     hidden_group_size_z
      - .offset:         58
        .size:           2
        .value_kind:     hidden_remainder_x
      - .offset:         60
        .size:           2
        .value_kind:     hidden_remainder_y
      - .offset:         62
        .size:           2
        .value_kind:     hidden_remainder_z
      - .offset:         80
        .size:           8
        .value_kind:     hidden_global_offset_x
      - .offset:         88
        .size:           8
        .value_kind:     hidden_global_offset_y
      - .offset:         96
        .size:           8
        .value_kind:     hidden_global_offset_z
      - .offset:         104
        .size:           2
        .value_kind:     hidden_grid_dims
    .group_segment_fixed_size: 0
    .kernarg_segment_align: 8
    .kernarg_segment_size: 296
    .language:       OpenCL C
    .language_version:
      - 2
      - 0
    .max_flat_workgroup_size: 1024
    .name:           _ZN9rocsolver6v33100L8addmatA1I19rocblas_complex_numIfEPS3_EEviiT0_iilPT_
    .private_segment_fixed_size: 0
    .sgpr_count:     19
    .sgpr_spill_count: 0
    .symbol:         _ZN9rocsolver6v33100L8addmatA1I19rocblas_complex_numIfEPS3_EEviiT0_iilPT_.kd
    .uniform_work_group_size: 1
    .uses_dynamic_stack: false
    .vgpr_count:     6
    .vgpr_spill_count: 0
    .wavefront_size: 32
  - .args:
      - .address_space:  global
        .offset:         0
        .size:           8
        .value_kind:     global_buffer
      - .offset:         8
        .size:           8
        .value_kind:     by_value
      - .offset:         16
        .size:           8
        .value_kind:     by_value
      - .address_space:  global
        .offset:         24
        .size:           8
        .value_kind:     global_buffer
      - .offset:         32
        .size:           8
        .value_kind:     by_value
      - .offset:         40
        .size:           4
        .value_kind:     by_value
      - .offset:         48
        .size:           8
        .value_kind:     by_value
      - .offset:         56
        .size:           4
        .value_kind:     by_value
      - .offset:         60
        .size:           1
        .value_kind:     by_value
      - .offset:         64
        .size:           4
        .value_kind:     hidden_block_count_x
      - .offset:         68
        .size:           4
        .value_kind:     hidden_block_count_y
      - .offset:         72
        .size:           4
        .value_kind:     hidden_block_count_z
      - .offset:         76
        .size:           2
        .value_kind:     hidden_group_size_x
      - .offset:         78
        .size:           2
        .value_kind:     hidden_group_size_y
      - .offset:         80
        .size:           2
        .value_kind:     hidden_group_size_z
      - .offset:         82
        .size:           2
        .value_kind:     hidden_remainder_x
      - .offset:         84
        .size:           2
        .value_kind:     hidden_remainder_y
      - .offset:         86
        .size:           2
        .value_kind:     hidden_remainder_z
      - .offset:         104
        .size:           8
        .value_kind:     hidden_global_offset_x
      - .offset:         112
        .size:           8
        .value_kind:     hidden_global_offset_y
      - .offset:         120
        .size:           8
        .value_kind:     hidden_global_offset_z
      - .offset:         128
        .size:           2
        .value_kind:     hidden_grid_dims
    .group_segment_fixed_size: 0
    .kernarg_segment_align: 8
    .kernarg_segment_size: 320
    .language:       OpenCL C
    .language_version:
      - 2
      - 0
    .max_flat_workgroup_size: 1024
    .name:           _ZN9rocsolver6v33100L8set_diagI19rocblas_complex_numIfEiS3_PS3_TnNSt9enable_ifIXoont18rocblas_is_complexIT_E18rocblas_is_complexIT1_EEiE4typeELi0EEEvPS7_llT2_lT0_lSC_b
    .private_segment_fixed_size: 0
    .sgpr_count:     22
    .sgpr_spill_count: 0
    .symbol:         _ZN9rocsolver6v33100L8set_diagI19rocblas_complex_numIfEiS3_PS3_TnNSt9enable_ifIXoont18rocblas_is_complexIT_E18rocblas_is_complexIT1_EEiE4typeELi0EEEvPS7_llT2_lT0_lSC_b.kd
    .uniform_work_group_size: 1
    .uses_dynamic_stack: false
    .vgpr_count:     6
    .vgpr_spill_count: 0
    .wavefront_size: 32
  - .args:
      - .address_space:  global
        .offset:         0
        .size:           8
        .value_kind:     global_buffer
      - .offset:         8
        .size:           8
        .value_kind:     by_value
      - .offset:         16
        .size:           8
        .value_kind:     by_value
      - .address_space:  global
        .offset:         24
        .size:           8
        .value_kind:     global_buffer
      - .offset:         32
        .size:           8
        .value_kind:     by_value
      - .offset:         40
        .size:           4
        .value_kind:     by_value
      - .offset:         48
        .size:           8
        .value_kind:     by_value
      - .offset:         56
        .size:           4
        .value_kind:     by_value
      - .offset:         64
        .size:           4
        .value_kind:     hidden_block_count_x
      - .offset:         68
        .size:           4
        .value_kind:     hidden_block_count_y
      - .offset:         72
        .size:           4
        .value_kind:     hidden_block_count_z
      - .offset:         76
        .size:           2
        .value_kind:     hidden_group_size_x
      - .offset:         78
        .size:           2
        .value_kind:     hidden_group_size_y
      - .offset:         80
        .size:           2
        .value_kind:     hidden_group_size_z
      - .offset:         82
        .size:           2
        .value_kind:     hidden_remainder_x
      - .offset:         84
        .size:           2
        .value_kind:     hidden_remainder_y
      - .offset:         86
        .size:           2
        .value_kind:     hidden_remainder_z
      - .offset:         104
        .size:           8
        .value_kind:     hidden_global_offset_x
      - .offset:         112
        .size:           8
        .value_kind:     hidden_global_offset_y
      - .offset:         120
        .size:           8
        .value_kind:     hidden_global_offset_z
      - .offset:         128
        .size:           2
        .value_kind:     hidden_grid_dims
    .group_segment_fixed_size: 0
    .kernarg_segment_align: 8
    .kernarg_segment_size: 320
    .language:       OpenCL C
    .language_version:
      - 2
      - 0
    .max_flat_workgroup_size: 1024
    .name:           _ZN9rocsolver6v33100L12restore_diagI19rocblas_complex_numIfEiS3_PS3_EEvPT1_llT2_lT0_lS8_
    .private_segment_fixed_size: 0
    .sgpr_count:     13
    .sgpr_spill_count: 0
    .symbol:         _ZN9rocsolver6v33100L12restore_diagI19rocblas_complex_numIfEiS3_PS3_EEvPT1_llT2_lT0_lS8_.kd
    .uniform_work_group_size: 1
    .uses_dynamic_stack: false
    .vgpr_count:     4
    .vgpr_spill_count: 0
    .wavefront_size: 32
  - .args:
      - .offset:         0
        .size:           4
        .value_kind:     by_value
      - .offset:         4
        .size:           4
        .value_kind:     by_value
      - .address_space:  global
        .offset:         8
        .size:           8
        .value_kind:     global_buffer
      - .offset:         16
        .size:           4
        .value_kind:     by_value
      - .offset:         20
        .size:           4
        .value_kind:     by_value
      - .offset:         24
        .size:           8
        .value_kind:     by_value
      - .offset:         32
        .size:           4
        .value_kind:     by_value
      - .offset:         40
        .size:           4
        .value_kind:     hidden_block_count_x
      - .offset:         44
        .size:           4
        .value_kind:     hidden_block_count_y
      - .offset:         48
        .size:           4
        .value_kind:     hidden_block_count_z
      - .offset:         52
        .size:           2
        .value_kind:     hidden_group_size_x
      - .offset:         54
        .size:           2
        .value_kind:     hidden_group_size_y
      - .offset:         56
        .size:           2
        .value_kind:     hidden_group_size_z
      - .offset:         58
        .size:           2
        .value_kind:     hidden_remainder_x
      - .offset:         60
        .size:           2
        .value_kind:     hidden_remainder_y
      - .offset:         62
        .size:           2
        .value_kind:     hidden_remainder_z
      - .offset:         80
        .size:           8
        .value_kind:     hidden_global_offset_x
      - .offset:         88
        .size:           8
        .value_kind:     hidden_global_offset_y
      - .offset:         96
        .size:           8
        .value_kind:     hidden_global_offset_z
      - .offset:         104
        .size:           2
        .value_kind:     hidden_grid_dims
    .group_segment_fixed_size: 0
    .kernarg_segment_align: 8
    .kernarg_segment_size: 296
    .language:       OpenCL C
    .language_version:
      - 2
      - 0
    .max_flat_workgroup_size: 1024
    .name:           _ZN9rocsolver6v33100L8set_zeroI19rocblas_complex_numIfEPS3_EEviiT0_iil13rocblas_fill_
    .private_segment_fixed_size: 0
    .sgpr_count:     14
    .sgpr_spill_count: 0
    .symbol:         _ZN9rocsolver6v33100L8set_zeroI19rocblas_complex_numIfEPS3_EEviiT0_iil13rocblas_fill_.kd
    .uniform_work_group_size: 1
    .uses_dynamic_stack: false
    .vgpr_count:     3
    .vgpr_spill_count: 0
    .wavefront_size: 32
  - .args:
      - .offset:         0
        .size:           4
        .value_kind:     by_value
      - .offset:         4
        .size:           4
        .value_kind:     by_value
      - .offset:         8
        .size:           4
        .value_kind:     by_value
      - .address_space:  global
        .offset:         16
        .size:           8
        .value_kind:     global_buffer
      - .offset:         24
        .size:           4
        .value_kind:     by_value
      - .offset:         28
        .size:           4
        .value_kind:     by_value
      - .offset:         32
        .size:           8
        .value_kind:     by_value
      - .offset:         40
        .size:           4
        .value_kind:     hidden_block_count_x
      - .offset:         44
        .size:           4
        .value_kind:     hidden_block_count_y
      - .offset:         48
        .size:           4
        .value_kind:     hidden_block_count_z
      - .offset:         52
        .size:           2
        .value_kind:     hidden_group_size_x
      - .offset:         54
        .size:           2
        .value_kind:     hidden_group_size_y
      - .offset:         56
        .size:           2
        .value_kind:     hidden_group_size_z
      - .offset:         58
        .size:           2
        .value_kind:     hidden_remainder_x
      - .offset:         60
        .size:           2
        .value_kind:     hidden_remainder_y
      - .offset:         62
        .size:           2
        .value_kind:     hidden_remainder_z
      - .offset:         80
        .size:           8
        .value_kind:     hidden_global_offset_x
      - .offset:         88
        .size:           8
        .value_kind:     hidden_global_offset_y
      - .offset:         96
        .size:           8
        .value_kind:     hidden_global_offset_z
      - .offset:         104
        .size:           2
        .value_kind:     hidden_grid_dims
    .group_segment_fixed_size: 0
    .kernarg_segment_align: 8
    .kernarg_segment_size: 296
    .language:       OpenCL C
    .language_version:
      - 2
      - 0
    .max_flat_workgroup_size: 1024
    .name:           _ZN9rocsolver6v33100L16org2r_init_identI19rocblas_complex_numIfEPS3_EEviiiT0_iil
    .private_segment_fixed_size: 0
    .sgpr_count:     14
    .sgpr_spill_count: 0
    .symbol:         _ZN9rocsolver6v33100L16org2r_init_identI19rocblas_complex_numIfEPS3_EEviiiT0_iil.kd
    .uniform_work_group_size: 1
    .uses_dynamic_stack: false
    .vgpr_count:     3
    .vgpr_spill_count: 0
    .wavefront_size: 32
  - .args:
      - .offset:         0
        .size:           4
        .value_kind:     by_value
      - .offset:         4
        .size:           4
        .value_kind:     by_value
      - .address_space:  global
        .offset:         8
        .size:           8
        .value_kind:     global_buffer
      - .offset:         16
        .size:           4
        .value_kind:     by_value
      - .offset:         20
        .size:           4
        .value_kind:     by_value
      - .offset:         24
        .size:           8
        .value_kind:     by_value
      - .address_space:  global
        .offset:         32
        .size:           8
        .value_kind:     global_buffer
      - .offset:         40
        .size:           8
        .value_kind:     by_value
    .group_segment_fixed_size: 0
    .kernarg_segment_align: 8
    .kernarg_segment_size: 48
    .language:       OpenCL C
    .language_version:
      - 2
      - 0
    .max_flat_workgroup_size: 1024
    .name:           _ZN9rocsolver6v33100L12subtract_tauI19rocblas_complex_numIfEPS3_EEviiT0_iilPT_l
    .private_segment_fixed_size: 0
    .sgpr_count:     16
    .sgpr_spill_count: 0
    .symbol:         _ZN9rocsolver6v33100L12subtract_tauI19rocblas_complex_numIfEPS3_EEviiT0_iilPT_l.kd
    .uniform_work_group_size: 1
    .uses_dynamic_stack: false
    .vgpr_count:     6
    .vgpr_spill_count: 0
    .wavefront_size: 32
  - .args:
      - .offset:         0
        .size:           4
        .value_kind:     by_value
      - .address_space:  global
        .offset:         8
        .size:           8
        .value_kind:     global_buffer
      - .offset:         16
        .size:           8
        .value_kind:     by_value
      - .offset:         24
        .size:           4
        .value_kind:     hidden_block_count_x
      - .offset:         28
        .size:           4
        .value_kind:     hidden_block_count_y
      - .offset:         32
        .size:           4
        .value_kind:     hidden_block_count_z
      - .offset:         36
        .size:           2
        .value_kind:     hidden_group_size_x
      - .offset:         38
        .size:           2
        .value_kind:     hidden_group_size_y
      - .offset:         40
        .size:           2
        .value_kind:     hidden_group_size_z
      - .offset:         42
        .size:           2
        .value_kind:     hidden_remainder_x
      - .offset:         44
        .size:           2
        .value_kind:     hidden_remainder_y
      - .offset:         46
        .size:           2
        .value_kind:     hidden_remainder_z
      - .offset:         64
        .size:           8
        .value_kind:     hidden_global_offset_x
      - .offset:         72
        .size:           8
        .value_kind:     hidden_global_offset_y
      - .offset:         80
        .size:           8
        .value_kind:     hidden_global_offset_z
      - .offset:         88
        .size:           2
        .value_kind:     hidden_grid_dims
    .group_segment_fixed_size: 0
    .kernarg_segment_align: 8
    .kernarg_segment_size: 280
    .language:       OpenCL C
    .language_version:
      - 2
      - 0
    .max_flat_workgroup_size: 1024
    .name:           _ZN9rocsolver6v33100L6restauI19rocblas_complex_numIfEEEviPT_l
    .private_segment_fixed_size: 0
    .sgpr_count:     10
    .sgpr_spill_count: 0
    .symbol:         _ZN9rocsolver6v33100L6restauI19rocblas_complex_numIfEEEviPT_l.kd
    .uniform_work_group_size: 1
    .uses_dynamic_stack: false
    .vgpr_count:     4
    .vgpr_spill_count: 0
    .wavefront_size: 32
  - .args:
      - .offset:         0
        .size:           1
        .value_kind:     by_value
      - .offset:         4
        .size:           4
        .value_kind:     by_value
      - .address_space:  global
        .offset:         8
        .size:           8
        .value_kind:     global_buffer
      - .offset:         16
        .size:           4
        .value_kind:     by_value
      - .offset:         20
        .size:           4
        .value_kind:     by_value
      - .offset:         24
        .size:           8
        .value_kind:     by_value
      - .address_space:  global
        .offset:         32
        .size:           8
        .value_kind:     global_buffer
      - .offset:         40
        .size:           4
        .value_kind:     by_value
      - .offset:         44
        .size:           4
        .value_kind:     by_value
      - .offset:         48
        .size:           8
        .value_kind:     by_value
      - .offset:         56
        .size:           4
        .value_kind:     hidden_block_count_x
      - .offset:         60
        .size:           4
        .value_kind:     hidden_block_count_y
      - .offset:         64
        .size:           4
        .value_kind:     hidden_block_count_z
      - .offset:         68
        .size:           2
        .value_kind:     hidden_group_size_x
      - .offset:         70
        .size:           2
        .value_kind:     hidden_group_size_y
      - .offset:         72
        .size:           2
        .value_kind:     hidden_group_size_z
      - .offset:         74
        .size:           2
        .value_kind:     hidden_remainder_x
      - .offset:         76
        .size:           2
        .value_kind:     hidden_remainder_y
      - .offset:         78
        .size:           2
        .value_kind:     hidden_remainder_z
      - .offset:         96
        .size:           8
        .value_kind:     hidden_global_offset_x
      - .offset:         104
        .size:           8
        .value_kind:     hidden_global_offset_y
      - .offset:         112
        .size:           8
        .value_kind:     hidden_global_offset_z
      - .offset:         120
        .size:           2
        .value_kind:     hidden_grid_dims
    .group_segment_fixed_size: 0
    .kernarg_segment_align: 8
    .kernarg_segment_size: 312
    .language:       OpenCL C
    .language_version:
      - 2
      - 0
    .max_flat_workgroup_size: 1024
    .name:           _ZN9rocsolver6v33100L15copyshift_rightI19rocblas_complex_numIfEPS3_EEvbiT0_iilPT_iil
    .private_segment_fixed_size: 0
    .sgpr_count:     26
    .sgpr_spill_count: 0
    .symbol:         _ZN9rocsolver6v33100L15copyshift_rightI19rocblas_complex_numIfEPS3_EEvbiT0_iilPT_iil.kd
    .uniform_work_group_size: 1
    .uses_dynamic_stack: false
    .vgpr_count:     8
    .vgpr_spill_count: 0
    .wavefront_size: 32
  - .args:
      - .offset:         0
        .size:           4
        .value_kind:     by_value
      - .offset:         4
        .size:           4
        .value_kind:     by_value
      - .offset:         8
        .size:           4
        .value_kind:     by_value
      - .address_space:  global
        .offset:         16
        .size:           8
        .value_kind:     global_buffer
      - .offset:         24
        .size:           4
        .value_kind:     by_value
      - .offset:         28
        .size:           4
        .value_kind:     by_value
      - .offset:         32
        .size:           8
        .value_kind:     by_value
      - .offset:         40
        .size:           4
        .value_kind:     hidden_block_count_x
      - .offset:         44
        .size:           4
        .value_kind:     hidden_block_count_y
      - .offset:         48
        .size:           4
        .value_kind:     hidden_block_count_z
      - .offset:         52
        .size:           2
        .value_kind:     hidden_group_size_x
      - .offset:         54
        .size:           2
        .value_kind:     hidden_group_size_y
      - .offset:         56
        .size:           2
        .value_kind:     hidden_group_size_z
      - .offset:         58
        .size:           2
        .value_kind:     hidden_remainder_x
      - .offset:         60
        .size:           2
        .value_kind:     hidden_remainder_y
      - .offset:         62
        .size:           2
        .value_kind:     hidden_remainder_z
      - .offset:         80
        .size:           8
        .value_kind:     hidden_global_offset_x
      - .offset:         88
        .size:           8
        .value_kind:     hidden_global_offset_y
      - .offset:         96
        .size:           8
        .value_kind:     hidden_global_offset_z
      - .offset:         104
        .size:           2
        .value_kind:     hidden_grid_dims
    .group_segment_fixed_size: 0
    .kernarg_segment_align: 8
    .kernarg_segment_size: 296
    .language:       OpenCL C
    .language_version:
      - 2
      - 0
    .max_flat_workgroup_size: 1024
    .name:           _ZN9rocsolver6v33100L16orgl2_init_identI19rocblas_complex_numIfEPS3_EEviiiT0_iil
    .private_segment_fixed_size: 0
    .sgpr_count:     14
    .sgpr_spill_count: 0
    .symbol:         _ZN9rocsolver6v33100L16orgl2_init_identI19rocblas_complex_numIfEPS3_EEviiiT0_iil.kd
    .uniform_work_group_size: 1
    .uses_dynamic_stack: false
    .vgpr_count:     3
    .vgpr_spill_count: 0
    .wavefront_size: 32
  - .args:
      - .offset:         0
        .size:           1
        .value_kind:     by_value
      - .offset:         4
        .size:           4
        .value_kind:     by_value
      - .address_space:  global
        .offset:         8
        .size:           8
        .value_kind:     global_buffer
      - .offset:         16
        .size:           4
        .value_kind:     by_value
      - .offset:         20
        .size:           4
        .value_kind:     by_value
      - .offset:         24
        .size:           8
        .value_kind:     by_value
      - .address_space:  global
        .offset:         32
        .size:           8
        .value_kind:     global_buffer
      - .offset:         40
        .size:           4
        .value_kind:     by_value
      - .offset:         44
        .size:           4
        .value_kind:     by_value
      - .offset:         48
        .size:           8
        .value_kind:     by_value
      - .offset:         56
        .size:           4
        .value_kind:     hidden_block_count_x
      - .offset:         60
        .size:           4
        .value_kind:     hidden_block_count_y
      - .offset:         64
        .size:           4
        .value_kind:     hidden_block_count_z
      - .offset:         68
        .size:           2
        .value_kind:     hidden_group_size_x
      - .offset:         70
        .size:           2
        .value_kind:     hidden_group_size_y
      - .offset:         72
        .size:           2
        .value_kind:     hidden_group_size_z
      - .offset:         74
        .size:           2
        .value_kind:     hidden_remainder_x
      - .offset:         76
        .size:           2
        .value_kind:     hidden_remainder_y
      - .offset:         78
        .size:           2
        .value_kind:     hidden_remainder_z
      - .offset:         96
        .size:           8
        .value_kind:     hidden_global_offset_x
      - .offset:         104
        .size:           8
        .value_kind:     hidden_global_offset_y
      - .offset:         112
        .size:           8
        .value_kind:     hidden_global_offset_z
      - .offset:         120
        .size:           2
        .value_kind:     hidden_grid_dims
    .group_segment_fixed_size: 0
    .kernarg_segment_align: 8
    .kernarg_segment_size: 312
    .language:       OpenCL C
    .language_version:
      - 2
      - 0
    .max_flat_workgroup_size: 1024
    .name:           _ZN9rocsolver6v33100L14copyshift_downI19rocblas_complex_numIfEPS3_EEvbiT0_iilPT_iil
    .private_segment_fixed_size: 0
    .sgpr_count:     26
    .sgpr_spill_count: 0
    .symbol:         _ZN9rocsolver6v33100L14copyshift_downI19rocblas_complex_numIfEPS3_EEvbiT0_iilPT_iil.kd
    .uniform_work_group_size: 1
    .uses_dynamic_stack: false
    .vgpr_count:     8
    .vgpr_spill_count: 0
    .wavefront_size: 32
  - .args:
      - .offset:         0
        .size:           4
        .value_kind:     by_value
      - .address_space:  global
        .offset:         8
        .size:           8
        .value_kind:     global_buffer
      - .offset:         16
        .size:           8
        .value_kind:     by_value
      - .address_space:  global
        .offset:         24
        .size:           8
        .value_kind:     global_buffer
      - .offset:         32
        .size:           8
        .value_kind:     by_value
      - .address_space:  global
        .offset:         40
        .size:           8
        .value_kind:     global_buffer
      - .offset:         48
        .size:           4
        .value_kind:     by_value
      - .offset:         52
        .size:           4
        .value_kind:     by_value
      - .offset:         56
        .size:           4
        .value_kind:     by_value
      - .address_space:  global
        .offset:         64
        .size:           8
        .value_kind:     global_buffer
      - .address_space:  global
        .offset:         72
        .size:           8
        .value_kind:     global_buffer
      - .offset:         80
        .size:           8
        .value_kind:     by_value
      - .address_space:  global
        .offset:         88
        .size:           8
        .value_kind:     global_buffer
    .group_segment_fixed_size: 0
    .kernarg_segment_align: 8
    .kernarg_segment_size: 96
    .language:       OpenCL C
    .language_version:
      - 2
      - 0
    .max_flat_workgroup_size: 1024
    .name:           _ZN9rocsolver6v33100L10bdsqr_initI19rocblas_complex_numIfEfEEviPT0_lS5_lPiiS4_S4_S6_S5_lS6_
    .private_segment_fixed_size: 0
    .sgpr_count:     38
    .sgpr_spill_count: 0
    .symbol:         _ZN9rocsolver6v33100L10bdsqr_initI19rocblas_complex_numIfEfEEviPT0_lS5_lPiiS4_S4_S6_S5_lS6_.kd
    .uniform_work_group_size: 1
    .uses_dynamic_stack: false
    .vgpr_count:     10
    .vgpr_spill_count: 0
    .wavefront_size: 32
  - .args:
      - .offset:         0
        .size:           4
        .value_kind:     by_value
      - .address_space:  global
        .offset:         8
        .size:           8
        .value_kind:     global_buffer
      - .offset:         16
        .size:           4
        .value_kind:     by_value
      - .address_space:  global
        .offset:         24
        .size:           8
        .value_kind:     global_buffer
      - .offset:         32
        .size:           4
        .value_kind:     by_value
      - .offset:         40
        .size:           4
        .value_kind:     hidden_block_count_x
      - .offset:         44
        .size:           4
        .value_kind:     hidden_block_count_y
      - .offset:         48
        .size:           4
        .value_kind:     hidden_block_count_z
      - .offset:         52
        .size:           2
        .value_kind:     hidden_group_size_x
      - .offset:         54
        .size:           2
        .value_kind:     hidden_group_size_y
      - .offset:         56
        .size:           2
        .value_kind:     hidden_group_size_z
      - .offset:         58
        .size:           2
        .value_kind:     hidden_remainder_x
      - .offset:         60
        .size:           2
        .value_kind:     hidden_remainder_y
      - .offset:         62
        .size:           2
        .value_kind:     hidden_remainder_z
      - .offset:         80
        .size:           8
        .value_kind:     hidden_global_offset_x
      - .offset:         88
        .size:           8
        .value_kind:     hidden_global_offset_y
      - .offset:         96
        .size:           8
        .value_kind:     hidden_global_offset_z
      - .offset:         104
        .size:           2
        .value_kind:     hidden_grid_dims
    .group_segment_fixed_size: 0
    .kernarg_segment_align: 8
    .kernarg_segment_size: 296
    .language:       OpenCL C
    .language_version:
      - 2
      - 0
    .max_flat_workgroup_size: 1024
    .name:           _ZN9rocsolver6v33100L11swap_kernelI19rocblas_complex_numIfEiEEvT0_PT_S4_S6_S4_
    .private_segment_fixed_size: 0
    .sgpr_count:     18
    .sgpr_spill_count: 0
    .symbol:         _ZN9rocsolver6v33100L11swap_kernelI19rocblas_complex_numIfEiEEvT0_PT_S4_S6_S4_.kd
    .uniform_work_group_size: 1
    .uses_dynamic_stack: false
    .vgpr_count:     12
    .vgpr_spill_count: 0
    .wavefront_size: 32
  - .args:
      - .offset:         0
        .size:           4
        .value_kind:     by_value
      - .address_space:  global
        .offset:         8
        .size:           8
        .value_kind:     global_buffer
      - .offset:         16
        .size:           4
        .value_kind:     by_value
      - .address_space:  global
        .offset:         24
        .size:           8
        .value_kind:     global_buffer
      - .offset:         32
        .size:           4
        .value_kind:     by_value
      - .offset:         36
        .size:           4
        .value_kind:     by_value
      - .offset:         40
        .size:           4
        .value_kind:     by_value
      - .offset:         48
        .size:           4
        .value_kind:     hidden_block_count_x
      - .offset:         52
        .size:           4
        .value_kind:     hidden_block_count_y
      - .offset:         56
        .size:           4
        .value_kind:     hidden_block_count_z
      - .offset:         60
        .size:           2
        .value_kind:     hidden_group_size_x
      - .offset:         62
        .size:           2
        .value_kind:     hidden_group_size_y
      - .offset:         64
        .size:           2
        .value_kind:     hidden_group_size_z
      - .offset:         66
        .size:           2
        .value_kind:     hidden_remainder_x
      - .offset:         68
        .size:           2
        .value_kind:     hidden_remainder_y
      - .offset:         70
        .size:           2
        .value_kind:     hidden_remainder_z
      - .offset:         88
        .size:           8
        .value_kind:     hidden_global_offset_x
      - .offset:         96
        .size:           8
        .value_kind:     hidden_global_offset_y
      - .offset:         104
        .size:           8
        .value_kind:     hidden_global_offset_z
      - .offset:         112
        .size:           2
        .value_kind:     hidden_grid_dims
    .group_segment_fixed_size: 0
    .kernarg_segment_align: 8
    .kernarg_segment_size: 304
    .language:       OpenCL C
    .language_version:
      - 2
      - 0
    .max_flat_workgroup_size: 1024
    .name:           _ZN9rocsolver6v33100L10rot_kernelIf19rocblas_complex_numIfEiEEvT1_PT0_S4_S6_S4_T_S7_
    .private_segment_fixed_size: 0
    .sgpr_count:     22
    .sgpr_spill_count: 0
    .symbol:         _ZN9rocsolver6v33100L10rot_kernelIf19rocblas_complex_numIfEiEEvT1_PT0_S4_S6_S4_T_S7_.kd
    .uniform_work_group_size: 1
    .uses_dynamic_stack: false
    .vgpr_count:     20
    .vgpr_spill_count: 0
    .wavefront_size: 32
  - .args:
      - .offset:         0
        .size:           4
        .value_kind:     by_value
      - .offset:         4
        .size:           4
        .value_kind:     by_value
      - .offset:         8
        .size:           4
        .value_kind:     by_value
      - .offset:         12
        .size:           4
        .value_kind:     by_value
      - .offset:         16
        .size:           4
        .value_kind:     by_value
      - .address_space:  global
        .offset:         24
        .size:           8
        .value_kind:     global_buffer
      - .offset:         32
        .size:           8
        .value_kind:     by_value
      - .address_space:  global
        .offset:         40
        .size:           8
        .value_kind:     global_buffer
      - .offset:         48
        .size:           8
        .value_kind:     by_value
      - .address_space:  global
        .offset:         56
        .size:           8
        .value_kind:     global_buffer
      - .offset:         64
        .size:           8
        .value_kind:     by_value
      - .offset:         72
        .size:           4
        .value_kind:     by_value
      - .offset:         80
        .size:           8
        .value_kind:     by_value
      - .offset:         88
        .size:           4
        .value_kind:     by_value
      - .offset:         96
        .size:           4
        .value_kind:     hidden_block_count_x
      - .offset:         100
        .size:           4
        .value_kind:     hidden_block_count_y
      - .offset:         104
        .size:           4
        .value_kind:     hidden_block_count_z
      - .offset:         108
        .size:           2
        .value_kind:     hidden_group_size_x
      - .offset:         110
        .size:           2
        .value_kind:     hidden_group_size_y
      - .offset:         112
        .size:           2
        .value_kind:     hidden_group_size_z
      - .offset:         114
        .size:           2
        .value_kind:     hidden_remainder_x
      - .offset:         116
        .size:           2
        .value_kind:     hidden_remainder_y
      - .offset:         118
        .size:           2
        .value_kind:     hidden_remainder_z
      - .offset:         136
        .size:           8
        .value_kind:     hidden_global_offset_x
      - .offset:         144
        .size:           8
        .value_kind:     hidden_global_offset_y
      - .offset:         152
        .size:           8
        .value_kind:     hidden_global_offset_z
      - .offset:         160
        .size:           2
        .value_kind:     hidden_grid_dims
    .group_segment_fixed_size: 0
    .kernarg_segment_align: 8
    .kernarg_segment_size: 352
    .language:       OpenCL C
    .language_version:
      - 2
      - 0
    .max_flat_workgroup_size: 64
    .name:           _ZN9rocsolver6v33100L11lasr_kernelI19rocblas_complex_numIfEfPS3_iEEv13rocblas_side_14rocblas_pivot_15rocblas_direct_T2_S8_PT0_lSA_lT1_lS8_lS8_
    .private_segment_fixed_size: 0
    .sgpr_count:     93
    .sgpr_spill_count: 0
    .symbol:         _ZN9rocsolver6v33100L11lasr_kernelI19rocblas_complex_numIfEfPS3_iEEv13rocblas_side_14rocblas_pivot_15rocblas_direct_T2_S8_PT0_lSA_lT1_lS8_lS8_.kd
    .uniform_work_group_size: 1
    .uses_dynamic_stack: false
    .vgpr_count:     44
    .vgpr_spill_count: 0
    .wavefront_size: 32
  - .args:
      - .offset:         0
        .size:           4
        .value_kind:     by_value
      - .offset:         4
        .size:           4
        .value_kind:     by_value
      - .address_space:  global
        .offset:         8
        .size:           8
        .value_kind:     global_buffer
      - .offset:         16
        .size:           4
        .value_kind:     by_value
      - .offset:         24
        .size:           4
        .value_kind:     hidden_block_count_x
      - .offset:         28
        .size:           4
        .value_kind:     hidden_block_count_y
      - .offset:         32
        .size:           4
        .value_kind:     hidden_block_count_z
      - .offset:         36
        .size:           2
        .value_kind:     hidden_group_size_x
      - .offset:         38
        .size:           2
        .value_kind:     hidden_group_size_y
      - .offset:         40
        .size:           2
        .value_kind:     hidden_group_size_z
      - .offset:         42
        .size:           2
        .value_kind:     hidden_remainder_x
      - .offset:         44
        .size:           2
        .value_kind:     hidden_remainder_y
      - .offset:         46
        .size:           2
        .value_kind:     hidden_remainder_z
      - .offset:         64
        .size:           8
        .value_kind:     hidden_global_offset_x
      - .offset:         72
        .size:           8
        .value_kind:     hidden_global_offset_y
      - .offset:         80
        .size:           8
        .value_kind:     hidden_global_offset_z
      - .offset:         88
        .size:           2
        .value_kind:     hidden_grid_dims
    .group_segment_fixed_size: 0
    .kernarg_segment_align: 8
    .kernarg_segment_size: 280
    .language:       OpenCL C
    .language_version:
      - 2
      - 0
    .max_flat_workgroup_size: 1024
    .name:           _ZN9rocsolver6v33100L11scal_kernelIf19rocblas_complex_numIfEiEEvT1_T_PT0_S4_
    .private_segment_fixed_size: 0
    .sgpr_count:     14
    .sgpr_spill_count: 0
    .symbol:         _ZN9rocsolver6v33100L11scal_kernelIf19rocblas_complex_numIfEiEEvT1_T_PT0_S4_.kd
    .uniform_work_group_size: 1
    .uses_dynamic_stack: false
    .vgpr_count:     8
    .vgpr_spill_count: 0
    .wavefront_size: 32
  - .args:
      - .offset:         0
        .size:           4
        .value_kind:     by_value
      - .offset:         4
        .size:           4
        .value_kind:     by_value
      - .offset:         8
        .size:           4
        .value_kind:     by_value
      - .address_space:  global
        .offset:         16
        .size:           8
        .value_kind:     global_buffer
      - .offset:         24
        .size:           8
        .value_kind:     by_value
      - .address_space:  global
        .offset:         32
        .size:           8
        .value_kind:     global_buffer
      - .offset:         40
        .size:           8
        .value_kind:     by_value
      - .address_space:  global
        .offset:         48
        .size:           8
        .value_kind:     global_buffer
      - .offset:         56
        .size:           4
        .value_kind:     by_value
      - .offset:         60
        .size:           4
        .value_kind:     by_value
      - .offset:         64
        .size:           8
        .value_kind:     by_value
      - .address_space:  global
        .offset:         72
        .size:           8
        .value_kind:     global_buffer
      - .offset:         80
        .size:           4
        .value_kind:     by_value
      - .offset:         84
        .size:           4
        .value_kind:     by_value
      - .offset:         88
        .size:           8
        .value_kind:     by_value
      - .address_space:  global
        .offset:         96
        .size:           8
        .value_kind:     global_buffer
      - .address_space:  global
        .offset:         104
        .size:           8
        .value_kind:     global_buffer
      - .offset:         112
        .size:           8
        .value_kind:     by_value
      - .address_space:  global
        .offset:         120
        .size:           8
        .value_kind:     global_buffer
      - .offset:         128
        .size:           4
        .value_kind:     hidden_block_count_x
      - .offset:         132
        .size:           4
        .value_kind:     hidden_block_count_y
      - .offset:         136
        .size:           4
        .value_kind:     hidden_block_count_z
      - .offset:         140
        .size:           2
        .value_kind:     hidden_group_size_x
      - .offset:         142
        .size:           2
        .value_kind:     hidden_group_size_y
      - .offset:         144
        .size:           2
        .value_kind:     hidden_group_size_z
      - .offset:         146
        .size:           2
        .value_kind:     hidden_remainder_x
      - .offset:         148
        .size:           2
        .value_kind:     hidden_remainder_y
      - .offset:         150
        .size:           2
        .value_kind:     hidden_remainder_z
      - .offset:         168
        .size:           8
        .value_kind:     hidden_global_offset_x
      - .offset:         176
        .size:           8
        .value_kind:     hidden_global_offset_y
      - .offset:         184
        .size:           8
        .value_kind:     hidden_global_offset_z
      - .offset:         192
        .size:           2
        .value_kind:     hidden_grid_dims
    .group_segment_fixed_size: 0
    .kernarg_segment_align: 8
    .kernarg_segment_size: 384
    .language:       OpenCL C
    .language_version:
      - 2
      - 0
    .max_flat_workgroup_size: 1024
    .name:           _ZN9rocsolver6v33100L17bdsqr_lower2upperI19rocblas_complex_numIfEfPS3_S4_EEviiiPT0_lS6_lT1_iilT2_iilPiS6_lS9_
    .private_segment_fixed_size: 0
    .sgpr_count:     39
    .sgpr_spill_count: 0
    .symbol:         _ZN9rocsolver6v33100L17bdsqr_lower2upperI19rocblas_complex_numIfEfPS3_S4_EEviiiPT0_lS6_lT1_iilT2_iilPiS6_lS9_.kd
    .uniform_work_group_size: 1
    .uses_dynamic_stack: false
    .vgpr_count:     20
    .vgpr_spill_count: 0
    .wavefront_size: 32
  - .args:
      - .offset:         0
        .size:           4
        .value_kind:     by_value
      - .offset:         4
        .size:           4
        .value_kind:     by_value
      - .offset:         8
        .size:           4
        .value_kind:     by_value
      - .offset:         12
        .size:           4
        .value_kind:     by_value
      - .address_space:  global
        .offset:         16
        .size:           8
        .value_kind:     global_buffer
      - .offset:         24
        .size:           8
        .value_kind:     by_value
      - .address_space:  global
        .offset:         32
        .size:           8
        .value_kind:     global_buffer
      - .offset:         40
        .size:           8
        .value_kind:     by_value
      - .address_space:  global
        .offset:         48
        .size:           8
        .value_kind:     global_buffer
      - .offset:         56
        .size:           4
        .value_kind:     by_value
      - .offset:         60
        .size:           4
        .value_kind:     by_value
      - .offset:         64
        .size:           8
        .value_kind:     by_value
      - .address_space:  global
        .offset:         72
        .size:           8
        .value_kind:     global_buffer
      - .offset:         80
        .size:           4
        .value_kind:     by_value
      - .offset:         84
        .size:           4
        .value_kind:     by_value
      - .offset:         88
        .size:           8
        .value_kind:     by_value
      - .address_space:  global
        .offset:         96
        .size:           8
        .value_kind:     global_buffer
      - .offset:         104
        .size:           4
        .value_kind:     by_value
      - .offset:         108
        .size:           4
        .value_kind:     by_value
      - .offset:         112
        .size:           8
        .value_kind:     by_value
      - .offset:         120
        .size:           4
        .value_kind:     by_value
      - .offset:         124
        .size:           4
        .value_kind:     by_value
      - .offset:         128
        .size:           4
        .value_kind:     by_value
      - .offset:         132
        .size:           4
        .value_kind:     by_value
      - .offset:         136
        .size:           4
        .value_kind:     by_value
      - .address_space:  global
        .offset:         144
        .size:           8
        .value_kind:     global_buffer
      - .address_space:  global
        .offset:         152
        .size:           8
        .value_kind:     global_buffer
      - .offset:         160
        .size:           4
        .value_kind:     by_value
      - .offset:         168
        .size:           8
        .value_kind:     by_value
      - .address_space:  global
        .offset:         176
        .size:           8
        .value_kind:     global_buffer
      - .offset:         184
        .size:           4
        .value_kind:     hidden_block_count_x
      - .offset:         188
        .size:           4
        .value_kind:     hidden_block_count_y
      - .offset:         192
        .size:           4
        .value_kind:     hidden_block_count_z
      - .offset:         196
        .size:           2
        .value_kind:     hidden_group_size_x
      - .offset:         198
        .size:           2
        .value_kind:     hidden_group_size_y
      - .offset:         200
        .size:           2
        .value_kind:     hidden_group_size_z
      - .offset:         202
        .size:           2
        .value_kind:     hidden_remainder_x
      - .offset:         204
        .size:           2
        .value_kind:     hidden_remainder_y
      - .offset:         206
        .size:           2
        .value_kind:     hidden_remainder_z
      - .offset:         224
        .size:           8
        .value_kind:     hidden_global_offset_x
      - .offset:         232
        .size:           8
        .value_kind:     hidden_global_offset_y
      - .offset:         240
        .size:           8
        .value_kind:     hidden_global_offset_z
      - .offset:         248
        .size:           2
        .value_kind:     hidden_grid_dims
    .group_segment_fixed_size: 1040
    .kernarg_segment_align: 8
    .kernarg_segment_size: 440
    .language:       OpenCL C
    .language_version:
      - 2
      - 0
    .max_flat_workgroup_size: 1024
    .name:           _ZN9rocsolver6v33100L13bdsqr_computeILi256E19rocblas_complex_numIfEfPS3_S4_S4_EEviiiiPT1_lS6_lT2_iilT3_iilT4_iiliS5_S5_S5_S5_PiS6_ilSA_
    .private_segment_fixed_size: 0
    .sgpr_count:     107
    .sgpr_spill_count: 9
    .symbol:         _ZN9rocsolver6v33100L13bdsqr_computeILi256E19rocblas_complex_numIfEfPS3_S4_S4_EEviiiiPT1_lS6_lT2_iilT3_iilT4_iiliS5_S5_S5_S5_PiS6_ilSA_.kd
    .uniform_work_group_size: 1
    .uses_dynamic_stack: false
    .vgpr_count:     33
    .vgpr_spill_count: 0
    .wavefront_size: 32
  - .args:
      - .offset:         0
        .size:           4
        .value_kind:     by_value
      - .offset:         4
        .size:           4
        .value_kind:     by_value
      - .offset:         8
        .size:           4
        .value_kind:     by_value
      - .offset:         12
        .size:           4
        .value_kind:     by_value
      - .address_space:  global
        .offset:         16
        .size:           8
        .value_kind:     global_buffer
      - .offset:         24
        .size:           4
        .value_kind:     by_value
      - .offset:         28
        .size:           4
        .value_kind:     by_value
      - .offset:         32
        .size:           8
        .value_kind:     by_value
      - .address_space:  global
        .offset:         40
        .size:           8
        .value_kind:     global_buffer
      - .offset:         48
        .size:           4
        .value_kind:     by_value
      - .offset:         52
        .size:           4
        .value_kind:     by_value
      - .offset:         56
        .size:           8
        .value_kind:     by_value
      - .address_space:  global
        .offset:         64
        .size:           8
        .value_kind:     global_buffer
      - .offset:         72
        .size:           4
        .value_kind:     by_value
      - .offset:         76
        .size:           4
        .value_kind:     by_value
      - .offset:         80
        .size:           8
        .value_kind:     by_value
      - .offset:         88
        .size:           4
        .value_kind:     by_value
      - .address_space:  global
        .offset:         96
        .size:           8
        .value_kind:     global_buffer
      - .address_space:  global
        .offset:         104
        .size:           8
        .value_kind:     global_buffer
      - .offset:         112
        .size:           4
        .value_kind:     by_value
      - .offset:         120
        .size:           8
        .value_kind:     by_value
      - .address_space:  global
        .offset:         128
        .size:           8
        .value_kind:     global_buffer
      - .offset:         136
        .size:           4
        .value_kind:     hidden_block_count_x
      - .offset:         140
        .size:           4
        .value_kind:     hidden_block_count_y
      - .offset:         144
        .size:           4
        .value_kind:     hidden_block_count_z
      - .offset:         148
        .size:           2
        .value_kind:     hidden_group_size_x
      - .offset:         150
        .size:           2
        .value_kind:     hidden_group_size_y
      - .offset:         152
        .size:           2
        .value_kind:     hidden_group_size_z
      - .offset:         154
        .size:           2
        .value_kind:     hidden_remainder_x
      - .offset:         156
        .size:           2
        .value_kind:     hidden_remainder_y
      - .offset:         158
        .size:           2
        .value_kind:     hidden_remainder_z
      - .offset:         176
        .size:           8
        .value_kind:     hidden_global_offset_x
      - .offset:         184
        .size:           8
        .value_kind:     hidden_global_offset_y
      - .offset:         192
        .size:           8
        .value_kind:     hidden_global_offset_z
      - .offset:         200
        .size:           2
        .value_kind:     hidden_grid_dims
    .group_segment_fixed_size: 0
    .kernarg_segment_align: 8
    .kernarg_segment_size: 392
    .language:       OpenCL C
    .language_version:
      - 2
      - 0
    .max_flat_workgroup_size: 1024
    .name:           _ZN9rocsolver6v33100L12bdsqr_rotateI19rocblas_complex_numIfEfPS3_S4_S4_EEviiiiT1_iilT2_iilT3_iiliPiPT0_ilS8_
    .private_segment_fixed_size: 0
    .sgpr_count:     46
    .sgpr_spill_count: 0
    .symbol:         _ZN9rocsolver6v33100L12bdsqr_rotateI19rocblas_complex_numIfEfPS3_S4_S4_EEviiiiT1_iilT2_iilT3_iiliPiPT0_ilS8_.kd
    .uniform_work_group_size: 1
    .uses_dynamic_stack: false
    .vgpr_count:     20
    .vgpr_spill_count: 0
    .wavefront_size: 32
  - .args:
      - .offset:         0
        .size:           4
        .value_kind:     by_value
      - .address_space:  global
        .offset:         8
        .size:           8
        .value_kind:     global_buffer
      - .offset:         16
        .size:           8
        .value_kind:     by_value
      - .address_space:  global
        .offset:         24
        .size:           8
        .value_kind:     global_buffer
      - .address_space:  global
        .offset:         32
        .size:           8
        .value_kind:     global_buffer
      - .offset:         40
        .size:           8
        .value_kind:     by_value
      - .address_space:  global
        .offset:         48
        .size:           8
        .value_kind:     global_buffer
      - .offset:         56
        .size:           4
        .value_kind:     hidden_block_count_x
      - .offset:         60
        .size:           4
        .value_kind:     hidden_block_count_y
      - .offset:         64
        .size:           4
        .value_kind:     hidden_block_count_z
      - .offset:         68
        .size:           2
        .value_kind:     hidden_group_size_x
      - .offset:         70
        .size:           2
        .value_kind:     hidden_group_size_y
      - .offset:         72
        .size:           2
        .value_kind:     hidden_group_size_z
      - .offset:         74
        .size:           2
        .value_kind:     hidden_remainder_x
      - .offset:         76
        .size:           2
        .value_kind:     hidden_remainder_y
      - .offset:         78
        .size:           2
        .value_kind:     hidden_remainder_z
      - .offset:         96
        .size:           8
        .value_kind:     hidden_global_offset_x
      - .offset:         104
        .size:           8
        .value_kind:     hidden_global_offset_y
      - .offset:         112
        .size:           8
        .value_kind:     hidden_global_offset_z
      - .offset:         120
        .size:           2
        .value_kind:     hidden_grid_dims
    .group_segment_fixed_size: 0
    .kernarg_segment_align: 8
    .kernarg_segment_size: 312
    .language:       OpenCL C
    .language_version:
      - 2
      - 0
    .max_flat_workgroup_size: 1024
    .name:           _ZN9rocsolver6v33100L22bdsqr_update_endpointsI19rocblas_complex_numIfEfEEviPT0_lPiS5_lS6_
    .private_segment_fixed_size: 0
    .sgpr_count:     26
    .sgpr_spill_count: 0
    .symbol:         _ZN9rocsolver6v33100L22bdsqr_update_endpointsI19rocblas_complex_numIfEfEEviPT0_lPiS5_lS6_.kd
    .uniform_work_group_size: 1
    .uses_dynamic_stack: false
    .vgpr_count:     8
    .vgpr_spill_count: 0
    .wavefront_size: 32
  - .args:
      - .offset:         0
        .size:           4
        .value_kind:     by_value
      - .offset:         4
        .size:           4
        .value_kind:     by_value
      - .address_space:  global
        .offset:         8
        .size:           8
        .value_kind:     global_buffer
      - .address_space:  global
        .offset:         16
        .size:           8
        .value_kind:     global_buffer
      - .offset:         24
        .size:           8
        .value_kind:     by_value
      - .address_space:  global
        .offset:         32
        .size:           8
        .value_kind:     global_buffer
    .group_segment_fixed_size: 0
    .kernarg_segment_align: 8
    .kernarg_segment_size: 40
    .language:       OpenCL C
    .language_version:
      - 2
      - 0
    .max_flat_workgroup_size: 1024
    .name:           _ZN9rocsolver6v33100L19bdsqr_chk_completedI19rocblas_complex_numIfEfEEviiPiPT0_lS4_
    .private_segment_fixed_size: 0
    .sgpr_count:     18
    .sgpr_spill_count: 0
    .symbol:         _ZN9rocsolver6v33100L19bdsqr_chk_completedI19rocblas_complex_numIfEfEEviiPiPT0_lS4_.kd
    .uniform_work_group_size: 1
    .uses_dynamic_stack: false
    .vgpr_count:     4
    .vgpr_spill_count: 0
    .wavefront_size: 32
  - .args:
      - .offset:         0
        .size:           4
        .value_kind:     by_value
      - .offset:         4
        .size:           4
        .value_kind:     by_value
      - .offset:         8
        .size:           4
        .value_kind:     by_value
      - .offset:         12
        .size:           4
        .value_kind:     by_value
      - .address_space:  global
        .offset:         16
        .size:           8
        .value_kind:     global_buffer
      - .offset:         24
        .size:           8
        .value_kind:     by_value
      - .address_space:  global
        .offset:         32
        .size:           8
        .value_kind:     global_buffer
      - .offset:         40
        .size:           8
        .value_kind:     by_value
      - .address_space:  global
        .offset:         48
        .size:           8
        .value_kind:     global_buffer
      - .offset:         56
        .size:           4
        .value_kind:     by_value
      - .offset:         60
        .size:           4
        .value_kind:     by_value
      - .offset:         64
        .size:           8
        .value_kind:     by_value
      - .address_space:  global
        .offset:         72
        .size:           8
        .value_kind:     global_buffer
      - .offset:         80
        .size:           4
        .value_kind:     by_value
      - .offset:         84
        .size:           4
        .value_kind:     by_value
      - .offset:         88
        .size:           8
        .value_kind:     by_value
      - .address_space:  global
        .offset:         96
        .size:           8
        .value_kind:     global_buffer
      - .offset:         104
        .size:           4
        .value_kind:     by_value
      - .offset:         108
        .size:           4
        .value_kind:     by_value
      - .offset:         112
        .size:           8
        .value_kind:     by_value
      - .address_space:  global
        .offset:         120
        .size:           8
        .value_kind:     global_buffer
      - .address_space:  global
        .offset:         128
        .size:           8
        .value_kind:     global_buffer
      - .address_space:  global
        .offset:         136
        .size:           8
        .value_kind:     global_buffer
      - .offset:         144
        .size:           4
        .value_kind:     hidden_block_count_x
      - .offset:         148
        .size:           4
        .value_kind:     hidden_block_count_y
      - .offset:         152
        .size:           4
        .value_kind:     hidden_block_count_z
      - .offset:         156
        .size:           2
        .value_kind:     hidden_group_size_x
      - .offset:         158
        .size:           2
        .value_kind:     hidden_group_size_y
      - .offset:         160
        .size:           2
        .value_kind:     hidden_group_size_z
      - .offset:         162
        .size:           2
        .value_kind:     hidden_remainder_x
      - .offset:         164
        .size:           2
        .value_kind:     hidden_remainder_y
      - .offset:         166
        .size:           2
        .value_kind:     hidden_remainder_z
      - .offset:         184
        .size:           8
        .value_kind:     hidden_global_offset_x
      - .offset:         192
        .size:           8
        .value_kind:     hidden_global_offset_y
      - .offset:         200
        .size:           8
        .value_kind:     hidden_global_offset_z
      - .offset:         208
        .size:           2
        .value_kind:     hidden_grid_dims
      - .offset:         224
        .size:           8
        .value_kind:     hidden_hostcall_buffer
    .group_segment_fixed_size: 0
    .kernarg_segment_align: 8
    .kernarg_segment_size: 400
    .language:       OpenCL C
    .language_version:
      - 2
      - 0
    .max_flat_workgroup_size: 1024
    .name:           _ZN9rocsolver6v33100L14bdsqr_finalizeI19rocblas_complex_numIfEfPS3_S4_S4_EEviiiiPT0_lS6_lT1_iilT2_iilT3_iilPiSA_SA_
    .private_segment_fixed_size: 64
    .sgpr_count:     62
    .sgpr_spill_count: 0
    .symbol:         _ZN9rocsolver6v33100L14bdsqr_finalizeI19rocblas_complex_numIfEfPS3_S4_S4_EEviiiiPT0_lS6_lT1_iilT2_iilT3_iilPiSA_SA_.kd
    .uniform_work_group_size: 1
    .uses_dynamic_stack: false
    .vgpr_count:     49
    .vgpr_spill_count: 0
    .wavefront_size: 32
  - .args:
      - .offset:         0
        .size:           4
        .value_kind:     by_value
      - .offset:         4
        .size:           4
        .value_kind:     by_value
      - .address_space:  global
        .offset:         8
        .size:           8
        .value_kind:     global_buffer
      - .offset:         16
        .size:           4
        .value_kind:     by_value
      - .offset:         20
        .size:           4
        .value_kind:     by_value
      - .offset:         24
        .size:           8
        .value_kind:     by_value
      - .address_space:  global
        .offset:         32
        .size:           8
        .value_kind:     global_buffer
      - .offset:         40
        .size:           4
        .value_kind:     by_value
      - .offset:         44
        .size:           4
        .value_kind:     by_value
      - .offset:         48
        .size:           8
        .value_kind:     by_value
      - .offset:         56
        .size:           1
        .value_kind:     by_value
      - .offset:         60
        .size:           4
        .value_kind:     by_value
      - .offset:         64
        .size:           4
        .value_kind:     by_value
      - .offset:         72
        .size:           4
        .value_kind:     hidden_block_count_x
      - .offset:         76
        .size:           4
        .value_kind:     hidden_block_count_y
      - .offset:         80
        .size:           4
        .value_kind:     hidden_block_count_z
      - .offset:         84
        .size:           2
        .value_kind:     hidden_group_size_x
      - .offset:         86
        .size:           2
        .value_kind:     hidden_group_size_y
      - .offset:         88
        .size:           2
        .value_kind:     hidden_group_size_z
      - .offset:         90
        .size:           2
        .value_kind:     hidden_remainder_x
      - .offset:         92
        .size:           2
        .value_kind:     hidden_remainder_y
      - .offset:         94
        .size:           2
        .value_kind:     hidden_remainder_z
      - .offset:         112
        .size:           8
        .value_kind:     hidden_global_offset_x
      - .offset:         120
        .size:           8
        .value_kind:     hidden_global_offset_y
      - .offset:         128
        .size:           8
        .value_kind:     hidden_global_offset_z
      - .offset:         136
        .size:           2
        .value_kind:     hidden_grid_dims
    .group_segment_fixed_size: 0
    .kernarg_segment_align: 8
    .kernarg_segment_size: 328
    .language:       OpenCL C
    .language_version:
      - 2
      - 0
    .max_flat_workgroup_size: 1024
    .name:           _ZN9rocsolver6v33100L8copy_matI19rocblas_complex_numIfEPS3_S4_NS0_7no_maskEEEviiT0_iilT1_iilT2_13rocblas_fill_17rocblas_diagonal_
    .private_segment_fixed_size: 0
    .sgpr_count:     18
    .sgpr_spill_count: 0
    .symbol:         _ZN9rocsolver6v33100L8copy_matI19rocblas_complex_numIfEPS3_S4_NS0_7no_maskEEEviiT0_iilT1_iilT2_13rocblas_fill_17rocblas_diagonal_.kd
    .uniform_work_group_size: 1
    .uses_dynamic_stack: false
    .vgpr_count:     4
    .vgpr_spill_count: 0
    .wavefront_size: 32
  - .args:
      - .address_space:  global
        .offset:         0
        .size:           8
        .value_kind:     global_buffer
      - .offset:         8
        .size:           4
        .value_kind:     by_value
      - .offset:         16
        .size:           16
        .value_kind:     by_value
    .group_segment_fixed_size: 0
    .kernarg_segment_align: 8
    .kernarg_segment_size: 32
    .language:       OpenCL C
    .language_version:
      - 2
      - 0
    .max_flat_workgroup_size: 32
    .name:           _ZN9rocsolver6v33100L6iota_nI19rocblas_complex_numIdEEEvPT_jS4_
    .private_segment_fixed_size: 0
    .sgpr_count:     10
    .sgpr_spill_count: 0
    .symbol:         _ZN9rocsolver6v33100L6iota_nI19rocblas_complex_numIdEEEvPT_jS4_.kd
    .uniform_work_group_size: 1
    .uses_dynamic_stack: false
    .vgpr_count:     6
    .vgpr_spill_count: 0
    .wavefront_size: 32
  - .args:
      - .offset:         0
        .size:           4
        .value_kind:     by_value
      - .offset:         4
        .size:           4
        .value_kind:     by_value
      - .address_space:  global
        .offset:         8
        .size:           8
        .value_kind:     global_buffer
      - .offset:         16
        .size:           8
        .value_kind:     by_value
      - .offset:         24
        .size:           4
        .value_kind:     by_value
      - .offset:         32
        .size:           8
        .value_kind:     by_value
      - .address_space:  global
        .offset:         40
        .size:           8
        .value_kind:     global_buffer
      - .offset:         48
        .size:           8
        .value_kind:     by_value
      - .address_space:  global
        .offset:         56
        .size:           8
        .value_kind:     global_buffer
      - .offset:         64
        .size:           8
        .value_kind:     by_value
    .group_segment_fixed_size: 0
    .kernarg_segment_align: 8
    .kernarg_segment_size: 72
    .language:       OpenCL C
    .language_version:
      - 2
      - 0
    .max_flat_workgroup_size: 256
    .name:           _ZN9rocsolver6v33100L18geqr2_kernel_smallILi256E19rocblas_complex_numIdEidPS3_EEvT1_S5_T3_lS5_lPT2_lPT0_l
    .private_segment_fixed_size: 0
    .sgpr_count:     40
    .sgpr_spill_count: 0
    .symbol:         _ZN9rocsolver6v33100L18geqr2_kernel_smallILi256E19rocblas_complex_numIdEidPS3_EEvT1_S5_T3_lS5_lPT2_lPT0_l.kd
    .uniform_work_group_size: 1
    .uses_dynamic_stack: false
    .vgpr_count:     58
    .vgpr_spill_count: 0
    .wavefront_size: 32
  - .args:
      - .address_space:  global
        .offset:         0
        .size:           8
        .value_kind:     global_buffer
      - .offset:         8
        .size:           8
        .value_kind:     by_value
      - .offset:         16
        .size:           4
        .value_kind:     by_value
      - .offset:         20
        .size:           4
        .value_kind:     by_value
      - .offset:         24
        .size:           4
        .value_kind:     hidden_block_count_x
      - .offset:         28
        .size:           4
        .value_kind:     hidden_block_count_y
      - .offset:         32
        .size:           4
        .value_kind:     hidden_block_count_z
      - .offset:         36
        .size:           2
        .value_kind:     hidden_group_size_x
      - .offset:         38
        .size:           2
        .value_kind:     hidden_group_size_y
      - .offset:         40
        .size:           2
        .value_kind:     hidden_group_size_z
      - .offset:         42
        .size:           2
        .value_kind:     hidden_remainder_x
      - .offset:         44
        .size:           2
        .value_kind:     hidden_remainder_y
      - .offset:         46
        .size:           2
        .value_kind:     hidden_remainder_z
      - .offset:         64
        .size:           8
        .value_kind:     hidden_global_offset_x
      - .offset:         72
        .size:           8
        .value_kind:     hidden_global_offset_y
      - .offset:         80
        .size:           8
        .value_kind:     hidden_global_offset_z
      - .offset:         88
        .size:           2
        .value_kind:     hidden_grid_dims
    .group_segment_fixed_size: 0
    .kernarg_segment_align: 8
    .kernarg_segment_size: 280
    .language:       OpenCL C
    .language_version:
      - 2
      - 0
    .max_flat_workgroup_size: 1024
    .name:           _ZN9rocsolver6v33100L16reset_batch_infoI19rocblas_complex_numIdEiiPS3_EEvT2_lT0_T1_
    .private_segment_fixed_size: 0
    .sgpr_count:     10
    .sgpr_spill_count: 0
    .symbol:         _ZN9rocsolver6v33100L16reset_batch_infoI19rocblas_complex_numIdEiiPS3_EEvT2_lT0_T1_.kd
    .uniform_work_group_size: 1
    .uses_dynamic_stack: false
    .vgpr_count:     6
    .vgpr_spill_count: 0
    .wavefront_size: 32
  - .args:
      - .address_space:  global
        .offset:         0
        .size:           8
        .value_kind:     global_buffer
      - .offset:         8
        .size:           8
        .value_kind:     by_value
      - .offset:         16
        .size:           8
        .value_kind:     by_value
      - .address_space:  global
        .offset:         24
        .size:           8
        .value_kind:     global_buffer
      - .offset:         32
        .size:           8
        .value_kind:     by_value
      - .offset:         40
        .size:           4
        .value_kind:     by_value
      - .offset:         48
        .size:           8
        .value_kind:     by_value
      - .offset:         56
        .size:           4
        .value_kind:     by_value
      - .offset:         60
        .size:           1
        .value_kind:     by_value
      - .offset:         64
        .size:           4
        .value_kind:     hidden_block_count_x
      - .offset:         68
        .size:           4
        .value_kind:     hidden_block_count_y
      - .offset:         72
        .size:           4
        .value_kind:     hidden_block_count_z
      - .offset:         76
        .size:           2
        .value_kind:     hidden_group_size_x
      - .offset:         78
        .size:           2
        .value_kind:     hidden_group_size_y
      - .offset:         80
        .size:           2
        .value_kind:     hidden_group_size_z
      - .offset:         82
        .size:           2
        .value_kind:     hidden_remainder_x
      - .offset:         84
        .size:           2
        .value_kind:     hidden_remainder_y
      - .offset:         86
        .size:           2
        .value_kind:     hidden_remainder_z
      - .offset:         104
        .size:           8
        .value_kind:     hidden_global_offset_x
      - .offset:         112
        .size:           8
        .value_kind:     hidden_global_offset_y
      - .offset:         120
        .size:           8
        .value_kind:     hidden_global_offset_z
      - .offset:         128
        .size:           2
        .value_kind:     hidden_grid_dims
    .group_segment_fixed_size: 0
    .kernarg_segment_align: 8
    .kernarg_segment_size: 320
    .language:       OpenCL C
    .language_version:
      - 2
      - 0
    .max_flat_workgroup_size: 1024
    .name:           _ZN9rocsolver6v33100L8set_diagI19rocblas_complex_numIdEidPS3_TnNSt9enable_ifIXaa18rocblas_is_complexIT_Ent18rocblas_is_complexIT1_EEiE4typeELi0EEEvPS7_llT2_lT0_lSC_b
    .private_segment_fixed_size: 0
    .sgpr_count:     22
    .sgpr_spill_count: 0
    .symbol:         _ZN9rocsolver6v33100L8set_diagI19rocblas_complex_numIdEidPS3_TnNSt9enable_ifIXaa18rocblas_is_complexIT_Ent18rocblas_is_complexIT1_EEiE4typeELi0EEEvPS7_llT2_lT0_lSC_b.kd
    .uniform_work_group_size: 1
    .uses_dynamic_stack: false
    .vgpr_count:     6
    .vgpr_spill_count: 0
    .wavefront_size: 32
  - .args:
      - .address_space:  global
        .offset:         0
        .size:           8
        .value_kind:     global_buffer
      - .offset:         8
        .size:           8
        .value_kind:     by_value
      - .address_space:  global
        .offset:         16
        .size:           8
        .value_kind:     global_buffer
      - .address_space:  global
        .offset:         24
        .size:           8
        .value_kind:     global_buffer
      - .offset:         32
        .size:           8
        .value_kind:     by_value
      - .offset:         40
        .size:           8
        .value_kind:     by_value
      - .address_space:  global
        .offset:         48
        .size:           8
        .value_kind:     global_buffer
      - .offset:         56
        .size:           8
        .value_kind:     by_value
      - .offset:         64
        .size:           8
        .value_kind:     by_value
    .group_segment_fixed_size: 0
    .kernarg_segment_align: 8
    .kernarg_segment_size: 72
    .language:       OpenCL C
    .language_version:
      - 2
      - 0
    .max_flat_workgroup_size: 1024
    .name:           _ZN9rocsolver6v33100L11set_taubetaI19rocblas_complex_numIdEidPS3_EEvPT_lS6_T2_llPT1_ll
    .private_segment_fixed_size: 0
    .sgpr_count:     25
    .sgpr_spill_count: 0
    .symbol:         _ZN9rocsolver6v33100L11set_taubetaI19rocblas_complex_numIdEidPS3_EEvPT_lS6_T2_llPT1_ll.kd
    .uniform_work_group_size: 1
    .uses_dynamic_stack: false
    .vgpr_count:     41
    .vgpr_spill_count: 0
    .wavefront_size: 32
  - .args:
      - .offset:         0
        .size:           4
        .value_kind:     by_value
      - .offset:         4
        .size:           4
        .value_kind:     by_value
      - .address_space:  global
        .offset:         8
        .size:           8
        .value_kind:     global_buffer
      - .offset:         16
        .size:           8
        .value_kind:     by_value
      - .offset:         24
        .size:           4
        .value_kind:     by_value
      - .offset:         32
        .size:           8
        .value_kind:     by_value
      - .offset:         40
        .size:           4
        .value_kind:     hidden_block_count_x
      - .offset:         44
        .size:           4
        .value_kind:     hidden_block_count_y
      - .offset:         48
        .size:           4
        .value_kind:     hidden_block_count_z
      - .offset:         52
        .size:           2
        .value_kind:     hidden_group_size_x
      - .offset:         54
        .size:           2
        .value_kind:     hidden_group_size_y
      - .offset:         56
        .size:           2
        .value_kind:     hidden_group_size_z
      - .offset:         58
        .size:           2
        .value_kind:     hidden_remainder_x
      - .offset:         60
        .size:           2
        .value_kind:     hidden_remainder_y
      - .offset:         62
        .size:           2
        .value_kind:     hidden_remainder_z
      - .offset:         80
        .size:           8
        .value_kind:     hidden_global_offset_x
      - .offset:         88
        .size:           8
        .value_kind:     hidden_global_offset_y
      - .offset:         96
        .size:           8
        .value_kind:     hidden_global_offset_z
      - .offset:         104
        .size:           2
        .value_kind:     hidden_grid_dims
    .group_segment_fixed_size: 0
    .kernarg_segment_align: 8
    .kernarg_segment_size: 296
    .language:       OpenCL C
    .language_version:
      - 2
      - 0
    .max_flat_workgroup_size: 1024
    .name:           _ZN9rocsolver6v33100L13conj_in_placeI19rocblas_complex_numIdEiPS3_TnNSt9enable_ifIX18rocblas_is_complexIT_EEiE4typeELi0EEEvT0_S9_T1_lS9_l
    .private_segment_fixed_size: 0
    .sgpr_count:     16
    .sgpr_spill_count: 0
    .symbol:         _ZN9rocsolver6v33100L13conj_in_placeI19rocblas_complex_numIdEiPS3_TnNSt9enable_ifIX18rocblas_is_complexIT_EEiE4typeELi0EEEvT0_S9_T1_lS9_l.kd
    .uniform_work_group_size: 1
    .uses_dynamic_stack: false
    .vgpr_count:     8
    .vgpr_spill_count: 0
    .wavefront_size: 32
  - .args:
      - .offset:         0
        .size:           4
        .value_kind:     by_value
      - .offset:         4
        .size:           4
        .value_kind:     by_value
      - .address_space:  global
        .offset:         8
        .size:           8
        .value_kind:     global_buffer
      - .offset:         16
        .size:           8
        .value_kind:     by_value
      - .offset:         24
        .size:           4
        .value_kind:     by_value
      - .offset:         32
        .size:           8
        .value_kind:     by_value
      - .address_space:  global
        .offset:         40
        .size:           8
        .value_kind:     global_buffer
      - .offset:         48
        .size:           8
        .value_kind:     by_value
      - .address_space:  global
        .offset:         56
        .size:           8
        .value_kind:     global_buffer
      - .offset:         64
        .size:           8
        .value_kind:     by_value
      - .offset:         72
        .size:           4
        .value_kind:     by_value
      - .offset:         80
        .size:           8
        .value_kind:     by_value
    .group_segment_fixed_size: 0
    .kernarg_segment_align: 8
    .kernarg_segment_size: 88
    .language:       OpenCL C
    .language_version:
      - 2
      - 0
    .max_flat_workgroup_size: 1024
    .name:           _ZN9rocsolver6v33100L16larf_left_kernelILi1024E19rocblas_complex_numIdEiPS3_EEvT1_S5_T2_lS5_lPKT0_lS6_lS5_l
    .private_segment_fixed_size: 0
    .sgpr_count:     28
    .sgpr_spill_count: 0
    .symbol:         _ZN9rocsolver6v33100L16larf_left_kernelILi1024E19rocblas_complex_numIdEiPS3_EEvT1_S5_T2_lS5_lPKT0_lS6_lS5_l.kd
    .uniform_work_group_size: 1
    .uses_dynamic_stack: false
    .vgpr_count:     20
    .vgpr_spill_count: 0
    .wavefront_size: 32
  - .args:
      - .offset:         0
        .size:           4
        .value_kind:     by_value
      - .offset:         4
        .size:           4
        .value_kind:     by_value
      - .address_space:  global
        .offset:         8
        .size:           8
        .value_kind:     global_buffer
      - .offset:         16
        .size:           8
        .value_kind:     by_value
      - .offset:         24
        .size:           4
        .value_kind:     by_value
      - .offset:         32
        .size:           8
        .value_kind:     by_value
      - .address_space:  global
        .offset:         40
        .size:           8
        .value_kind:     global_buffer
      - .offset:         48
        .size:           8
        .value_kind:     by_value
      - .address_space:  global
        .offset:         56
        .size:           8
        .value_kind:     global_buffer
      - .offset:         64
        .size:           8
        .value_kind:     by_value
      - .offset:         72
        .size:           4
        .value_kind:     by_value
      - .offset:         80
        .size:           8
        .value_kind:     by_value
    .group_segment_fixed_size: 0
    .kernarg_segment_align: 8
    .kernarg_segment_size: 88
    .language:       OpenCL C
    .language_version:
      - 2
      - 0
    .max_flat_workgroup_size: 1024
    .name:           _ZN9rocsolver6v33100L17larf_right_kernelILi1024E19rocblas_complex_numIdEiPS3_EEvT1_S5_T2_lS5_lPKT0_lS6_lS5_l
    .private_segment_fixed_size: 0
    .sgpr_count:     28
    .sgpr_spill_count: 0
    .symbol:         _ZN9rocsolver6v33100L17larf_right_kernelILi1024E19rocblas_complex_numIdEiPS3_EEvT1_S5_T2_lS5_lPKT0_lS6_lS5_l.kd
    .uniform_work_group_size: 1
    .uses_dynamic_stack: false
    .vgpr_count:     20
    .vgpr_spill_count: 0
    .wavefront_size: 32
  - .args:
      - .address_space:  global
        .offset:         0
        .size:           8
        .value_kind:     global_buffer
      - .offset:         8
        .size:           8
        .value_kind:     by_value
      - .offset:         16
        .size:           8
        .value_kind:     by_value
      - .address_space:  global
        .offset:         24
        .size:           8
        .value_kind:     global_buffer
      - .offset:         32
        .size:           8
        .value_kind:     by_value
      - .offset:         40
        .size:           4
        .value_kind:     by_value
      - .offset:         48
        .size:           8
        .value_kind:     by_value
      - .offset:         56
        .size:           4
        .value_kind:     by_value
      - .offset:         64
        .size:           4
        .value_kind:     hidden_block_count_x
      - .offset:         68
        .size:           4
        .value_kind:     hidden_block_count_y
      - .offset:         72
        .size:           4
        .value_kind:     hidden_block_count_z
      - .offset:         76
        .size:           2
        .value_kind:     hidden_group_size_x
      - .offset:         78
        .size:           2
        .value_kind:     hidden_group_size_y
      - .offset:         80
        .size:           2
        .value_kind:     hidden_group_size_z
      - .offset:         82
        .size:           2
        .value_kind:     hidden_remainder_x
      - .offset:         84
        .size:           2
        .value_kind:     hidden_remainder_y
      - .offset:         86
        .size:           2
        .value_kind:     hidden_remainder_z
      - .offset:         104
        .size:           8
        .value_kind:     hidden_global_offset_x
      - .offset:         112
        .size:           8
        .value_kind:     hidden_global_offset_y
      - .offset:         120
        .size:           8
        .value_kind:     hidden_global_offset_z
      - .offset:         128
        .size:           2
        .value_kind:     hidden_grid_dims
    .group_segment_fixed_size: 0
    .kernarg_segment_align: 8
    .kernarg_segment_size: 320
    .language:       OpenCL C
    .language_version:
      - 2
      - 0
    .max_flat_workgroup_size: 1024
    .name:           _ZN9rocsolver6v33100L12restore_diagI19rocblas_complex_numIdEidPS3_EEvPT1_llT2_lT0_lS8_
    .private_segment_fixed_size: 0
    .sgpr_count:     13
    .sgpr_spill_count: 0
    .symbol:         _ZN9rocsolver6v33100L12restore_diagI19rocblas_complex_numIdEidPS3_EEvPT1_llT2_lT0_lS8_.kd
    .uniform_work_group_size: 1
    .uses_dynamic_stack: false
    .vgpr_count:     6
    .vgpr_spill_count: 0
    .wavefront_size: 32
  - .args:
      - .offset:         0
        .size:           4
        .value_kind:     by_value
      - .offset:         4
        .size:           4
        .value_kind:     by_value
      - .address_space:  global
        .offset:         8
        .size:           8
        .value_kind:     global_buffer
      - .offset:         16
        .size:           4
        .value_kind:     by_value
      - .offset:         20
        .size:           4
        .value_kind:     by_value
      - .offset:         24
        .size:           8
        .value_kind:     by_value
      - .address_space:  global
        .offset:         32
        .size:           8
        .value_kind:     global_buffer
      - .offset:         40
        .size:           8
        .value_kind:     by_value
      - .address_space:  global
        .offset:         48
        .size:           8
        .value_kind:     global_buffer
      - .offset:         56
        .size:           4
        .value_kind:     by_value
      - .offset:         64
        .size:           8
        .value_kind:     by_value
      - .offset:         72
        .size:           4
        .value_kind:     by_value
      - .offset:         76
        .size:           4
        .value_kind:     by_value
      - .offset:         80
        .size:           1
        .value_kind:     by_value
      - .offset:         88
        .size:           4
        .value_kind:     hidden_block_count_x
      - .offset:         92
        .size:           4
        .value_kind:     hidden_block_count_y
      - .offset:         96
        .size:           4
        .value_kind:     hidden_block_count_z
      - .offset:         100
        .size:           2
        .value_kind:     hidden_group_size_x
      - .offset:         102
        .size:           2
        .value_kind:     hidden_group_size_y
      - .offset:         104
        .size:           2
        .value_kind:     hidden_group_size_z
      - .offset:         106
        .size:           2
        .value_kind:     hidden_remainder_x
      - .offset:         108
        .size:           2
        .value_kind:     hidden_remainder_y
      - .offset:         110
        .size:           2
        .value_kind:     hidden_remainder_z
      - .offset:         128
        .size:           8
        .value_kind:     hidden_global_offset_x
      - .offset:         136
        .size:           8
        .value_kind:     hidden_global_offset_y
      - .offset:         144
        .size:           8
        .value_kind:     hidden_global_offset_z
      - .offset:         152
        .size:           2
        .value_kind:     hidden_grid_dims
    .group_segment_fixed_size: 0
    .kernarg_segment_align: 8
    .kernarg_segment_size: 344
    .language:       OpenCL C
    .language_version:
      - 2
      - 0
    .max_flat_workgroup_size: 1024
    .name:           _ZN9rocsolver6v33100L14set_triangularI19rocblas_complex_numIdEPS3_TnNSt9enable_ifIX18rocblas_is_complexIT_EEiE4typeELi0EEEviiT0_iilPS6_lSA_il15rocblas_direct_15rocblas_storev_b
    .private_segment_fixed_size: 0
    .sgpr_count:     24
    .sgpr_spill_count: 0
    .symbol:         _ZN9rocsolver6v33100L14set_triangularI19rocblas_complex_numIdEPS3_TnNSt9enable_ifIX18rocblas_is_complexIT_EEiE4typeELi0EEEviiT0_iilPS6_lSA_il15rocblas_direct_15rocblas_storev_b.kd
    .uniform_work_group_size: 1
    .uses_dynamic_stack: false
    .vgpr_count:     20
    .vgpr_spill_count: 0
    .wavefront_size: 32
  - .args:
      - .offset:         0
        .size:           4
        .value_kind:     by_value
      - .address_space:  global
        .offset:         8
        .size:           8
        .value_kind:     global_buffer
      - .offset:         16
        .size:           8
        .value_kind:     by_value
      - .offset:         24
        .size:           4
        .value_kind:     hidden_block_count_x
      - .offset:         28
        .size:           4
        .value_kind:     hidden_block_count_y
      - .offset:         32
        .size:           4
        .value_kind:     hidden_block_count_z
      - .offset:         36
        .size:           2
        .value_kind:     hidden_group_size_x
      - .offset:         38
        .size:           2
        .value_kind:     hidden_group_size_y
      - .offset:         40
        .size:           2
        .value_kind:     hidden_group_size_z
      - .offset:         42
        .size:           2
        .value_kind:     hidden_remainder_x
      - .offset:         44
        .size:           2
        .value_kind:     hidden_remainder_y
      - .offset:         46
        .size:           2
        .value_kind:     hidden_remainder_z
      - .offset:         64
        .size:           8
        .value_kind:     hidden_global_offset_x
      - .offset:         72
        .size:           8
        .value_kind:     hidden_global_offset_y
      - .offset:         80
        .size:           8
        .value_kind:     hidden_global_offset_z
      - .offset:         88
        .size:           2
        .value_kind:     hidden_grid_dims
    .group_segment_fixed_size: 0
    .kernarg_segment_align: 8
    .kernarg_segment_size: 280
    .language:       OpenCL C
    .language_version:
      - 2
      - 0
    .max_flat_workgroup_size: 1024
    .name:           _ZN9rocsolver6v33100L7set_tauI19rocblas_complex_numIdEEEviPT_l
    .private_segment_fixed_size: 0
    .sgpr_count:     10
    .sgpr_spill_count: 0
    .symbol:         _ZN9rocsolver6v33100L7set_tauI19rocblas_complex_numIdEEEviPT_l.kd
    .uniform_work_group_size: 1
    .uses_dynamic_stack: false
    .vgpr_count:     6
    .vgpr_spill_count: 0
    .wavefront_size: 32
  - .args:
      - .offset:         0
        .size:           4
        .value_kind:     by_value
      - .offset:         4
        .size:           4
        .value_kind:     by_value
      - .offset:         8
        .size:           4
        .value_kind:     by_value
      - .address_space:  global
        .offset:         16
        .size:           8
        .value_kind:     global_buffer
      - .offset:         24
        .size:           4
        .value_kind:     by_value
      - .offset:         28
        .size:           4
        .value_kind:     by_value
      - .offset:         32
        .size:           8
        .value_kind:     by_value
      - .address_space:  global
        .offset:         40
        .size:           8
        .value_kind:     global_buffer
      - .offset:         48
        .size:           8
        .value_kind:     by_value
      - .address_space:  global
        .offset:         56
        .size:           8
        .value_kind:     global_buffer
      - .offset:         64
        .size:           4
        .value_kind:     by_value
      - .offset:         72
        .size:           8
        .value_kind:     by_value
      - .offset:         80
        .size:           4
        .value_kind:     hidden_block_count_x
      - .offset:         84
        .size:           4
        .value_kind:     hidden_block_count_y
      - .offset:         88
        .size:           4
        .value_kind:     hidden_block_count_z
      - .offset:         92
        .size:           2
        .value_kind:     hidden_group_size_x
      - .offset:         94
        .size:           2
        .value_kind:     hidden_group_size_y
      - .offset:         96
        .size:           2
        .value_kind:     hidden_group_size_z
      - .offset:         98
        .size:           2
        .value_kind:     hidden_remainder_x
      - .offset:         100
        .size:           2
        .value_kind:     hidden_remainder_y
      - .offset:         102
        .size:           2
        .value_kind:     hidden_remainder_z
      - .offset:         120
        .size:           8
        .value_kind:     hidden_global_offset_x
      - .offset:         128
        .size:           8
        .value_kind:     hidden_global_offset_y
      - .offset:         136
        .size:           8
        .value_kind:     hidden_global_offset_z
      - .offset:         144
        .size:           2
        .value_kind:     hidden_grid_dims
      - .offset:         200
        .size:           4
        .value_kind:     hidden_dynamic_lds_size
    .group_segment_fixed_size: 0
    .kernarg_segment_align: 8
    .kernarg_segment_size: 336
    .language:       OpenCL C
    .language_version:
      - 2
      - 0
    .max_flat_workgroup_size: 1024
    .name:           _ZN9rocsolver6v33100L20larft_kernel_forwardI19rocblas_complex_numIdEPS3_EEv15rocblas_storev_iiT0_iilPT_lS8_il
    .private_segment_fixed_size: 0
    .sgpr_count:     52
    .sgpr_spill_count: 0
    .symbol:         _ZN9rocsolver6v33100L20larft_kernel_forwardI19rocblas_complex_numIdEPS3_EEv15rocblas_storev_iiT0_iilPT_lS8_il.kd
    .uniform_work_group_size: 1
    .uses_dynamic_stack: false
    .vgpr_count:     28
    .vgpr_spill_count: 0
    .wavefront_size: 32
  - .args:
      - .offset:         0
        .size:           4
        .value_kind:     by_value
      - .offset:         4
        .size:           4
        .value_kind:     by_value
      - .offset:         8
        .size:           4
        .value_kind:     by_value
      - .address_space:  global
        .offset:         16
        .size:           8
        .value_kind:     global_buffer
      - .offset:         24
        .size:           4
        .value_kind:     by_value
      - .offset:         28
        .size:           4
        .value_kind:     by_value
      - .offset:         32
        .size:           8
        .value_kind:     by_value
      - .address_space:  global
        .offset:         40
        .size:           8
        .value_kind:     global_buffer
      - .offset:         48
        .size:           8
        .value_kind:     by_value
      - .address_space:  global
        .offset:         56
        .size:           8
        .value_kind:     global_buffer
      - .offset:         64
        .size:           4
        .value_kind:     by_value
      - .offset:         72
        .size:           8
        .value_kind:     by_value
      - .offset:         80
        .size:           4
        .value_kind:     hidden_block_count_x
      - .offset:         84
        .size:           4
        .value_kind:     hidden_block_count_y
      - .offset:         88
        .size:           4
        .value_kind:     hidden_block_count_z
      - .offset:         92
        .size:           2
        .value_kind:     hidden_group_size_x
      - .offset:         94
        .size:           2
        .value_kind:     hidden_group_size_y
      - .offset:         96
        .size:           2
        .value_kind:     hidden_group_size_z
      - .offset:         98
        .size:           2
        .value_kind:     hidden_remainder_x
      - .offset:         100
        .size:           2
        .value_kind:     hidden_remainder_y
      - .offset:         102
        .size:           2
        .value_kind:     hidden_remainder_z
      - .offset:         120
        .size:           8
        .value_kind:     hidden_global_offset_x
      - .offset:         128
        .size:           8
        .value_kind:     hidden_global_offset_y
      - .offset:         136
        .size:           8
        .value_kind:     hidden_global_offset_z
      - .offset:         144
        .size:           2
        .value_kind:     hidden_grid_dims
      - .offset:         200
        .size:           4
        .value_kind:     hidden_dynamic_lds_size
    .group_segment_fixed_size: 0
    .kernarg_segment_align: 8
    .kernarg_segment_size: 336
    .language:       OpenCL C
    .language_version:
      - 2
      - 0
    .max_flat_workgroup_size: 1024
    .name:           _ZN9rocsolver6v33100L21larft_kernel_backwardI19rocblas_complex_numIdEPS3_EEv15rocblas_storev_iiT0_iilPT_lS8_il
    .private_segment_fixed_size: 0
    .sgpr_count:     52
    .sgpr_spill_count: 0
    .symbol:         _ZN9rocsolver6v33100L21larft_kernel_backwardI19rocblas_complex_numIdEPS3_EEv15rocblas_storev_iiT0_iilPT_lS8_il.kd
    .uniform_work_group_size: 1
    .uses_dynamic_stack: false
    .vgpr_count:     26
    .vgpr_spill_count: 0
    .wavefront_size: 32
  - .args:
      - .offset:         0
        .size:           4
        .value_kind:     by_value
      - .offset:         4
        .size:           4
        .value_kind:     by_value
      - .address_space:  global
        .offset:         8
        .size:           8
        .value_kind:     global_buffer
      - .offset:         16
        .size:           4
        .value_kind:     by_value
      - .offset:         20
        .size:           4
        .value_kind:     by_value
      - .offset:         24
        .size:           8
        .value_kind:     by_value
      - .address_space:  global
        .offset:         32
        .size:           8
        .value_kind:     global_buffer
      - .offset:         40
        .size:           4
        .value_kind:     hidden_block_count_x
      - .offset:         44
        .size:           4
        .value_kind:     hidden_block_count_y
      - .offset:         48
        .size:           4
        .value_kind:     hidden_block_count_z
      - .offset:         52
        .size:           2
        .value_kind:     hidden_group_size_x
      - .offset:         54
        .size:           2
        .value_kind:     hidden_group_size_y
      - .offset:         56
        .size:           2
        .value_kind:     hidden_group_size_z
      - .offset:         58
        .size:           2
        .value_kind:     hidden_remainder_x
      - .offset:         60
        .size:           2
        .value_kind:     hidden_remainder_y
      - .offset:         62
        .size:           2
        .value_kind:     hidden_remainder_z
      - .offset:         80
        .size:           8
        .value_kind:     hidden_global_offset_x
      - .offset:         88
        .size:           8
        .value_kind:     hidden_global_offset_y
      - .offset:         96
        .size:           8
        .value_kind:     hidden_global_offset_z
      - .offset:         104
        .size:           2
        .value_kind:     hidden_grid_dims
    .group_segment_fixed_size: 0
    .kernarg_segment_align: 8
    .kernarg_segment_size: 296
    .language:       OpenCL C
    .language_version:
      - 2
      - 0
    .max_flat_workgroup_size: 1024
    .name:           _ZN9rocsolver6v33100L9copymatA1I19rocblas_complex_numIdEPS3_EEviiT0_iilPT_
    .private_segment_fixed_size: 0
    .sgpr_count:     19
    .sgpr_spill_count: 0
    .symbol:         _ZN9rocsolver6v33100L9copymatA1I19rocblas_complex_numIdEPS3_EEviiT0_iilPT_.kd
    .uniform_work_group_size: 1
    .uses_dynamic_stack: false
    .vgpr_count:     6
    .vgpr_spill_count: 0
    .wavefront_size: 32
  - .args:
      - .offset:         0
        .size:           4
        .value_kind:     by_value
      - .offset:         4
        .size:           4
        .value_kind:     by_value
      - .address_space:  global
        .offset:         8
        .size:           8
        .value_kind:     global_buffer
      - .offset:         16
        .size:           4
        .value_kind:     by_value
      - .offset:         20
        .size:           4
        .value_kind:     by_value
      - .offset:         24
        .size:           8
        .value_kind:     by_value
      - .address_space:  global
        .offset:         32
        .size:           8
        .value_kind:     global_buffer
      - .offset:         40
        .size:           4
        .value_kind:     hidden_block_count_x
      - .offset:         44
        .size:           4
        .value_kind:     hidden_block_count_y
      - .offset:         48
        .size:           4
        .value_kind:     hidden_block_count_z
      - .offset:         52
        .size:           2
        .value_kind:     hidden_group_size_x
      - .offset:         54
        .size:           2
        .value_kind:     hidden_group_size_y
      - .offset:         56
        .size:           2
        .value_kind:     hidden_group_size_z
      - .offset:         58
        .size:           2
        .value_kind:     hidden_remainder_x
      - .offset:         60
        .size:           2
        .value_kind:     hidden_remainder_y
      - .offset:         62
        .size:           2
        .value_kind:     hidden_remainder_z
      - .offset:         80
        .size:           8
        .value_kind:     hidden_global_offset_x
      - .offset:         88
        .size:           8
        .value_kind:     hidden_global_offset_y
      - .offset:         96
        .size:           8
        .value_kind:     hidden_global_offset_z
      - .offset:         104
        .size:           2
        .value_kind:     hidden_grid_dims
    .group_segment_fixed_size: 0
    .kernarg_segment_align: 8
    .kernarg_segment_size: 296
    .language:       OpenCL C
    .language_version:
      - 2
      - 0
    .max_flat_workgroup_size: 1024
    .name:           _ZN9rocsolver6v33100L8addmatA1I19rocblas_complex_numIdEPS3_EEviiT0_iilPT_
    .private_segment_fixed_size: 0
    .sgpr_count:     19
    .sgpr_spill_count: 0
    .symbol:         _ZN9rocsolver6v33100L8addmatA1I19rocblas_complex_numIdEPS3_EEviiT0_iilPT_.kd
    .uniform_work_group_size: 1
    .uses_dynamic_stack: false
    .vgpr_count:     10
    .vgpr_spill_count: 0
    .wavefront_size: 32
  - .args:
      - .address_space:  global
        .offset:         0
        .size:           8
        .value_kind:     global_buffer
      - .offset:         8
        .size:           8
        .value_kind:     by_value
      - .offset:         16
        .size:           8
        .value_kind:     by_value
      - .address_space:  global
        .offset:         24
        .size:           8
        .value_kind:     global_buffer
      - .offset:         32
        .size:           8
        .value_kind:     by_value
      - .offset:         40
        .size:           4
        .value_kind:     by_value
      - .offset:         48
        .size:           8
        .value_kind:     by_value
      - .offset:         56
        .size:           4
        .value_kind:     by_value
      - .offset:         60
        .size:           1
        .value_kind:     by_value
      - .offset:         64
        .size:           4
        .value_kind:     hidden_block_count_x
      - .offset:         68
        .size:           4
        .value_kind:     hidden_block_count_y
      - .offset:         72
        .size:           4
        .value_kind:     hidden_block_count_z
      - .offset:         76
        .size:           2
        .value_kind:     hidden_group_size_x
      - .offset:         78
        .size:           2
        .value_kind:     hidden_group_size_y
      - .offset:         80
        .size:           2
        .value_kind:     hidden_group_size_z
      - .offset:         82
        .size:           2
        .value_kind:     hidden_remainder_x
      - .offset:         84
        .size:           2
        .value_kind:     hidden_remainder_y
      - .offset:         86
        .size:           2
        .value_kind:     hidden_remainder_z
      - .offset:         104
        .size:           8
        .value_kind:     hidden_global_offset_x
      - .offset:         112
        .size:           8
        .value_kind:     hidden_global_offset_y
      - .offset:         120
        .size:           8
        .value_kind:     hidden_global_offset_z
      - .offset:         128
        .size:           2
        .value_kind:     hidden_grid_dims
    .group_segment_fixed_size: 0
    .kernarg_segment_align: 8
    .kernarg_segment_size: 320
    .language:       OpenCL C
    .language_version:
      - 2
      - 0
    .max_flat_workgroup_size: 1024
    .name:           _ZN9rocsolver6v33100L8set_diagI19rocblas_complex_numIdEiS3_PS3_TnNSt9enable_ifIXoont18rocblas_is_complexIT_E18rocblas_is_complexIT1_EEiE4typeELi0EEEvPS7_llT2_lT0_lSC_b
    .private_segment_fixed_size: 0
    .sgpr_count:     22
    .sgpr_spill_count: 0
    .symbol:         _ZN9rocsolver6v33100L8set_diagI19rocblas_complex_numIdEiS3_PS3_TnNSt9enable_ifIXoont18rocblas_is_complexIT_E18rocblas_is_complexIT1_EEiE4typeELi0EEEvPS7_llT2_lT0_lSC_b.kd
    .uniform_work_group_size: 1
    .uses_dynamic_stack: false
    .vgpr_count:     10
    .vgpr_spill_count: 0
    .wavefront_size: 32
  - .args:
      - .address_space:  global
        .offset:         0
        .size:           8
        .value_kind:     global_buffer
      - .offset:         8
        .size:           8
        .value_kind:     by_value
      - .offset:         16
        .size:           8
        .value_kind:     by_value
      - .address_space:  global
        .offset:         24
        .size:           8
        .value_kind:     global_buffer
      - .offset:         32
        .size:           8
        .value_kind:     by_value
      - .offset:         40
        .size:           4
        .value_kind:     by_value
      - .offset:         48
        .size:           8
        .value_kind:     by_value
      - .offset:         56
        .size:           4
        .value_kind:     by_value
      - .offset:         64
        .size:           4
        .value_kind:     hidden_block_count_x
      - .offset:         68
        .size:           4
        .value_kind:     hidden_block_count_y
      - .offset:         72
        .size:           4
        .value_kind:     hidden_block_count_z
      - .offset:         76
        .size:           2
        .value_kind:     hidden_group_size_x
      - .offset:         78
        .size:           2
        .value_kind:     hidden_group_size_y
      - .offset:         80
        .size:           2
        .value_kind:     hidden_group_size_z
      - .offset:         82
        .size:           2
        .value_kind:     hidden_remainder_x
      - .offset:         84
        .size:           2
        .value_kind:     hidden_remainder_y
      - .offset:         86
        .size:           2
        .value_kind:     hidden_remainder_z
      - .offset:         104
        .size:           8
        .value_kind:     hidden_global_offset_x
      - .offset:         112
        .size:           8
        .value_kind:     hidden_global_offset_y
      - .offset:         120
        .size:           8
        .value_kind:     hidden_global_offset_z
      - .offset:         128
        .size:           2
        .value_kind:     hidden_grid_dims
    .group_segment_fixed_size: 0
    .kernarg_segment_align: 8
    .kernarg_segment_size: 320
    .language:       OpenCL C
    .language_version:
      - 2
      - 0
    .max_flat_workgroup_size: 1024
    .name:           _ZN9rocsolver6v33100L12restore_diagI19rocblas_complex_numIdEiS3_PS3_EEvPT1_llT2_lT0_lS8_
    .private_segment_fixed_size: 0
    .sgpr_count:     13
    .sgpr_spill_count: 0
    .symbol:         _ZN9rocsolver6v33100L12restore_diagI19rocblas_complex_numIdEiS3_PS3_EEvPT1_llT2_lT0_lS8_.kd
    .uniform_work_group_size: 1
    .uses_dynamic_stack: false
    .vgpr_count:     6
    .vgpr_spill_count: 0
    .wavefront_size: 32
  - .args:
      - .offset:         0
        .size:           4
        .value_kind:     by_value
      - .offset:         4
        .size:           4
        .value_kind:     by_value
      - .address_space:  global
        .offset:         8
        .size:           8
        .value_kind:     global_buffer
      - .offset:         16
        .size:           4
        .value_kind:     by_value
      - .offset:         20
        .size:           4
        .value_kind:     by_value
      - .offset:         24
        .size:           8
        .value_kind:     by_value
      - .offset:         32
        .size:           4
        .value_kind:     by_value
      - .offset:         40
        .size:           4
        .value_kind:     hidden_block_count_x
      - .offset:         44
        .size:           4
        .value_kind:     hidden_block_count_y
      - .offset:         48
        .size:           4
        .value_kind:     hidden_block_count_z
      - .offset:         52
        .size:           2
        .value_kind:     hidden_group_size_x
      - .offset:         54
        .size:           2
        .value_kind:     hidden_group_size_y
      - .offset:         56
        .size:           2
        .value_kind:     hidden_group_size_z
      - .offset:         58
        .size:           2
        .value_kind:     hidden_remainder_x
      - .offset:         60
        .size:           2
        .value_kind:     hidden_remainder_y
      - .offset:         62
        .size:           2
        .value_kind:     hidden_remainder_z
      - .offset:         80
        .size:           8
        .value_kind:     hidden_global_offset_x
      - .offset:         88
        .size:           8
        .value_kind:     hidden_global_offset_y
      - .offset:         96
        .size:           8
        .value_kind:     hidden_global_offset_z
      - .offset:         104
        .size:           2
        .value_kind:     hidden_grid_dims
    .group_segment_fixed_size: 0
    .kernarg_segment_align: 8
    .kernarg_segment_size: 296
    .language:       OpenCL C
    .language_version:
      - 2
      - 0
    .max_flat_workgroup_size: 1024
    .name:           _ZN9rocsolver6v33100L8set_zeroI19rocblas_complex_numIdEPS3_EEviiT0_iil13rocblas_fill_
    .private_segment_fixed_size: 0
    .sgpr_count:     14
    .sgpr_spill_count: 0
    .symbol:         _ZN9rocsolver6v33100L8set_zeroI19rocblas_complex_numIdEPS3_EEviiT0_iil13rocblas_fill_.kd
    .uniform_work_group_size: 1
    .uses_dynamic_stack: false
    .vgpr_count:     6
    .vgpr_spill_count: 0
    .wavefront_size: 32
  - .args:
      - .offset:         0
        .size:           4
        .value_kind:     by_value
      - .offset:         4
        .size:           4
        .value_kind:     by_value
      - .offset:         8
        .size:           4
        .value_kind:     by_value
      - .address_space:  global
        .offset:         16
        .size:           8
        .value_kind:     global_buffer
      - .offset:         24
        .size:           4
        .value_kind:     by_value
      - .offset:         28
        .size:           4
        .value_kind:     by_value
      - .offset:         32
        .size:           8
        .value_kind:     by_value
      - .offset:         40
        .size:           4
        .value_kind:     hidden_block_count_x
      - .offset:         44
        .size:           4
        .value_kind:     hidden_block_count_y
      - .offset:         48
        .size:           4
        .value_kind:     hidden_block_count_z
      - .offset:         52
        .size:           2
        .value_kind:     hidden_group_size_x
      - .offset:         54
        .size:           2
        .value_kind:     hidden_group_size_y
      - .offset:         56
        .size:           2
        .value_kind:     hidden_group_size_z
      - .offset:         58
        .size:           2
        .value_kind:     hidden_remainder_x
      - .offset:         60
        .size:           2
        .value_kind:     hidden_remainder_y
      - .offset:         62
        .size:           2
        .value_kind:     hidden_remainder_z
      - .offset:         80
        .size:           8
        .value_kind:     hidden_global_offset_x
      - .offset:         88
        .size:           8
        .value_kind:     hidden_global_offset_y
      - .offset:         96
        .size:           8
        .value_kind:     hidden_global_offset_z
      - .offset:         104
        .size:           2
        .value_kind:     hidden_grid_dims
    .group_segment_fixed_size: 0
    .kernarg_segment_align: 8
    .kernarg_segment_size: 296
    .language:       OpenCL C
    .language_version:
      - 2
      - 0
    .max_flat_workgroup_size: 1024
    .name:           _ZN9rocsolver6v33100L16org2r_init_identI19rocblas_complex_numIdEPS3_EEviiiT0_iil
    .private_segment_fixed_size: 0
    .sgpr_count:     14
    .sgpr_spill_count: 0
    .symbol:         _ZN9rocsolver6v33100L16org2r_init_identI19rocblas_complex_numIdEPS3_EEviiiT0_iil.kd
    .uniform_work_group_size: 1
    .uses_dynamic_stack: false
    .vgpr_count:     6
    .vgpr_spill_count: 0
    .wavefront_size: 32
  - .args:
      - .offset:         0
        .size:           4
        .value_kind:     by_value
      - .offset:         4
        .size:           4
        .value_kind:     by_value
      - .address_space:  global
        .offset:         8
        .size:           8
        .value_kind:     global_buffer
      - .offset:         16
        .size:           4
        .value_kind:     by_value
      - .offset:         20
        .size:           4
        .value_kind:     by_value
      - .offset:         24
        .size:           8
        .value_kind:     by_value
      - .address_space:  global
        .offset:         32
        .size:           8
        .value_kind:     global_buffer
      - .offset:         40
        .size:           8
        .value_kind:     by_value
    .group_segment_fixed_size: 0
    .kernarg_segment_align: 8
    .kernarg_segment_size: 48
    .language:       OpenCL C
    .language_version:
      - 2
      - 0
    .max_flat_workgroup_size: 1024
    .name:           _ZN9rocsolver6v33100L12subtract_tauI19rocblas_complex_numIdEPS3_EEviiT0_iilPT_l
    .private_segment_fixed_size: 0
    .sgpr_count:     18
    .sgpr_spill_count: 0
    .symbol:         _ZN9rocsolver6v33100L12subtract_tauI19rocblas_complex_numIdEPS3_EEviiT0_iilPT_l.kd
    .uniform_work_group_size: 1
    .uses_dynamic_stack: false
    .vgpr_count:     5
    .vgpr_spill_count: 0
    .wavefront_size: 32
  - .args:
      - .offset:         0
        .size:           4
        .value_kind:     by_value
      - .address_space:  global
        .offset:         8
        .size:           8
        .value_kind:     global_buffer
      - .offset:         16
        .size:           8
        .value_kind:     by_value
      - .offset:         24
        .size:           4
        .value_kind:     hidden_block_count_x
      - .offset:         28
        .size:           4
        .value_kind:     hidden_block_count_y
      - .offset:         32
        .size:           4
        .value_kind:     hidden_block_count_z
      - .offset:         36
        .size:           2
        .value_kind:     hidden_group_size_x
      - .offset:         38
        .size:           2
        .value_kind:     hidden_group_size_y
      - .offset:         40
        .size:           2
        .value_kind:     hidden_group_size_z
      - .offset:         42
        .size:           2
        .value_kind:     hidden_remainder_x
      - .offset:         44
        .size:           2
        .value_kind:     hidden_remainder_y
      - .offset:         46
        .size:           2
        .value_kind:     hidden_remainder_z
      - .offset:         64
        .size:           8
        .value_kind:     hidden_global_offset_x
      - .offset:         72
        .size:           8
        .value_kind:     hidden_global_offset_y
      - .offset:         80
        .size:           8
        .value_kind:     hidden_global_offset_z
      - .offset:         88
        .size:           2
        .value_kind:     hidden_grid_dims
    .group_segment_fixed_size: 0
    .kernarg_segment_align: 8
    .kernarg_segment_size: 280
    .language:       OpenCL C
    .language_version:
      - 2
      - 0
    .max_flat_workgroup_size: 1024
    .name:           _ZN9rocsolver6v33100L6restauI19rocblas_complex_numIdEEEviPT_l
    .private_segment_fixed_size: 0
    .sgpr_count:     10
    .sgpr_spill_count: 0
    .symbol:         _ZN9rocsolver6v33100L6restauI19rocblas_complex_numIdEEEviPT_l.kd
    .uniform_work_group_size: 1
    .uses_dynamic_stack: false
    .vgpr_count:     6
    .vgpr_spill_count: 0
    .wavefront_size: 32
  - .args:
      - .offset:         0
        .size:           1
        .value_kind:     by_value
      - .offset:         4
        .size:           4
        .value_kind:     by_value
      - .address_space:  global
        .offset:         8
        .size:           8
        .value_kind:     global_buffer
      - .offset:         16
        .size:           4
        .value_kind:     by_value
      - .offset:         20
        .size:           4
        .value_kind:     by_value
      - .offset:         24
        .size:           8
        .value_kind:     by_value
      - .address_space:  global
        .offset:         32
        .size:           8
        .value_kind:     global_buffer
      - .offset:         40
        .size:           4
        .value_kind:     by_value
      - .offset:         44
        .size:           4
        .value_kind:     by_value
      - .offset:         48
        .size:           8
        .value_kind:     by_value
      - .offset:         56
        .size:           4
        .value_kind:     hidden_block_count_x
      - .offset:         60
        .size:           4
        .value_kind:     hidden_block_count_y
      - .offset:         64
        .size:           4
        .value_kind:     hidden_block_count_z
      - .offset:         68
        .size:           2
        .value_kind:     hidden_group_size_x
      - .offset:         70
        .size:           2
        .value_kind:     hidden_group_size_y
      - .offset:         72
        .size:           2
        .value_kind:     hidden_group_size_z
      - .offset:         74
        .size:           2
        .value_kind:     hidden_remainder_x
      - .offset:         76
        .size:           2
        .value_kind:     hidden_remainder_y
      - .offset:         78
        .size:           2
        .value_kind:     hidden_remainder_z
      - .offset:         96
        .size:           8
        .value_kind:     hidden_global_offset_x
      - .offset:         104
        .size:           8
        .value_kind:     hidden_global_offset_y
      - .offset:         112
        .size:           8
        .value_kind:     hidden_global_offset_z
      - .offset:         120
        .size:           2
        .value_kind:     hidden_grid_dims
    .group_segment_fixed_size: 0
    .kernarg_segment_align: 8
    .kernarg_segment_size: 312
    .language:       OpenCL C
    .language_version:
      - 2
      - 0
    .max_flat_workgroup_size: 1024
    .name:           _ZN9rocsolver6v33100L15copyshift_rightI19rocblas_complex_numIdEPS3_EEvbiT0_iilPT_iil
    .private_segment_fixed_size: 0
    .sgpr_count:     26
    .sgpr_spill_count: 0
    .symbol:         _ZN9rocsolver6v33100L15copyshift_rightI19rocblas_complex_numIdEPS3_EEvbiT0_iilPT_iil.kd
    .uniform_work_group_size: 1
    .uses_dynamic_stack: false
    .vgpr_count:     12
    .vgpr_spill_count: 0
    .wavefront_size: 32
  - .args:
      - .offset:         0
        .size:           4
        .value_kind:     by_value
      - .offset:         4
        .size:           4
        .value_kind:     by_value
      - .offset:         8
        .size:           4
        .value_kind:     by_value
      - .address_space:  global
        .offset:         16
        .size:           8
        .value_kind:     global_buffer
      - .offset:         24
        .size:           4
        .value_kind:     by_value
      - .offset:         28
        .size:           4
        .value_kind:     by_value
      - .offset:         32
        .size:           8
        .value_kind:     by_value
      - .offset:         40
        .size:           4
        .value_kind:     hidden_block_count_x
      - .offset:         44
        .size:           4
        .value_kind:     hidden_block_count_y
      - .offset:         48
        .size:           4
        .value_kind:     hidden_block_count_z
      - .offset:         52
        .size:           2
        .value_kind:     hidden_group_size_x
      - .offset:         54
        .size:           2
        .value_kind:     hidden_group_size_y
      - .offset:         56
        .size:           2
        .value_kind:     hidden_group_size_z
      - .offset:         58
        .size:           2
        .value_kind:     hidden_remainder_x
      - .offset:         60
        .size:           2
        .value_kind:     hidden_remainder_y
      - .offset:         62
        .size:           2
        .value_kind:     hidden_remainder_z
      - .offset:         80
        .size:           8
        .value_kind:     hidden_global_offset_x
      - .offset:         88
        .size:           8
        .value_kind:     hidden_global_offset_y
      - .offset:         96
        .size:           8
        .value_kind:     hidden_global_offset_z
      - .offset:         104
        .size:           2
        .value_kind:     hidden_grid_dims
    .group_segment_fixed_size: 0
    .kernarg_segment_align: 8
    .kernarg_segment_size: 296
    .language:       OpenCL C
    .language_version:
      - 2
      - 0
    .max_flat_workgroup_size: 1024
    .name:           _ZN9rocsolver6v33100L16orgl2_init_identI19rocblas_complex_numIdEPS3_EEviiiT0_iil
    .private_segment_fixed_size: 0
    .sgpr_count:     14
    .sgpr_spill_count: 0
    .symbol:         _ZN9rocsolver6v33100L16orgl2_init_identI19rocblas_complex_numIdEPS3_EEviiiT0_iil.kd
    .uniform_work_group_size: 1
    .uses_dynamic_stack: false
    .vgpr_count:     6
    .vgpr_spill_count: 0
    .wavefront_size: 32
  - .args:
      - .offset:         0
        .size:           1
        .value_kind:     by_value
      - .offset:         4
        .size:           4
        .value_kind:     by_value
      - .address_space:  global
        .offset:         8
        .size:           8
        .value_kind:     global_buffer
      - .offset:         16
        .size:           4
        .value_kind:     by_value
      - .offset:         20
        .size:           4
        .value_kind:     by_value
      - .offset:         24
        .size:           8
        .value_kind:     by_value
      - .address_space:  global
        .offset:         32
        .size:           8
        .value_kind:     global_buffer
      - .offset:         40
        .size:           4
        .value_kind:     by_value
      - .offset:         44
        .size:           4
        .value_kind:     by_value
      - .offset:         48
        .size:           8
        .value_kind:     by_value
      - .offset:         56
        .size:           4
        .value_kind:     hidden_block_count_x
      - .offset:         60
        .size:           4
        .value_kind:     hidden_block_count_y
      - .offset:         64
        .size:           4
        .value_kind:     hidden_block_count_z
      - .offset:         68
        .size:           2
        .value_kind:     hidden_group_size_x
      - .offset:         70
        .size:           2
        .value_kind:     hidden_group_size_y
      - .offset:         72
        .size:           2
        .value_kind:     hidden_group_size_z
      - .offset:         74
        .size:           2
        .value_kind:     hidden_remainder_x
      - .offset:         76
        .size:           2
        .value_kind:     hidden_remainder_y
      - .offset:         78
        .size:           2
        .value_kind:     hidden_remainder_z
      - .offset:         96
        .size:           8
        .value_kind:     hidden_global_offset_x
      - .offset:         104
        .size:           8
        .value_kind:     hidden_global_offset_y
      - .offset:         112
        .size:           8
        .value_kind:     hidden_global_offset_z
      - .offset:         120
        .size:           2
        .value_kind:     hidden_grid_dims
    .group_segment_fixed_size: 0
    .kernarg_segment_align: 8
    .kernarg_segment_size: 312
    .language:       OpenCL C
    .language_version:
      - 2
      - 0
    .max_flat_workgroup_size: 1024
    .name:           _ZN9rocsolver6v33100L14copyshift_downI19rocblas_complex_numIdEPS3_EEvbiT0_iilPT_iil
    .private_segment_fixed_size: 0
    .sgpr_count:     26
    .sgpr_spill_count: 0
    .symbol:         _ZN9rocsolver6v33100L14copyshift_downI19rocblas_complex_numIdEPS3_EEvbiT0_iilPT_iil.kd
    .uniform_work_group_size: 1
    .uses_dynamic_stack: false
    .vgpr_count:     12
    .vgpr_spill_count: 0
    .wavefront_size: 32
  - .args:
      - .offset:         0
        .size:           4
        .value_kind:     by_value
      - .address_space:  global
        .offset:         8
        .size:           8
        .value_kind:     global_buffer
      - .offset:         16
        .size:           8
        .value_kind:     by_value
      - .address_space:  global
        .offset:         24
        .size:           8
        .value_kind:     global_buffer
      - .offset:         32
        .size:           8
        .value_kind:     by_value
      - .address_space:  global
        .offset:         40
        .size:           8
        .value_kind:     global_buffer
      - .offset:         48
        .size:           4
        .value_kind:     by_value
      - .offset:         56
        .size:           8
        .value_kind:     by_value
      - .offset:         64
        .size:           8
        .value_kind:     by_value
      - .address_space:  global
        .offset:         72
        .size:           8
        .value_kind:     global_buffer
      - .address_space:  global
        .offset:         80
        .size:           8
        .value_kind:     global_buffer
      - .offset:         88
        .size:           8
        .value_kind:     by_value
      - .address_space:  global
        .offset:         96
        .size:           8
        .value_kind:     global_buffer
    .group_segment_fixed_size: 0
    .kernarg_segment_align: 8
    .kernarg_segment_size: 104
    .language:       OpenCL C
    .language_version:
      - 2
      - 0
    .max_flat_workgroup_size: 1024
    .name:           _ZN9rocsolver6v33100L10bdsqr_initI19rocblas_complex_numIdEdEEviPT0_lS5_lPiiS4_S4_S6_S5_lS6_
    .private_segment_fixed_size: 0
    .sgpr_count:     46
    .sgpr_spill_count: 0
    .symbol:         _ZN9rocsolver6v33100L10bdsqr_initI19rocblas_complex_numIdEdEEviPT0_lS5_lPiiS4_S4_S6_S5_lS6_.kd
    .uniform_work_group_size: 1
    .uses_dynamic_stack: false
    .vgpr_count:     14
    .vgpr_spill_count: 0
    .wavefront_size: 32
  - .args:
      - .offset:         0
        .size:           4
        .value_kind:     by_value
      - .address_space:  global
        .offset:         8
        .size:           8
        .value_kind:     global_buffer
      - .offset:         16
        .size:           4
        .value_kind:     by_value
      - .address_space:  global
        .offset:         24
        .size:           8
        .value_kind:     global_buffer
      - .offset:         32
        .size:           4
        .value_kind:     by_value
      - .offset:         40
        .size:           4
        .value_kind:     hidden_block_count_x
      - .offset:         44
        .size:           4
        .value_kind:     hidden_block_count_y
      - .offset:         48
        .size:           4
        .value_kind:     hidden_block_count_z
      - .offset:         52
        .size:           2
        .value_kind:     hidden_group_size_x
      - .offset:         54
        .size:           2
        .value_kind:     hidden_group_size_y
      - .offset:         56
        .size:           2
        .value_kind:     hidden_group_size_z
      - .offset:         58
        .size:           2
        .value_kind:     hidden_remainder_x
      - .offset:         60
        .size:           2
        .value_kind:     hidden_remainder_y
      - .offset:         62
        .size:           2
        .value_kind:     hidden_remainder_z
      - .offset:         80
        .size:           8
        .value_kind:     hidden_global_offset_x
      - .offset:         88
        .size:           8
        .value_kind:     hidden_global_offset_y
      - .offset:         96
        .size:           8
        .value_kind:     hidden_global_offset_z
      - .offset:         104
        .size:           2
        .value_kind:     hidden_grid_dims
    .group_segment_fixed_size: 32768
    .kernarg_segment_align: 8
    .kernarg_segment_size: 296
    .language:       OpenCL C
    .language_version:
      - 2
      - 0
    .max_flat_workgroup_size: 1024
    .name:           _ZN9rocsolver6v33100L11swap_kernelI19rocblas_complex_numIdEiEEvT0_PT_S4_S6_S4_
    .private_segment_fixed_size: 0
    .sgpr_count:     18
    .sgpr_spill_count: 0
    .symbol:         _ZN9rocsolver6v33100L11swap_kernelI19rocblas_complex_numIdEiEEvT0_PT_S4_S6_S4_.kd
    .uniform_work_group_size: 1
    .uses_dynamic_stack: false
    .vgpr_count:     16
    .vgpr_spill_count: 0
    .wavefront_size: 32
  - .args:
      - .offset:         0
        .size:           4
        .value_kind:     by_value
      - .address_space:  global
        .offset:         8
        .size:           8
        .value_kind:     global_buffer
      - .offset:         16
        .size:           4
        .value_kind:     by_value
      - .address_space:  global
        .offset:         24
        .size:           8
        .value_kind:     global_buffer
      - .offset:         32
        .size:           4
        .value_kind:     by_value
      - .offset:         40
        .size:           8
        .value_kind:     by_value
      - .offset:         48
        .size:           8
        .value_kind:     by_value
      - .offset:         56
        .size:           4
        .value_kind:     hidden_block_count_x
      - .offset:         60
        .size:           4
        .value_kind:     hidden_block_count_y
      - .offset:         64
        .size:           4
        .value_kind:     hidden_block_count_z
      - .offset:         68
        .size:           2
        .value_kind:     hidden_group_size_x
      - .offset:         70
        .size:           2
        .value_kind:     hidden_group_size_y
      - .offset:         72
        .size:           2
        .value_kind:     hidden_group_size_z
      - .offset:         74
        .size:           2
        .value_kind:     hidden_remainder_x
      - .offset:         76
        .size:           2
        .value_kind:     hidden_remainder_y
      - .offset:         78
        .size:           2
        .value_kind:     hidden_remainder_z
      - .offset:         96
        .size:           8
        .value_kind:     hidden_global_offset_x
      - .offset:         104
        .size:           8
        .value_kind:     hidden_global_offset_y
      - .offset:         112
        .size:           8
        .value_kind:     hidden_global_offset_z
      - .offset:         120
        .size:           2
        .value_kind:     hidden_grid_dims
    .group_segment_fixed_size: 0
    .kernarg_segment_align: 8
    .kernarg_segment_size: 312
    .language:       OpenCL C
    .language_version:
      - 2
      - 0
    .max_flat_workgroup_size: 1024
    .name:           _ZN9rocsolver6v33100L10rot_kernelId19rocblas_complex_numIdEiEEvT1_PT0_S4_S6_S4_T_S7_
    .private_segment_fixed_size: 0
    .sgpr_count:     22
    .sgpr_spill_count: 0
    .symbol:         _ZN9rocsolver6v33100L10rot_kernelId19rocblas_complex_numIdEiEEvT1_PT0_S4_S6_S4_T_S7_.kd
    .uniform_work_group_size: 1
    .uses_dynamic_stack: false
    .vgpr_count:     24
    .vgpr_spill_count: 0
    .wavefront_size: 32
  - .args:
      - .offset:         0
        .size:           4
        .value_kind:     by_value
      - .offset:         4
        .size:           4
        .value_kind:     by_value
      - .offset:         8
        .size:           4
        .value_kind:     by_value
      - .offset:         12
        .size:           4
        .value_kind:     by_value
      - .offset:         16
        .size:           4
        .value_kind:     by_value
      - .address_space:  global
        .offset:         24
        .size:           8
        .value_kind:     global_buffer
      - .offset:         32
        .size:           8
        .value_kind:     by_value
      - .address_space:  global
        .offset:         40
        .size:           8
        .value_kind:     global_buffer
      - .offset:         48
        .size:           8
        .value_kind:     by_value
      - .address_space:  global
        .offset:         56
        .size:           8
        .value_kind:     global_buffer
      - .offset:         64
        .size:           8
        .value_kind:     by_value
      - .offset:         72
        .size:           4
        .value_kind:     by_value
      - .offset:         80
        .size:           8
        .value_kind:     by_value
      - .offset:         88
        .size:           4
        .value_kind:     by_value
      - .offset:         96
        .size:           4
        .value_kind:     hidden_block_count_x
      - .offset:         100
        .size:           4
        .value_kind:     hidden_block_count_y
      - .offset:         104
        .size:           4
        .value_kind:     hidden_block_count_z
      - .offset:         108
        .size:           2
        .value_kind:     hidden_group_size_x
      - .offset:         110
        .size:           2
        .value_kind:     hidden_group_size_y
      - .offset:         112
        .size:           2
        .value_kind:     hidden_group_size_z
      - .offset:         114
        .size:           2
        .value_kind:     hidden_remainder_x
      - .offset:         116
        .size:           2
        .value_kind:     hidden_remainder_y
      - .offset:         118
        .size:           2
        .value_kind:     hidden_remainder_z
      - .offset:         136
        .size:           8
        .value_kind:     hidden_global_offset_x
      - .offset:         144
        .size:           8
        .value_kind:     hidden_global_offset_y
      - .offset:         152
        .size:           8
        .value_kind:     hidden_global_offset_z
      - .offset:         160
        .size:           2
        .value_kind:     hidden_grid_dims
    .group_segment_fixed_size: 0
    .kernarg_segment_align: 8
    .kernarg_segment_size: 352
    .language:       OpenCL C
    .language_version:
      - 2
      - 0
    .max_flat_workgroup_size: 64
    .name:           _ZN9rocsolver6v33100L11lasr_kernelI19rocblas_complex_numIdEdPS3_iEEv13rocblas_side_14rocblas_pivot_15rocblas_direct_T2_S8_PT0_lSA_lT1_lS8_lS8_
    .private_segment_fixed_size: 0
    .sgpr_count:     93
    .sgpr_spill_count: 0
    .symbol:         _ZN9rocsolver6v33100L11lasr_kernelI19rocblas_complex_numIdEdPS3_iEEv13rocblas_side_14rocblas_pivot_15rocblas_direct_T2_S8_PT0_lSA_lT1_lS8_lS8_.kd
    .uniform_work_group_size: 1
    .uses_dynamic_stack: false
    .vgpr_count:     54
    .vgpr_spill_count: 0
    .wavefront_size: 32
  - .args:
      - .offset:         0
        .size:           4
        .value_kind:     by_value
      - .offset:         8
        .size:           8
        .value_kind:     by_value
      - .address_space:  global
        .offset:         16
        .size:           8
        .value_kind:     global_buffer
      - .offset:         24
        .size:           4
        .value_kind:     by_value
      - .offset:         32
        .size:           4
        .value_kind:     hidden_block_count_x
      - .offset:         36
        .size:           4
        .value_kind:     hidden_block_count_y
      - .offset:         40
        .size:           4
        .value_kind:     hidden_block_count_z
      - .offset:         44
        .size:           2
        .value_kind:     hidden_group_size_x
      - .offset:         46
        .size:           2
        .value_kind:     hidden_group_size_y
      - .offset:         48
        .size:           2
        .value_kind:     hidden_group_size_z
      - .offset:         50
        .size:           2
        .value_kind:     hidden_remainder_x
      - .offset:         52
        .size:           2
        .value_kind:     hidden_remainder_y
      - .offset:         54
        .size:           2
        .value_kind:     hidden_remainder_z
      - .offset:         72
        .size:           8
        .value_kind:     hidden_global_offset_x
      - .offset:         80
        .size:           8
        .value_kind:     hidden_global_offset_y
      - .offset:         88
        .size:           8
        .value_kind:     hidden_global_offset_z
      - .offset:         96
        .size:           2
        .value_kind:     hidden_grid_dims
    .group_segment_fixed_size: 0
    .kernarg_segment_align: 8
    .kernarg_segment_size: 288
    .language:       OpenCL C
    .language_version:
      - 2
      - 0
    .max_flat_workgroup_size: 1024
    .name:           _ZN9rocsolver6v33100L11scal_kernelId19rocblas_complex_numIdEiEEvT1_T_PT0_S4_
    .private_segment_fixed_size: 0
    .sgpr_count:     13
    .sgpr_spill_count: 0
    .symbol:         _ZN9rocsolver6v33100L11scal_kernelId19rocblas_complex_numIdEiEEvT1_T_PT0_S4_.kd
    .uniform_work_group_size: 1
    .uses_dynamic_stack: false
    .vgpr_count:     8
    .vgpr_spill_count: 0
    .wavefront_size: 32
  - .args:
      - .offset:         0
        .size:           4
        .value_kind:     by_value
      - .offset:         4
        .size:           4
        .value_kind:     by_value
      - .offset:         8
        .size:           4
        .value_kind:     by_value
      - .address_space:  global
        .offset:         16
        .size:           8
        .value_kind:     global_buffer
      - .offset:         24
        .size:           8
        .value_kind:     by_value
      - .address_space:  global
        .offset:         32
        .size:           8
        .value_kind:     global_buffer
      - .offset:         40
        .size:           8
        .value_kind:     by_value
      - .address_space:  global
        .offset:         48
        .size:           8
        .value_kind:     global_buffer
      - .offset:         56
        .size:           4
        .value_kind:     by_value
      - .offset:         60
        .size:           4
        .value_kind:     by_value
      - .offset:         64
        .size:           8
        .value_kind:     by_value
      - .address_space:  global
        .offset:         72
        .size:           8
        .value_kind:     global_buffer
      - .offset:         80
        .size:           4
        .value_kind:     by_value
      - .offset:         84
        .size:           4
        .value_kind:     by_value
      - .offset:         88
        .size:           8
        .value_kind:     by_value
      - .address_space:  global
        .offset:         96
        .size:           8
        .value_kind:     global_buffer
      - .address_space:  global
        .offset:         104
        .size:           8
        .value_kind:     global_buffer
      - .offset:         112
        .size:           8
        .value_kind:     by_value
      - .address_space:  global
        .offset:         120
        .size:           8
        .value_kind:     global_buffer
      - .offset:         128
        .size:           4
        .value_kind:     hidden_block_count_x
      - .offset:         132
        .size:           4
        .value_kind:     hidden_block_count_y
      - .offset:         136
        .size:           4
        .value_kind:     hidden_block_count_z
      - .offset:         140
        .size:           2
        .value_kind:     hidden_group_size_x
      - .offset:         142
        .size:           2
        .value_kind:     hidden_group_size_y
      - .offset:         144
        .size:           2
        .value_kind:     hidden_group_size_z
      - .offset:         146
        .size:           2
        .value_kind:     hidden_remainder_x
      - .offset:         148
        .size:           2
        .value_kind:     hidden_remainder_y
      - .offset:         150
        .size:           2
        .value_kind:     hidden_remainder_z
      - .offset:         168
        .size:           8
        .value_kind:     hidden_global_offset_x
      - .offset:         176
        .size:           8
        .value_kind:     hidden_global_offset_y
      - .offset:         184
        .size:           8
        .value_kind:     hidden_global_offset_z
      - .offset:         192
        .size:           2
        .value_kind:     hidden_grid_dims
    .group_segment_fixed_size: 0
    .kernarg_segment_align: 8
    .kernarg_segment_size: 384
    .language:       OpenCL C
    .language_version:
      - 2
      - 0
    .max_flat_workgroup_size: 1024
    .name:           _ZN9rocsolver6v33100L17bdsqr_lower2upperI19rocblas_complex_numIdEdPS3_S4_EEviiiPT0_lS6_lT1_iilT2_iilPiS6_lS9_
    .private_segment_fixed_size: 0
    .sgpr_count:     38
    .sgpr_spill_count: 0
    .symbol:         _ZN9rocsolver6v33100L17bdsqr_lower2upperI19rocblas_complex_numIdEdPS3_S4_EEviiiPT0_lS6_lT1_iilT2_iilPiS6_lS9_.kd
    .uniform_work_group_size: 1
    .uses_dynamic_stack: false
    .vgpr_count:     24
    .vgpr_spill_count: 0
    .wavefront_size: 32
  - .args:
      - .offset:         0
        .size:           4
        .value_kind:     by_value
      - .offset:         4
        .size:           4
        .value_kind:     by_value
      - .offset:         8
        .size:           4
        .value_kind:     by_value
      - .offset:         12
        .size:           4
        .value_kind:     by_value
      - .address_space:  global
        .offset:         16
        .size:           8
        .value_kind:     global_buffer
      - .offset:         24
        .size:           8
        .value_kind:     by_value
      - .address_space:  global
        .offset:         32
        .size:           8
        .value_kind:     global_buffer
      - .offset:         40
        .size:           8
        .value_kind:     by_value
      - .address_space:  global
        .offset:         48
        .size:           8
        .value_kind:     global_buffer
      - .offset:         56
        .size:           4
        .value_kind:     by_value
      - .offset:         60
        .size:           4
        .value_kind:     by_value
      - .offset:         64
        .size:           8
        .value_kind:     by_value
      - .address_space:  global
        .offset:         72
        .size:           8
        .value_kind:     global_buffer
      - .offset:         80
        .size:           4
        .value_kind:     by_value
      - .offset:         84
        .size:           4
        .value_kind:     by_value
      - .offset:         88
        .size:           8
        .value_kind:     by_value
      - .address_space:  global
        .offset:         96
        .size:           8
        .value_kind:     global_buffer
      - .offset:         104
        .size:           4
        .value_kind:     by_value
      - .offset:         108
        .size:           4
        .value_kind:     by_value
      - .offset:         112
        .size:           8
        .value_kind:     by_value
      - .offset:         120
        .size:           4
        .value_kind:     by_value
      - .offset:         128
        .size:           8
        .value_kind:     by_value
      - .offset:         136
        .size:           8
        .value_kind:     by_value
      - .offset:         144
        .size:           8
        .value_kind:     by_value
      - .offset:         152
        .size:           8
        .value_kind:     by_value
      - .address_space:  global
        .offset:         160
        .size:           8
        .value_kind:     global_buffer
      - .address_space:  global
        .offset:         168
        .size:           8
        .value_kind:     global_buffer
      - .offset:         176
        .size:           4
        .value_kind:     by_value
      - .offset:         184
        .size:           8
        .value_kind:     by_value
      - .address_space:  global
        .offset:         192
        .size:           8
        .value_kind:     global_buffer
      - .offset:         200
        .size:           4
        .value_kind:     hidden_block_count_x
      - .offset:         204
        .size:           4
        .value_kind:     hidden_block_count_y
      - .offset:         208
        .size:           4
        .value_kind:     hidden_block_count_z
      - .offset:         212
        .size:           2
        .value_kind:     hidden_group_size_x
      - .offset:         214
        .size:           2
        .value_kind:     hidden_group_size_y
      - .offset:         216
        .size:           2
        .value_kind:     hidden_group_size_z
      - .offset:         218
        .size:           2
        .value_kind:     hidden_remainder_x
      - .offset:         220
        .size:           2
        .value_kind:     hidden_remainder_y
      - .offset:         222
        .size:           2
        .value_kind:     hidden_remainder_z
      - .offset:         240
        .size:           8
        .value_kind:     hidden_global_offset_x
      - .offset:         248
        .size:           8
        .value_kind:     hidden_global_offset_y
      - .offset:         256
        .size:           8
        .value_kind:     hidden_global_offset_z
      - .offset:         264
        .size:           2
        .value_kind:     hidden_grid_dims
    .group_segment_fixed_size: 2072
    .kernarg_segment_align: 8
    .kernarg_segment_size: 456
    .language:       OpenCL C
    .language_version:
      - 2
      - 0
    .max_flat_workgroup_size: 1024
    .name:           _ZN9rocsolver6v33100L13bdsqr_computeILi256E19rocblas_complex_numIdEdPS3_S4_S4_EEviiiiPT1_lS6_lT2_iilT3_iilT4_iiliS5_S5_S5_S5_PiS6_ilSA_
    .private_segment_fixed_size: 0
    .sgpr_count:     107
    .sgpr_spill_count: 10
    .symbol:         _ZN9rocsolver6v33100L13bdsqr_computeILi256E19rocblas_complex_numIdEdPS3_S4_S4_EEviiiiPT1_lS6_lT2_iilT3_iilT4_iiliS5_S5_S5_S5_PiS6_ilSA_.kd
    .uniform_work_group_size: 1
    .uses_dynamic_stack: false
    .vgpr_count:     41
    .vgpr_spill_count: 0
    .wavefront_size: 32
  - .args:
      - .offset:         0
        .size:           4
        .value_kind:     by_value
      - .offset:         4
        .size:           4
        .value_kind:     by_value
      - .offset:         8
        .size:           4
        .value_kind:     by_value
      - .offset:         12
        .size:           4
        .value_kind:     by_value
      - .address_space:  global
        .offset:         16
        .size:           8
        .value_kind:     global_buffer
      - .offset:         24
        .size:           4
        .value_kind:     by_value
      - .offset:         28
        .size:           4
        .value_kind:     by_value
      - .offset:         32
        .size:           8
        .value_kind:     by_value
      - .address_space:  global
        .offset:         40
        .size:           8
        .value_kind:     global_buffer
      - .offset:         48
        .size:           4
        .value_kind:     by_value
      - .offset:         52
        .size:           4
        .value_kind:     by_value
      - .offset:         56
        .size:           8
        .value_kind:     by_value
      - .address_space:  global
        .offset:         64
        .size:           8
        .value_kind:     global_buffer
      - .offset:         72
        .size:           4
        .value_kind:     by_value
      - .offset:         76
        .size:           4
        .value_kind:     by_value
      - .offset:         80
        .size:           8
        .value_kind:     by_value
      - .offset:         88
        .size:           4
        .value_kind:     by_value
      - .address_space:  global
        .offset:         96
        .size:           8
        .value_kind:     global_buffer
      - .address_space:  global
        .offset:         104
        .size:           8
        .value_kind:     global_buffer
      - .offset:         112
        .size:           4
        .value_kind:     by_value
      - .offset:         120
        .size:           8
        .value_kind:     by_value
      - .address_space:  global
        .offset:         128
        .size:           8
        .value_kind:     global_buffer
      - .offset:         136
        .size:           4
        .value_kind:     hidden_block_count_x
      - .offset:         140
        .size:           4
        .value_kind:     hidden_block_count_y
      - .offset:         144
        .size:           4
        .value_kind:     hidden_block_count_z
      - .offset:         148
        .size:           2
        .value_kind:     hidden_group_size_x
      - .offset:         150
        .size:           2
        .value_kind:     hidden_group_size_y
      - .offset:         152
        .size:           2
        .value_kind:     hidden_group_size_z
      - .offset:         154
        .size:           2
        .value_kind:     hidden_remainder_x
      - .offset:         156
        .size:           2
        .value_kind:     hidden_remainder_y
      - .offset:         158
        .size:           2
        .value_kind:     hidden_remainder_z
      - .offset:         176
        .size:           8
        .value_kind:     hidden_global_offset_x
      - .offset:         184
        .size:           8
        .value_kind:     hidden_global_offset_y
      - .offset:         192
        .size:           8
        .value_kind:     hidden_global_offset_z
      - .offset:         200
        .size:           2
        .value_kind:     hidden_grid_dims
    .group_segment_fixed_size: 0
    .kernarg_segment_align: 8
    .kernarg_segment_size: 392
    .language:       OpenCL C
    .language_version:
      - 2
      - 0
    .max_flat_workgroup_size: 1024
    .name:           _ZN9rocsolver6v33100L12bdsqr_rotateI19rocblas_complex_numIdEdPS3_S4_S4_EEviiiiT1_iilT2_iilT3_iiliPiPT0_ilS8_
    .private_segment_fixed_size: 0
    .sgpr_count:     44
    .sgpr_spill_count: 0
    .symbol:         _ZN9rocsolver6v33100L12bdsqr_rotateI19rocblas_complex_numIdEdPS3_S4_S4_EEviiiiT1_iilT2_iilT3_iiliPiPT0_ilS8_.kd
    .uniform_work_group_size: 1
    .uses_dynamic_stack: false
    .vgpr_count:     28
    .vgpr_spill_count: 0
    .wavefront_size: 32
  - .args:
      - .offset:         0
        .size:           4
        .value_kind:     by_value
      - .address_space:  global
        .offset:         8
        .size:           8
        .value_kind:     global_buffer
      - .offset:         16
        .size:           8
        .value_kind:     by_value
      - .address_space:  global
        .offset:         24
        .size:           8
        .value_kind:     global_buffer
      - .address_space:  global
        .offset:         32
        .size:           8
        .value_kind:     global_buffer
      - .offset:         40
        .size:           8
        .value_kind:     by_value
      - .address_space:  global
        .offset:         48
        .size:           8
        .value_kind:     global_buffer
      - .offset:         56
        .size:           4
        .value_kind:     hidden_block_count_x
      - .offset:         60
        .size:           4
        .value_kind:     hidden_block_count_y
      - .offset:         64
        .size:           4
        .value_kind:     hidden_block_count_z
      - .offset:         68
        .size:           2
        .value_kind:     hidden_group_size_x
      - .offset:         70
        .size:           2
        .value_kind:     hidden_group_size_y
      - .offset:         72
        .size:           2
        .value_kind:     hidden_group_size_z
      - .offset:         74
        .size:           2
        .value_kind:     hidden_remainder_x
      - .offset:         76
        .size:           2
        .value_kind:     hidden_remainder_y
      - .offset:         78
        .size:           2
        .value_kind:     hidden_remainder_z
      - .offset:         96
        .size:           8
        .value_kind:     hidden_global_offset_x
      - .offset:         104
        .size:           8
        .value_kind:     hidden_global_offset_y
      - .offset:         112
        .size:           8
        .value_kind:     hidden_global_offset_z
      - .offset:         120
        .size:           2
        .value_kind:     hidden_grid_dims
    .group_segment_fixed_size: 0
    .kernarg_segment_align: 8
    .kernarg_segment_size: 312
    .language:       OpenCL C
    .language_version:
      - 2
      - 0
    .max_flat_workgroup_size: 1024
    .name:           _ZN9rocsolver6v33100L22bdsqr_update_endpointsI19rocblas_complex_numIdEdEEviPT0_lPiS5_lS6_
    .private_segment_fixed_size: 0
    .sgpr_count:     25
    .sgpr_spill_count: 0
    .symbol:         _ZN9rocsolver6v33100L22bdsqr_update_endpointsI19rocblas_complex_numIdEdEEviPT0_lPiS5_lS6_.kd
    .uniform_work_group_size: 1
    .uses_dynamic_stack: false
    .vgpr_count:     12
    .vgpr_spill_count: 0
    .wavefront_size: 32
  - .args:
      - .offset:         0
        .size:           4
        .value_kind:     by_value
      - .offset:         4
        .size:           4
        .value_kind:     by_value
      - .address_space:  global
        .offset:         8
        .size:           8
        .value_kind:     global_buffer
      - .address_space:  global
        .offset:         16
        .size:           8
        .value_kind:     global_buffer
      - .offset:         24
        .size:           8
        .value_kind:     by_value
      - .address_space:  global
        .offset:         32
        .size:           8
        .value_kind:     global_buffer
    .group_segment_fixed_size: 0
    .kernarg_segment_align: 8
    .kernarg_segment_size: 40
    .language:       OpenCL C
    .language_version:
      - 2
      - 0
    .max_flat_workgroup_size: 1024
    .name:           _ZN9rocsolver6v33100L19bdsqr_chk_completedI19rocblas_complex_numIdEdEEviiPiPT0_lS4_
    .private_segment_fixed_size: 0
    .sgpr_count:     22
    .sgpr_spill_count: 0
    .symbol:         _ZN9rocsolver6v33100L19bdsqr_chk_completedI19rocblas_complex_numIdEdEEviiPiPT0_lS4_.kd
    .uniform_work_group_size: 1
    .uses_dynamic_stack: false
    .vgpr_count:     6
    .vgpr_spill_count: 0
    .wavefront_size: 32
  - .args:
      - .offset:         0
        .size:           4
        .value_kind:     by_value
      - .offset:         4
        .size:           4
        .value_kind:     by_value
      - .offset:         8
        .size:           4
        .value_kind:     by_value
      - .offset:         12
        .size:           4
        .value_kind:     by_value
      - .address_space:  global
        .offset:         16
        .size:           8
        .value_kind:     global_buffer
      - .offset:         24
        .size:           8
        .value_kind:     by_value
      - .address_space:  global
        .offset:         32
        .size:           8
        .value_kind:     global_buffer
      - .offset:         40
        .size:           8
        .value_kind:     by_value
      - .address_space:  global
        .offset:         48
        .size:           8
        .value_kind:     global_buffer
      - .offset:         56
        .size:           4
        .value_kind:     by_value
      - .offset:         60
        .size:           4
        .value_kind:     by_value
      - .offset:         64
        .size:           8
        .value_kind:     by_value
      - .address_space:  global
        .offset:         72
        .size:           8
        .value_kind:     global_buffer
      - .offset:         80
        .size:           4
        .value_kind:     by_value
      - .offset:         84
        .size:           4
        .value_kind:     by_value
      - .offset:         88
        .size:           8
        .value_kind:     by_value
      - .address_space:  global
        .offset:         96
        .size:           8
        .value_kind:     global_buffer
      - .offset:         104
        .size:           4
        .value_kind:     by_value
      - .offset:         108
        .size:           4
        .value_kind:     by_value
      - .offset:         112
        .size:           8
        .value_kind:     by_value
      - .address_space:  global
        .offset:         120
        .size:           8
        .value_kind:     global_buffer
      - .address_space:  global
        .offset:         128
        .size:           8
        .value_kind:     global_buffer
      - .address_space:  global
        .offset:         136
        .size:           8
        .value_kind:     global_buffer
      - .offset:         144
        .size:           4
        .value_kind:     hidden_block_count_x
      - .offset:         148
        .size:           4
        .value_kind:     hidden_block_count_y
      - .offset:         152
        .size:           4
        .value_kind:     hidden_block_count_z
      - .offset:         156
        .size:           2
        .value_kind:     hidden_group_size_x
      - .offset:         158
        .size:           2
        .value_kind:     hidden_group_size_y
      - .offset:         160
        .size:           2
        .value_kind:     hidden_group_size_z
      - .offset:         162
        .size:           2
        .value_kind:     hidden_remainder_x
      - .offset:         164
        .size:           2
        .value_kind:     hidden_remainder_y
      - .offset:         166
        .size:           2
        .value_kind:     hidden_remainder_z
      - .offset:         184
        .size:           8
        .value_kind:     hidden_global_offset_x
      - .offset:         192
        .size:           8
        .value_kind:     hidden_global_offset_y
      - .offset:         200
        .size:           8
        .value_kind:     hidden_global_offset_z
      - .offset:         208
        .size:           2
        .value_kind:     hidden_grid_dims
      - .offset:         224
        .size:           8
        .value_kind:     hidden_hostcall_buffer
    .group_segment_fixed_size: 98304
    .kernarg_segment_align: 8
    .kernarg_segment_size: 400
    .language:       OpenCL C
    .language_version:
      - 2
      - 0
    .max_flat_workgroup_size: 1024
    .name:           _ZN9rocsolver6v33100L14bdsqr_finalizeI19rocblas_complex_numIdEdPS3_S4_S4_EEviiiiPT0_lS6_lT1_iilT2_iilT3_iilPiSA_SA_
    .private_segment_fixed_size: 64
    .sgpr_count:     62
    .sgpr_spill_count: 0
    .symbol:         _ZN9rocsolver6v33100L14bdsqr_finalizeI19rocblas_complex_numIdEdPS3_S4_S4_EEviiiiPT0_lS6_lT1_iilT2_iilT3_iilPiSA_SA_.kd
    .uniform_work_group_size: 1
    .uses_dynamic_stack: false
    .vgpr_count:     49
    .vgpr_spill_count: 0
    .wavefront_size: 32
  - .args:
      - .offset:         0
        .size:           4
        .value_kind:     by_value
      - .offset:         4
        .size:           4
        .value_kind:     by_value
      - .address_space:  global
        .offset:         8
        .size:           8
        .value_kind:     global_buffer
      - .offset:         16
        .size:           4
        .value_kind:     by_value
      - .offset:         20
        .size:           4
        .value_kind:     by_value
      - .offset:         24
        .size:           8
        .value_kind:     by_value
      - .address_space:  global
        .offset:         32
        .size:           8
        .value_kind:     global_buffer
      - .offset:         40
        .size:           4
        .value_kind:     by_value
      - .offset:         44
        .size:           4
        .value_kind:     by_value
      - .offset:         48
        .size:           8
        .value_kind:     by_value
      - .offset:         56
        .size:           1
        .value_kind:     by_value
      - .offset:         60
        .size:           4
        .value_kind:     by_value
      - .offset:         64
        .size:           4
        .value_kind:     by_value
      - .offset:         72
        .size:           4
        .value_kind:     hidden_block_count_x
      - .offset:         76
        .size:           4
        .value_kind:     hidden_block_count_y
      - .offset:         80
        .size:           4
        .value_kind:     hidden_block_count_z
      - .offset:         84
        .size:           2
        .value_kind:     hidden_group_size_x
      - .offset:         86
        .size:           2
        .value_kind:     hidden_group_size_y
      - .offset:         88
        .size:           2
        .value_kind:     hidden_group_size_z
      - .offset:         90
        .size:           2
        .value_kind:     hidden_remainder_x
      - .offset:         92
        .size:           2
        .value_kind:     hidden_remainder_y
      - .offset:         94
        .size:           2
        .value_kind:     hidden_remainder_z
      - .offset:         112
        .size:           8
        .value_kind:     hidden_global_offset_x
      - .offset:         120
        .size:           8
        .value_kind:     hidden_global_offset_y
      - .offset:         128
        .size:           8
        .value_kind:     hidden_global_offset_z
      - .offset:         136
        .size:           2
        .value_kind:     hidden_grid_dims
    .group_segment_fixed_size: 0
    .kernarg_segment_align: 8
    .kernarg_segment_size: 328
    .language:       OpenCL C
    .language_version:
      - 2
      - 0
    .max_flat_workgroup_size: 1024
    .name:           _ZN9rocsolver6v33100L8copy_matI19rocblas_complex_numIdEPS3_S4_NS0_7no_maskEEEviiT0_iilT1_iilT2_13rocblas_fill_17rocblas_diagonal_
    .private_segment_fixed_size: 0
    .sgpr_count:     18
    .sgpr_spill_count: 0
    .symbol:         _ZN9rocsolver6v33100L8copy_matI19rocblas_complex_numIdEPS3_S4_NS0_7no_maskEEEviiT0_iilT1_iilT2_13rocblas_fill_17rocblas_diagonal_.kd
    .uniform_work_group_size: 1
    .uses_dynamic_stack: false
    .vgpr_count:     6
    .vgpr_spill_count: 0
    .wavefront_size: 32
amdhsa.target:   amdgcn-amd-amdhsa--gfx1250
amdhsa.version:
  - 1
  - 2
...

	.end_amdgpu_metadata
